;; amdgpu-corpus repo=ROCm/rocm-libraries kind=compiled arch=gfx942 opt=O3
	.text
	.amdgcn_target "amdgcn-amd-amdhsa--gfx942"
	.amdhsa_code_object_version 6
	.protected	naive_conv_ab_packed_fwd_nchw_float_double_float_0 ; -- Begin function naive_conv_ab_packed_fwd_nchw_float_double_float_0
	.globl	naive_conv_ab_packed_fwd_nchw_float_double_float_0
	.p2align	8
	.type	naive_conv_ab_packed_fwd_nchw_float_double_float_0,@function
naive_conv_ab_packed_fwd_nchw_float_double_float_0: ; @naive_conv_ab_packed_fwd_nchw_float_double_float_0
; %bb.0:
	s_load_dwordx16 s[4:19], s[0:1], 0xa0
	s_abs_i32 s3, s2
	s_waitcnt lgkmcnt(0)
	s_abs_i32 s20, s7
	v_cvt_f32_u32_e32 v1, s20
	s_sub_i32 s21, 0, s20
	s_mul_i32 s29, s7, s6
	s_mul_i32 s33, s10, s9
	v_rcp_iflag_f32_e32 v1, v1
	v_cmp_gt_i32_e32 vcc, s33, v0
	v_mul_f32_e32 v1, 0x4f7ffffe, v1
	v_cvt_u32_f32_e32 v1, v1
	s_nop 0
	v_readfirstlane_b32 s22, v1
	s_mul_i32 s21, s21, s22
	s_mul_hi_u32 s21, s22, s21
	s_add_i32 s22, s22, s21
	s_mul_hi_u32 s21, s3, s22
	s_mul_i32 s22, s21, s20
	s_sub_i32 s22, s3, s22
	s_add_i32 s23, s21, 1
	s_sub_i32 s24, s22, s20
	s_cmp_ge_u32 s22, s20
	s_cselect_b32 s21, s23, s21
	s_cselect_b32 s22, s24, s22
	s_add_i32 s23, s21, 1
	s_cmp_ge_u32 s22, s20
	s_cselect_b32 s30, s23, s21
	s_abs_i32 s28, s6
	s_abs_i32 s6, s29
	v_cvt_f32_u32_e32 v1, s28
	v_cvt_f32_u32_e32 v2, s6
	v_rcp_iflag_f32_e32 v1, v1
	v_rcp_iflag_f32_e32 v2, v2
	v_mul_f32_e32 v1, 0x4f7ffffe, v1
	v_mul_f32_e32 v2, 0x4f7ffffe, v2
	v_cvt_u32_f32_e32 v1, v1
	v_cvt_u32_f32_e32 v2, v2
	v_readfirstlane_b32 s34, v1
	v_readfirstlane_b32 s31, v2
	s_and_saveexec_b64 s[20:21], vcc
	s_cbranch_execz .LBB0_17
; %bb.1:
	s_ashr_i32 s35, s2, 31
	s_ashr_i32 s36, s7, 31
	s_xor_b32 s36, s35, s36
	s_sub_i32 s38, 0, s28
	s_xor_b32 s30, s30, s36
	s_mul_i32 s38, s38, s34
	s_sub_i32 s30, s30, s36
	s_mul_hi_u32 s38, s34, s38
	s_abs_i32 s37, s30
	s_add_i32 s34, s34, s38
	s_mul_hi_u32 s34, s37, s34
	s_sub_i32 s38, 0, s6
	s_ashr_i32 s36, s30, 31
	s_mul_i32 s38, s38, s31
	s_mul_i32 s30, s30, s7
	;; [unrolled: 1-line block ×3, first 2 shown]
	s_mul_hi_u32 s38, s31, s38
	s_sub_i32 s30, s2, s30
	s_sub_i32 s2, s37, s34
	s_ashr_i32 s29, s29, 31
	s_add_i32 s31, s31, s38
	s_sub_i32 s34, s2, s28
	s_cmp_ge_u32 s2, s28
	s_cselect_b32 s2, s34, s2
	s_sub_i32 s34, s2, s28
	s_cmp_ge_u32 s2, s28
	s_cselect_b32 s2, s34, s2
	s_mul_hi_u32 s31, s3, s31
	s_xor_b32 s2, s2, s36
	s_sub_i32 s28, s2, s36
	s_xor_b32 s2, s35, s29
	s_mul_i32 s29, s31, s6
	s_sub_i32 s3, s3, s29
	s_add_i32 s29, s31, 1
	s_sub_i32 s34, s3, s6
	s_cmp_ge_u32 s3, s6
	s_cselect_b32 s29, s29, s31
	s_cselect_b32 s3, s34, s3
	s_add_i32 s31, s29, 1
	s_cmp_ge_u32 s3, s6
	s_cselect_b32 s3, s31, s29
	s_xor_b32 s3, s3, s2
	s_mul_i32 s38, s19, s7
	s_mul_i32 s19, s19, s8
	s_sub_i32 s6, s3, s2
	s_mul_i32 s3, s28, s19
	s_ashr_i32 s50, s4, 31
	s_ashr_i32 s51, s5, 31
	;; [unrolled: 1-line block ×3, first 2 shown]
	s_mul_i32 s29, s6, s8
	s_mul_hi_i32 s2, s28, s19
	s_mul_hi_i32 s19, s6, s8
	s_add_u32 s29, s29, s3
	s_load_dwordx8 s[20:27], s[0:1], 0x0
	s_addc_u32 s2, s19, s2
	s_mul_i32 s19, s5, s4
	s_mul_hi_i32 s3, s5, s4
	s_mul_i32 s2, s19, s2
	s_mul_hi_u32 s31, s19, s29
	s_add_i32 s2, s31, s2
	s_mul_i32 s3, s3, s29
	s_add_i32 s3, s2, s3
	s_mul_i32 s2, s19, s29
	s_lshl_b64 s[2:3], s[2:3], 2
	s_waitcnt lgkmcnt(0)
	s_add_u32 s2, s20, s2
	s_addc_u32 s3, s21, s3
	s_mul_hi_i32 s20, s6, s7
	s_mul_i32 s6, s6, s7
	s_ashr_i32 s19, s18, 31
	s_ashr_i32 s7, s30, 31
	s_add_u32 s37, s6, s30
	s_addc_u32 s39, s20, s7
	s_mul_hi_i32 s6, s28, s38
	s_mul_i32 s28, s28, s38
	s_ashr_i32 s52, s10, 31
	s_add_u32 s20, s37, s28
	s_addc_u32 s6, s39, s6
	s_mul_hi_i32 s7, s10, s9
	s_mul_i32 s6, s33, s6
	s_mul_hi_u32 s9, s33, s20
	s_add_i32 s9, s9, s6
	s_mul_i32 s21, s7, s20
	s_load_dwordx2 s[6:7], s[0:1], 0x20
	s_load_dword s38, s[0:1], 0xec
	s_add_i32 s21, s9, s21
	s_mul_i32 s20, s33, s20
	s_lshl_b64 s[20:21], s[20:21], 2
	s_waitcnt lgkmcnt(0)
	s_add_u32 s6, s6, s20
	s_addc_u32 s7, s7, s21
	s_cmp_gt_i32 s8, 0
	s_cselect_b64 s[20:21], -1, 0
	s_cmp_gt_i32 s17, 0
	s_cselect_b64 s[28:29], -1, 0
	;; [unrolled: 2-line block ×3, first 2 shown]
	s_abs_i32 s9, s10
	v_cvt_f32_u32_e32 v1, s9
	v_cmp_neq_f64_e64 s[0:1], s[24:25], 1.0
	v_cmp_neq_f64_e64 s[34:35], s[26:27], 0
	s_or_b64 s[34:35], s[0:1], s[34:35]
	v_rcp_iflag_f32_e32 v1, v1
	s_sub_i32 s0, 0, s9
	s_and_b32 s56, s38, 0xffff
	s_mov_b32 s55, s17
	v_mul_f32_e32 v1, 0x4f7ffffe, v1
	v_cvt_u32_f32_e32 v1, v1
	s_mov_b32 s53, s4
	s_mov_b32 s54, s5
	s_mov_b64 s[4:5], 0
	v_mul_lo_u32 v2, s0, v1
	s_mul_i32 s0, s18, s17
	s_mul_i32 s1, s0, s39
	s_mul_hi_u32 s38, s0, s37
	s_add_i32 s38, s38, s1
	s_mul_hi_i32 s1, s18, s17
	s_mul_i32 s17, s1, s37
	s_add_i32 s17, s38, s17
	s_mul_i32 s38, s0, s37
	s_mul_i32 s36, s38, s36
	s_mul_hi_u32 s37, s38, s8
	s_add_i32 s36, s37, s36
	s_mul_i32 s17, s17, s8
	s_add_i32 s37, s36, s17
	s_mul_i32 s36, s38, s8
	s_lshl_b64 s[36:37], s[36:37], 2
	v_mul_hi_u32 v2, v1, v2
	s_add_u32 s22, s22, s36
	v_add_u32_e32 v1, v1, v2
	v_mov_b32_e32 v3, 0
	s_addc_u32 s23, s23, s37
	s_lshl_b64 s[36:37], s[0:1], 2
	s_lshl_b64 s[38:39], s[18:19], 2
	s_branch .LBB0_3
.LBB0_2:                                ;   in Loop: Header=BB0_3 Depth=1
	v_add_u32_e32 v0, s56, v0
	v_cmp_le_i32_e32 vcc, s33, v0
	v_cvt_f32_f64_e32 v2, v[4:5]
	s_or_b64 s[4:5], vcc, s[4:5]
	global_store_dword v[6:7], v2, off
	s_andn2_b64 exec, exec, s[4:5]
	s_cbranch_execz .LBB0_17
.LBB0_3:                                ; =>This Loop Header: Depth=1
                                        ;     Child Loop BB0_6 Depth 2
                                        ;       Child Loop BB0_9 Depth 3
                                        ;         Child Loop BB0_12 Depth 4
	v_sub_u32_e32 v4, 0, v0
	v_max_i32_e32 v4, v0, v4
	v_mul_hi_u32 v5, v4, v1
	v_mul_lo_u32 v6, v5, s9
	v_sub_u32_e32 v4, v4, v6
	v_add_u32_e32 v6, 1, v5
	v_cmp_le_u32_e32 vcc, s9, v4
	v_ashrrev_i32_e32 v2, 31, v0
	v_xor_b32_e32 v2, s52, v2
	v_cndmask_b32_e32 v5, v5, v6, vcc
	v_subrev_u32_e32 v6, s9, v4
	v_cndmask_b32_e32 v4, v4, v6, vcc
	v_add_u32_e32 v6, 1, v5
	v_cmp_le_u32_e32 vcc, s9, v4
	s_nop 1
	v_cndmask_b32_e32 v4, v5, v6, vcc
	v_xor_b32_e32 v4, v4, v2
	v_sub_u32_e32 v7, v4, v2
	v_mul_lo_u32 v2, v7, s10
	s_andn2_b64 vcc, exec, s[20:21]
	v_sub_u32_e32 v6, v0, v2
	s_cbranch_vccnz .LBB0_14
; %bb.4:                                ;   in Loop: Header=BB0_3 Depth=1
	v_mul_lo_u32 v2, v7, s11
	v_subrev_u32_e32 v10, s15, v2
	v_mul_lo_u32 v2, v6, s12
	v_subrev_u32_e32 v11, s16, v2
	s_mov_b32 s17, 0
	v_mov_b64_e32 v[4:5], 0
	s_mov_b64 s[40:41], s[22:23]
	s_branch .LBB0_6
.LBB0_5:                                ;   in Loop: Header=BB0_6 Depth=2
	s_add_i32 s17, s17, 1
	s_add_u32 s40, s40, s36
	s_addc_u32 s41, s41, s37
	s_cmp_eq_u32 s17, s8
	s_cbranch_scc1 .LBB0_15
.LBB0_6:                                ;   Parent Loop BB0_3 Depth=1
                                        ; =>  This Loop Header: Depth=2
                                        ;       Child Loop BB0_9 Depth 3
                                        ;         Child Loop BB0_12 Depth 4
	s_andn2_b64 vcc, exec, s[28:29]
	s_cbranch_vccnz .LBB0_5
; %bb.7:                                ;   in Loop: Header=BB0_6 Depth=2
	s_mul_i32 s0, s17, s50
	s_mul_hi_u32 s1, s17, s53
	s_add_i32 s43, s1, s0
	s_mul_i32 s42, s17, s53
	s_mov_b32 s19, 0
	s_mov_b64 s[44:45], s[40:41]
	s_branch .LBB0_9
.LBB0_8:                                ;   in Loop: Header=BB0_9 Depth=3
	s_add_i32 s19, s19, 1
	s_add_u32 s44, s44, s38
	s_addc_u32 s45, s45, s39
	s_cmp_eq_u32 s19, s55
	s_cbranch_scc1 .LBB0_5
.LBB0_9:                                ;   Parent Loop BB0_3 Depth=1
                                        ;     Parent Loop BB0_6 Depth=2
                                        ; =>    This Loop Header: Depth=3
                                        ;         Child Loop BB0_12 Depth 4
	s_andn2_b64 vcc, exec, s[30:31]
	s_cbranch_vccnz .LBB0_8
; %bb.10:                               ;   in Loop: Header=BB0_9 Depth=3
	s_mul_i32 s0, s19, s13
	v_add_u32_e32 v2, s0, v10
	v_cmp_gt_i32_e32 vcc, 0, v2
	v_cmp_le_i32_e64 s[0:1], s53, v2
	v_lshl_add_u64 v[8:9], s[42:43], 0, v[2:3]
	s_or_b64 s[46:47], vcc, s[0:1]
	v_mul_lo_u32 v2, v9, s54
	v_mul_lo_u32 v12, v8, s51
	v_mad_u64_u32 v[8:9], s[0:1], v8, s54, 0
	v_add3_u32 v9, v9, v12, v2
	v_lshl_add_u64 v[8:9], v[8:9], 2, s[2:3]
	v_mov_b32_e32 v2, v11
	s_mov_b64 s[48:49], s[44:45]
	s_mov_b32 s57, s18
	s_branch .LBB0_12
.LBB0_11:                               ;   in Loop: Header=BB0_12 Depth=4
	s_or_b64 exec, exec, s[0:1]
	s_add_i32 s57, s57, -1
	s_add_u32 s48, s48, 4
	s_addc_u32 s49, s49, 0
	s_cmp_eq_u32 s57, 0
	v_add_u32_e32 v2, s14, v2
	s_cbranch_scc1 .LBB0_8
.LBB0_12:                               ;   Parent Loop BB0_3 Depth=1
                                        ;     Parent Loop BB0_6 Depth=2
                                        ;       Parent Loop BB0_9 Depth=3
                                        ; =>      This Inner Loop Header: Depth=4
	v_cmp_gt_i32_e32 vcc, 0, v2
	v_cmp_le_i32_e64 s[0:1], s54, v2
	s_or_b64 s[0:1], vcc, s[0:1]
	s_or_b64 s[0:1], s[46:47], s[0:1]
	s_xor_b64 s[58:59], s[0:1], -1
	s_and_saveexec_b64 s[0:1], s[58:59]
	s_cbranch_execz .LBB0_11
; %bb.13:                               ;   in Loop: Header=BB0_12 Depth=4
	v_lshl_add_u64 v[12:13], v[2:3], 2, v[8:9]
	global_load_dword v12, v[12:13], off
	s_load_dword s58, s[48:49], 0x0
	s_waitcnt lgkmcnt(0)
	v_cvt_f64_f32_e32 v[14:15], s58
	s_waitcnt vmcnt(0)
	v_cvt_f64_f32_e32 v[12:13], v12
	v_fmac_f64_e32 v[4:5], v[12:13], v[14:15]
	s_branch .LBB0_11
.LBB0_14:                               ;   in Loop: Header=BB0_3 Depth=1
	v_mov_b64_e32 v[4:5], 0
.LBB0_15:                               ;   in Loop: Header=BB0_3 Depth=1
	v_mad_i64_i32 v[8:9], s[0:1], v7, s10, 0
	v_ashrrev_i32_e32 v7, 31, v6
	v_lshl_add_u64 v[8:9], v[8:9], 2, s[6:7]
	s_andn2_b64 vcc, exec, s[34:35]
	v_lshl_add_u64 v[6:7], v[6:7], 2, v[8:9]
	s_cbranch_vccnz .LBB0_2
; %bb.16:                               ;   in Loop: Header=BB0_3 Depth=1
	global_load_dword v2, v[6:7], off
	s_waitcnt vmcnt(0)
	v_cvt_f64_f32_e32 v[8:9], v2
	v_mul_f64 v[8:9], v[8:9], s[26:27]
	v_fmac_f64_e32 v[8:9], s[24:25], v[4:5]
	v_mov_b64_e32 v[4:5], v[8:9]
	s_branch .LBB0_2
.LBB0_17:
	s_endpgm
	.section	.rodata,"a",@progbits
	.p2align	6, 0x0
	.amdhsa_kernel naive_conv_ab_packed_fwd_nchw_float_double_float_0
		.amdhsa_group_segment_fixed_size 0
		.amdhsa_private_segment_fixed_size 0
		.amdhsa_kernarg_size 480
		.amdhsa_user_sgpr_count 2
		.amdhsa_user_sgpr_dispatch_ptr 0
		.amdhsa_user_sgpr_queue_ptr 0
		.amdhsa_user_sgpr_kernarg_segment_ptr 1
		.amdhsa_user_sgpr_dispatch_id 0
		.amdhsa_user_sgpr_kernarg_preload_length 0
		.amdhsa_user_sgpr_kernarg_preload_offset 0
		.amdhsa_user_sgpr_private_segment_size 0
		.amdhsa_uses_dynamic_stack 0
		.amdhsa_enable_private_segment 0
		.amdhsa_system_sgpr_workgroup_id_x 1
		.amdhsa_system_sgpr_workgroup_id_y 0
		.amdhsa_system_sgpr_workgroup_id_z 0
		.amdhsa_system_sgpr_workgroup_info 0
		.amdhsa_system_vgpr_workitem_id 0
		.amdhsa_next_free_vgpr 16
		.amdhsa_next_free_sgpr 60
		.amdhsa_accum_offset 16
		.amdhsa_reserve_vcc 1
		.amdhsa_float_round_mode_32 0
		.amdhsa_float_round_mode_16_64 0
		.amdhsa_float_denorm_mode_32 3
		.amdhsa_float_denorm_mode_16_64 3
		.amdhsa_dx10_clamp 1
		.amdhsa_ieee_mode 1
		.amdhsa_fp16_overflow 0
		.amdhsa_tg_split 0
		.amdhsa_exception_fp_ieee_invalid_op 0
		.amdhsa_exception_fp_denorm_src 0
		.amdhsa_exception_fp_ieee_div_zero 0
		.amdhsa_exception_fp_ieee_overflow 0
		.amdhsa_exception_fp_ieee_underflow 0
		.amdhsa_exception_fp_ieee_inexact 0
		.amdhsa_exception_int_div_zero 0
	.end_amdhsa_kernel
	.text
.Lfunc_end0:
	.size	naive_conv_ab_packed_fwd_nchw_float_double_float_0, .Lfunc_end0-naive_conv_ab_packed_fwd_nchw_float_double_float_0
                                        ; -- End function
	.section	.AMDGPU.csdata,"",@progbits
; Kernel info:
; codeLenInByte = 1292
; NumSgprs: 66
; NumVgprs: 16
; NumAgprs: 0
; TotalNumVgprs: 16
; ScratchSize: 0
; MemoryBound: 0
; FloatMode: 240
; IeeeMode: 1
; LDSByteSize: 0 bytes/workgroup (compile time only)
; SGPRBlocks: 8
; VGPRBlocks: 1
; NumSGPRsForWavesPerEU: 66
; NumVGPRsForWavesPerEU: 16
; AccumOffset: 16
; Occupancy: 8
; WaveLimiterHint : 0
; COMPUTE_PGM_RSRC2:SCRATCH_EN: 0
; COMPUTE_PGM_RSRC2:USER_SGPR: 2
; COMPUTE_PGM_RSRC2:TRAP_HANDLER: 0
; COMPUTE_PGM_RSRC2:TGID_X_EN: 1
; COMPUTE_PGM_RSRC2:TGID_Y_EN: 0
; COMPUTE_PGM_RSRC2:TGID_Z_EN: 0
; COMPUTE_PGM_RSRC2:TIDIG_COMP_CNT: 0
; COMPUTE_PGM_RSRC3_GFX90A:ACCUM_OFFSET: 3
; COMPUTE_PGM_RSRC3_GFX90A:TG_SPLIT: 0
	.text
	.protected	naive_conv_ab_nonpacked_fwd_nchw_float_double_float_0 ; -- Begin function naive_conv_ab_nonpacked_fwd_nchw_float_double_float_0
	.globl	naive_conv_ab_nonpacked_fwd_nchw_float_double_float_0
	.p2align	8
	.type	naive_conv_ab_nonpacked_fwd_nchw_float_double_float_0,@function
naive_conv_ab_nonpacked_fwd_nchw_float_double_float_0: ; @naive_conv_ab_nonpacked_fwd_nchw_float_double_float_0
; %bb.0:
	s_load_dwordx8 s[20:27], s[0:1], 0xa0
	s_abs_i32 s3, s2
	s_waitcnt lgkmcnt(0)
	s_abs_i32 s5, s23
	v_cvt_f32_u32_e32 v1, s5
	s_sub_i32 s6, 0, s5
	s_mul_i32 s4, s23, s22
	s_mul_i32 s25, s26, s25
	v_rcp_iflag_f32_e32 v1, v1
	v_cmp_gt_i32_e32 vcc, s25, v0
	v_mul_f32_e32 v1, 0x4f7ffffe, v1
	v_cvt_u32_f32_e32 v1, v1
	s_nop 0
	v_readfirstlane_b32 s7, v1
	s_mul_i32 s6, s6, s7
	s_mul_hi_u32 s6, s7, s6
	s_add_i32 s7, s7, s6
	s_mul_hi_u32 s6, s3, s7
	s_mul_i32 s7, s6, s5
	s_sub_i32 s7, s3, s7
	s_add_i32 s8, s6, 1
	s_sub_i32 s9, s7, s5
	s_cmp_ge_u32 s7, s5
	s_cselect_b32 s6, s8, s6
	s_cselect_b32 s7, s9, s7
	s_add_i32 s8, s6, 1
	s_cmp_ge_u32 s7, s5
	s_cselect_b32 s5, s8, s6
	s_abs_i32 s33, s22
	s_abs_i32 s22, s4
	v_cvt_f32_u32_e32 v1, s33
	v_cvt_f32_u32_e32 v2, s22
	v_rcp_iflag_f32_e32 v1, v1
	v_rcp_iflag_f32_e32 v2, v2
	v_mul_f32_e32 v1, 0x4f7ffffe, v1
	v_mul_f32_e32 v2, 0x4f7ffffe, v2
	v_cvt_u32_f32_e32 v1, v1
	v_cvt_u32_f32_e32 v2, v2
	v_readfirstlane_b32 s7, v1
	v_readfirstlane_b32 s6, v2
	s_and_saveexec_b64 s[8:9], vcc
	s_cbranch_execz .LBB1_17
; %bb.1:
	s_load_dwordx8 s[36:43], s[0:1], 0x0
	s_load_dwordx2 s[34:35], s[0:1], 0x20
	s_load_dwordx8 s[44:51], s[0:1], 0xc0
	s_waitcnt lgkmcnt(0)
	s_ashr_i32 s51, s2, 31
	s_ashr_i32 s8, s23, 31
	s_xor_b32 s8, s51, s8
	s_xor_b32 s5, s5, s8
	s_sub_i32 s54, s5, s8
	s_sub_i32 s5, 0, s33
	s_mul_i32 s5, s5, s7
	s_mul_hi_u32 s5, s7, s5
	s_abs_i32 s56, s54
	s_add_i32 s7, s7, s5
	s_mul_hi_u32 s57, s56, s7
	s_ashr_i32 s58, s4, 31
	s_sub_i32 s4, 0, s22
	s_ashr_i32 s55, s54, 31
	s_mul_i32 s4, s4, s6
	s_mul_i32 s54, s54, s23
	;; [unrolled: 1-line block ×3, first 2 shown]
	s_mul_hi_u32 s4, s6, s4
	s_sub_i32 s60, s2, s54
	s_sub_i32 s2, s56, s57
	s_add_i32 s6, s6, s4
	s_sub_i32 s23, s2, s33
	s_cmp_ge_u32 s2, s33
	s_cselect_b32 s2, s23, s2
	s_sub_i32 s23, s2, s33
	s_mul_hi_u32 s59, s3, s6
	s_cmp_ge_u32 s2, s33
	s_cselect_b32 s2, s23, s2
	s_mul_i32 s33, s59, s22
	s_xor_b32 s2, s2, s55
	s_sub_i32 s3, s3, s33
	s_sub_i32 s23, s2, s55
	s_xor_b32 s2, s51, s58
	s_add_i32 s33, s59, 1
	s_sub_i32 s51, s3, s22
	s_cmp_ge_u32 s3, s22
	s_cselect_b32 s33, s33, s59
	s_cselect_b32 s3, s51, s3
	s_add_i32 s51, s33, 1
	s_load_dwordx16 s[4:19], s[0:1], 0x28
	s_load_dwordx2 s[52:53], s[0:1], 0x98
	s_load_dwordx4 s[28:31], s[0:1], 0x88
	s_cmp_ge_u32 s3, s22
	s_cselect_b32 s3, s51, s33
	s_xor_b32 s3, s3, s2
	s_ashr_i32 s22, s23, 31
	s_sub_i32 s61, s3, s2
	s_waitcnt lgkmcnt(0)
	s_mul_i32 s2, s12, s22
	s_mul_hi_u32 s3, s12, s23
	s_add_i32 s2, s3, s2
	s_mul_i32 s3, s13, s23
	s_ashr_i32 s65, s61, 31
	s_add_i32 s3, s2, s3
	s_mul_i32 s2, s12, s23
	s_mul_i32 s12, s10, s65
	s_mul_hi_u32 s13, s10, s61
	s_add_i32 s12, s13, s12
	s_mul_i32 s11, s11, s61
	s_add_i32 s11, s12, s11
	s_lshl_b64 s[2:3], s[2:3], 2
	s_mul_i32 s10, s10, s61
	s_add_u32 s12, s36, s2
	s_addc_u32 s13, s37, s3
	s_lshl_b64 s[2:3], s[10:11], 2
	s_add_u32 s33, s12, s2
	s_addc_u32 s51, s13, s3
	s_ashr_i32 s36, s60, 31
	s_mul_i32 s2, s52, s22
	s_mul_hi_u32 s3, s52, s23
	s_add_i32 s2, s3, s2
	s_mul_i32 s3, s53, s23
	s_mul_i32 s10, s30, s65
	s_mul_hi_u32 s11, s30, s61
	s_mul_i32 s12, s28, s36
	s_mul_hi_u32 s13, s28, s60
	s_add_i32 s3, s2, s3
	s_mul_i32 s2, s52, s23
	s_add_i32 s10, s11, s10
	s_mul_i32 s11, s31, s61
	s_add_i32 s12, s13, s12
	s_mul_i32 s13, s29, s60
	s_add_i32 s11, s10, s11
	s_add_i32 s13, s12, s13
	s_lshl_b64 s[2:3], s[2:3], 2
	s_mul_i32 s10, s30, s61
	s_add_u32 s22, s34, s2
	s_addc_u32 s23, s35, s3
	s_lshl_b64 s[2:3], s[10:11], 2
	s_mul_i32 s12, s28, s60
	s_add_u32 s10, s22, s2
	s_addc_u32 s11, s23, s3
	s_lshl_b64 s[2:3], s[12:13], 2
	s_add_u32 s2, s10, s2
	s_addc_u32 s3, s11, s3
	s_cmp_gt_i32 s24, 0
	s_cselect_b64 s[10:11], -1, 0
	s_cmp_gt_i32 s49, 0
	s_cselect_b64 s[12:13], -1, 0
	;; [unrolled: 2-line block ×3, first 2 shown]
	s_abs_i32 s62, s26
	v_cvt_f32_u32_e32 v1, s62
	s_load_dwordx8 s[52:59], s[0:1], 0x68
	s_load_dword s34, s[0:1], 0xec
	v_cmp_neq_f64_e64 s[30:31], s[40:41], 1.0
	v_rcp_iflag_f32_e32 v1, v1
	v_cmp_neq_f64_e64 s[0:1], s[42:43], 0
	s_or_b64 s[30:31], s[30:31], s[0:1]
	s_sub_i32 s0, 0, s62
	v_mul_f32_e32 v1, 0x4f7ffffe, v1
	v_cvt_u32_f32_e32 v1, v1
	s_waitcnt lgkmcnt(0)
	s_and_b32 s63, s34, 0xffff
	s_mul_hi_u32 s1, s52, s60
	s_mul_i32 s34, s54, s65
	v_mul_lo_u32 v2, s0, v1
	s_mul_i32 s0, s52, s36
	s_mul_hi_u32 s35, s54, s61
	s_add_i32 s0, s1, s0
	s_mul_i32 s1, s53, s60
	s_add_i32 s34, s35, s34
	s_mul_i32 s35, s55, s61
	;; [unrolled: 2-line block ×4, first 2 shown]
	s_ashr_i32 s64, s26, 31
	s_lshl_b64 s[0:1], s[0:1], 2
	s_lshl_b64 s[34:35], s[34:35], 2
	s_add_u32 s0, s0, s34
	s_addc_u32 s1, s1, s35
	v_mul_hi_u32 v2, v1, v2
	s_add_u32 s34, s38, s0
	s_mov_b64 s[28:29], 0
	v_add_u32_e32 v1, v1, v2
	s_addc_u32 s35, s39, s1
	s_lshl_b64 s[18:19], s[18:19], 2
	s_lshl_b64 s[16:17], s[16:17], 2
	;; [unrolled: 1-line block ×3, first 2 shown]
	s_branch .LBB1_3
.LBB1_2:                                ;   in Loop: Header=BB1_3 Depth=1
	v_add_u32_e32 v0, s63, v0
	v_cmp_le_i32_e32 vcc, s25, v0
	v_cvt_f32_f64_e32 v2, v[2:3]
	s_or_b64 s[28:29], vcc, s[28:29]
	global_store_dword v[4:5], v2, off
	s_andn2_b64 exec, exec, s[28:29]
	s_cbranch_execz .LBB1_17
.LBB1_3:                                ; =>This Loop Header: Depth=1
                                        ;     Child Loop BB1_6 Depth 2
                                        ;       Child Loop BB1_9 Depth 3
                                        ;         Child Loop BB1_12 Depth 4
	v_sub_u32_e32 v3, 0, v0
	v_max_i32_e32 v3, v0, v3
	v_mul_hi_u32 v4, v3, v1
	v_mul_lo_u32 v5, v4, s62
	v_sub_u32_e32 v3, v3, v5
	v_add_u32_e32 v5, 1, v4
	v_cmp_le_u32_e32 vcc, s62, v3
	v_ashrrev_i32_e32 v2, 31, v0
	v_xor_b32_e32 v2, s64, v2
	v_cndmask_b32_e32 v4, v4, v5, vcc
	v_subrev_u32_e32 v5, s62, v3
	v_cndmask_b32_e32 v3, v3, v5, vcc
	v_add_u32_e32 v5, 1, v4
	v_cmp_le_u32_e32 vcc, s62, v3
	s_nop 1
	v_cndmask_b32_e32 v3, v4, v5, vcc
	v_xor_b32_e32 v3, v3, v2
	v_sub_u32_e32 v7, v3, v2
	v_mul_lo_u32 v2, v7, s26
	s_andn2_b64 vcc, exec, s[10:11]
	v_sub_u32_e32 v6, v0, v2
	s_cbranch_vccnz .LBB1_14
; %bb.4:                                ;   in Loop: Header=BB1_3 Depth=1
	v_mul_lo_u32 v2, v7, s27
	v_subrev_u32_e32 v8, s47, v2
	v_mul_lo_u32 v2, v6, s44
	v_subrev_u32_e32 v9, s48, v2
	s_mov_b32 s65, 0
	v_mov_b64_e32 v[2:3], 0
	s_mov_b64 s[36:37], s[34:35]
	s_branch .LBB1_6
.LBB1_5:                                ;   in Loop: Header=BB1_6 Depth=2
	s_add_i32 s65, s65, 1
	s_add_u32 s36, s36, s18
	s_addc_u32 s37, s37, s19
	s_cmp_eq_u32 s65, s24
	s_cbranch_scc1 .LBB1_15
.LBB1_6:                                ;   Parent Loop BB1_3 Depth=1
                                        ; =>  This Loop Header: Depth=2
                                        ;       Child Loop BB1_9 Depth 3
                                        ;         Child Loop BB1_12 Depth 4
	s_andn2_b64 vcc, exec, s[12:13]
	s_cbranch_vccnz .LBB1_5
; %bb.7:                                ;   in Loop: Header=BB1_6 Depth=2
	s_mul_i32 s0, s9, s65
	s_mul_hi_u32 s1, s8, s65
	s_add_i32 s1, s1, s0
	s_mul_i32 s0, s8, s65
	s_lshl_b64 s[0:1], s[0:1], 2
	s_add_u32 s38, s33, s0
	s_addc_u32 s39, s51, s1
	s_mov_b32 s66, 0
	s_mov_b64 s[52:53], s[36:37]
	s_branch .LBB1_9
.LBB1_8:                                ;   in Loop: Header=BB1_9 Depth=3
	s_add_i32 s66, s66, 1
	s_add_u32 s52, s52, s16
	s_addc_u32 s53, s53, s17
	s_cmp_eq_u32 s66, s49
	s_cbranch_scc1 .LBB1_5
.LBB1_9:                                ;   Parent Loop BB1_3 Depth=1
                                        ;     Parent Loop BB1_6 Depth=2
                                        ; =>    This Loop Header: Depth=3
                                        ;         Child Loop BB1_12 Depth 4
	s_andn2_b64 vcc, exec, s[22:23]
	s_cbranch_vccnz .LBB1_8
; %bb.10:                               ;   in Loop: Header=BB1_9 Depth=3
	s_mul_i32 s0, s66, s45
	v_add_u32_e32 v11, s0, v8
	v_cmp_gt_i32_e32 vcc, 0, v11
	v_cmp_le_i32_e64 s[0:1], s20, v11
	s_or_b64 s[54:55], vcc, s[0:1]
	v_mad_u64_u32 v[4:5], s[0:1], s6, v11, 0
	v_mov_b32_e32 v10, v5
	v_mad_u64_u32 v[10:11], s[0:1], s7, v11, v[10:11]
	v_mov_b32_e32 v5, v10
	v_lshl_add_u64 v[4:5], v[4:5], 2, s[38:39]
	v_mov_b32_e32 v10, v9
	s_mov_b64 s[60:61], s[52:53]
	s_mov_b32 s67, s50
	s_branch .LBB1_12
.LBB1_11:                               ;   in Loop: Header=BB1_12 Depth=4
	s_or_b64 exec, exec, s[0:1]
	s_add_i32 s67, s67, -1
	s_add_u32 s60, s60, s14
	s_addc_u32 s61, s61, s15
	s_cmp_eq_u32 s67, 0
	v_add_u32_e32 v10, s46, v10
	s_cbranch_scc1 .LBB1_8
.LBB1_12:                               ;   Parent Loop BB1_3 Depth=1
                                        ;     Parent Loop BB1_6 Depth=2
                                        ;       Parent Loop BB1_9 Depth=3
                                        ; =>      This Inner Loop Header: Depth=4
	v_cmp_gt_i32_e32 vcc, 0, v10
	v_cmp_le_i32_e64 s[0:1], s21, v10
	s_or_b64 s[0:1], vcc, s[0:1]
	s_or_b64 s[0:1], s[54:55], s[0:1]
	s_xor_b64 s[68:69], s[0:1], -1
	s_and_saveexec_b64 s[0:1], s[68:69]
	s_cbranch_execz .LBB1_11
; %bb.13:                               ;   in Loop: Header=BB1_12 Depth=4
	v_mad_u64_u32 v[12:13], s[68:69], s4, v10, 0
	v_mov_b32_e32 v14, v13
	v_mad_u64_u32 v[14:15], s[68:69], s5, v10, v[14:15]
	v_mov_b32_e32 v13, v14
	v_lshl_add_u64 v[12:13], v[12:13], 2, v[4:5]
	global_load_dword v11, v[12:13], off
	s_load_dword s68, s[60:61], 0x0
	s_waitcnt lgkmcnt(0)
	v_cvt_f64_f32_e32 v[14:15], s68
	s_waitcnt vmcnt(0)
	v_cvt_f64_f32_e32 v[12:13], v11
	v_fmac_f64_e32 v[2:3], v[12:13], v[14:15]
	s_branch .LBB1_11
.LBB1_14:                               ;   in Loop: Header=BB1_3 Depth=1
	v_mov_b64_e32 v[2:3], 0
.LBB1_15:                               ;   in Loop: Header=BB1_3 Depth=1
	v_ashrrev_i32_e32 v4, 31, v7
	v_mul_lo_u32 v8, s59, v7
	v_mul_lo_u32 v9, s58, v4
	v_mad_u64_u32 v[4:5], s[0:1], s58, v7, 0
	v_ashrrev_i32_e32 v7, 31, v6
	v_add3_u32 v5, v5, v9, v8
	v_mul_lo_u32 v8, s57, v6
	v_mul_lo_u32 v9, s56, v7
	v_mad_u64_u32 v[6:7], s[0:1], s56, v6, 0
	v_add3_u32 v7, v7, v9, v8
	v_lshl_add_u64 v[4:5], v[4:5], 2, s[2:3]
	s_andn2_b64 vcc, exec, s[30:31]
	v_lshl_add_u64 v[4:5], v[6:7], 2, v[4:5]
	s_cbranch_vccnz .LBB1_2
; %bb.16:                               ;   in Loop: Header=BB1_3 Depth=1
	global_load_dword v6, v[4:5], off
	s_waitcnt vmcnt(0)
	v_cvt_f64_f32_e32 v[6:7], v6
	v_mul_f64 v[6:7], v[6:7], s[42:43]
	v_fmac_f64_e32 v[6:7], s[40:41], v[2:3]
	v_mov_b64_e32 v[2:3], v[6:7]
	s_branch .LBB1_2
.LBB1_17:
	s_endpgm
	.section	.rodata,"a",@progbits
	.p2align	6, 0x0
	.amdhsa_kernel naive_conv_ab_nonpacked_fwd_nchw_float_double_float_0
		.amdhsa_group_segment_fixed_size 0
		.amdhsa_private_segment_fixed_size 0
		.amdhsa_kernarg_size 480
		.amdhsa_user_sgpr_count 2
		.amdhsa_user_sgpr_dispatch_ptr 0
		.amdhsa_user_sgpr_queue_ptr 0
		.amdhsa_user_sgpr_kernarg_segment_ptr 1
		.amdhsa_user_sgpr_dispatch_id 0
		.amdhsa_user_sgpr_kernarg_preload_length 0
		.amdhsa_user_sgpr_kernarg_preload_offset 0
		.amdhsa_user_sgpr_private_segment_size 0
		.amdhsa_uses_dynamic_stack 0
		.amdhsa_enable_private_segment 0
		.amdhsa_system_sgpr_workgroup_id_x 1
		.amdhsa_system_sgpr_workgroup_id_y 0
		.amdhsa_system_sgpr_workgroup_id_z 0
		.amdhsa_system_sgpr_workgroup_info 0
		.amdhsa_system_vgpr_workitem_id 0
		.amdhsa_next_free_vgpr 16
		.amdhsa_next_free_sgpr 70
		.amdhsa_accum_offset 16
		.amdhsa_reserve_vcc 1
		.amdhsa_float_round_mode_32 0
		.amdhsa_float_round_mode_16_64 0
		.amdhsa_float_denorm_mode_32 3
		.amdhsa_float_denorm_mode_16_64 3
		.amdhsa_dx10_clamp 1
		.amdhsa_ieee_mode 1
		.amdhsa_fp16_overflow 0
		.amdhsa_tg_split 0
		.amdhsa_exception_fp_ieee_invalid_op 0
		.amdhsa_exception_fp_denorm_src 0
		.amdhsa_exception_fp_ieee_div_zero 0
		.amdhsa_exception_fp_ieee_overflow 0
		.amdhsa_exception_fp_ieee_underflow 0
		.amdhsa_exception_fp_ieee_inexact 0
		.amdhsa_exception_int_div_zero 0
	.end_amdhsa_kernel
	.text
.Lfunc_end1:
	.size	naive_conv_ab_nonpacked_fwd_nchw_float_double_float_0, .Lfunc_end1-naive_conv_ab_nonpacked_fwd_nchw_float_double_float_0
                                        ; -- End function
	.section	.AMDGPU.csdata,"",@progbits
; Kernel info:
; codeLenInByte = 1432
; NumSgprs: 76
; NumVgprs: 16
; NumAgprs: 0
; TotalNumVgprs: 16
; ScratchSize: 0
; MemoryBound: 0
; FloatMode: 240
; IeeeMode: 1
; LDSByteSize: 0 bytes/workgroup (compile time only)
; SGPRBlocks: 9
; VGPRBlocks: 1
; NumSGPRsForWavesPerEU: 76
; NumVGPRsForWavesPerEU: 16
; AccumOffset: 16
; Occupancy: 8
; WaveLimiterHint : 0
; COMPUTE_PGM_RSRC2:SCRATCH_EN: 0
; COMPUTE_PGM_RSRC2:USER_SGPR: 2
; COMPUTE_PGM_RSRC2:TRAP_HANDLER: 0
; COMPUTE_PGM_RSRC2:TGID_X_EN: 1
; COMPUTE_PGM_RSRC2:TGID_Y_EN: 0
; COMPUTE_PGM_RSRC2:TGID_Z_EN: 0
; COMPUTE_PGM_RSRC2:TIDIG_COMP_CNT: 0
; COMPUTE_PGM_RSRC3_GFX90A:ACCUM_OFFSET: 3
; COMPUTE_PGM_RSRC3_GFX90A:TG_SPLIT: 0
	.text
	.protected	naive_conv_ab_packed_fwd_nchw_float_double_float_1 ; -- Begin function naive_conv_ab_packed_fwd_nchw_float_double_float_1
	.globl	naive_conv_ab_packed_fwd_nchw_float_double_float_1
	.p2align	8
	.type	naive_conv_ab_packed_fwd_nchw_float_double_float_1,@function
naive_conv_ab_packed_fwd_nchw_float_double_float_1: ; @naive_conv_ab_packed_fwd_nchw_float_double_float_1
; %bb.0:
	s_load_dwordx16 s[4:19], s[0:1], 0xa0
	s_abs_i32 s3, s2
	s_waitcnt lgkmcnt(0)
	s_abs_i32 s20, s7
	v_cvt_f32_u32_e32 v1, s20
	s_sub_i32 s21, 0, s20
	s_mul_i32 s29, s7, s6
	s_mul_i32 s33, s10, s9
	v_rcp_iflag_f32_e32 v1, v1
	v_cmp_gt_i32_e32 vcc, s33, v0
	v_mul_f32_e32 v1, 0x4f7ffffe, v1
	v_cvt_u32_f32_e32 v1, v1
	s_nop 0
	v_readfirstlane_b32 s22, v1
	s_mul_i32 s21, s21, s22
	s_mul_hi_u32 s21, s22, s21
	s_add_i32 s22, s22, s21
	s_mul_hi_u32 s21, s3, s22
	s_mul_i32 s22, s21, s20
	s_sub_i32 s22, s3, s22
	s_add_i32 s23, s21, 1
	s_sub_i32 s24, s22, s20
	s_cmp_ge_u32 s22, s20
	s_cselect_b32 s21, s23, s21
	s_cselect_b32 s22, s24, s22
	s_add_i32 s23, s21, 1
	s_cmp_ge_u32 s22, s20
	s_cselect_b32 s30, s23, s21
	s_abs_i32 s28, s6
	s_abs_i32 s6, s29
	v_cvt_f32_u32_e32 v1, s28
	v_cvt_f32_u32_e32 v2, s6
	v_rcp_iflag_f32_e32 v1, v1
	v_rcp_iflag_f32_e32 v2, v2
	v_mul_f32_e32 v1, 0x4f7ffffe, v1
	v_mul_f32_e32 v2, 0x4f7ffffe, v2
	v_cvt_u32_f32_e32 v1, v1
	v_cvt_u32_f32_e32 v2, v2
	v_readfirstlane_b32 s34, v1
	v_readfirstlane_b32 s31, v2
	s_and_saveexec_b64 s[20:21], vcc
	s_cbranch_execz .LBB2_17
; %bb.1:
	s_ashr_i32 s35, s2, 31
	s_ashr_i32 s36, s7, 31
	s_xor_b32 s36, s35, s36
	s_sub_i32 s38, 0, s28
	s_xor_b32 s30, s30, s36
	s_mul_i32 s38, s38, s34
	s_sub_i32 s30, s30, s36
	s_mul_hi_u32 s38, s34, s38
	s_abs_i32 s37, s30
	s_add_i32 s34, s34, s38
	s_mul_hi_u32 s34, s37, s34
	s_sub_i32 s38, 0, s6
	s_ashr_i32 s36, s30, 31
	s_mul_i32 s38, s38, s31
	s_mul_i32 s30, s30, s7
	;; [unrolled: 1-line block ×3, first 2 shown]
	s_mul_hi_u32 s38, s31, s38
	s_sub_i32 s30, s2, s30
	s_sub_i32 s2, s37, s34
	s_ashr_i32 s29, s29, 31
	s_add_i32 s31, s31, s38
	s_sub_i32 s34, s2, s28
	s_cmp_ge_u32 s2, s28
	s_cselect_b32 s2, s34, s2
	s_sub_i32 s34, s2, s28
	s_cmp_ge_u32 s2, s28
	s_cselect_b32 s2, s34, s2
	s_mul_hi_u32 s31, s3, s31
	s_xor_b32 s2, s2, s36
	s_sub_i32 s28, s2, s36
	s_xor_b32 s2, s35, s29
	s_mul_i32 s29, s31, s6
	s_sub_i32 s3, s3, s29
	s_add_i32 s29, s31, 1
	s_sub_i32 s34, s3, s6
	s_cmp_ge_u32 s3, s6
	s_cselect_b32 s29, s29, s31
	s_cselect_b32 s3, s34, s3
	s_add_i32 s31, s29, 1
	s_cmp_ge_u32 s3, s6
	s_cselect_b32 s3, s31, s29
	s_xor_b32 s3, s3, s2
	s_mul_i32 s38, s19, s7
	s_mul_i32 s19, s19, s8
	s_sub_i32 s6, s3, s2
	s_mul_i32 s3, s28, s19
	s_ashr_i32 s50, s4, 31
	s_ashr_i32 s51, s5, 31
	s_ashr_i32 s36, s8, 31
	s_mul_i32 s29, s6, s8
	s_mul_hi_i32 s2, s28, s19
	s_mul_hi_i32 s19, s6, s8
	s_add_u32 s29, s29, s3
	s_load_dwordx8 s[20:27], s[0:1], 0x0
	s_addc_u32 s2, s19, s2
	s_mul_i32 s19, s5, s4
	s_mul_hi_i32 s3, s5, s4
	s_mul_i32 s2, s19, s2
	s_mul_hi_u32 s31, s19, s29
	s_add_i32 s2, s31, s2
	s_mul_i32 s3, s3, s29
	s_add_i32 s3, s2, s3
	s_mul_i32 s2, s19, s29
	s_lshl_b64 s[2:3], s[2:3], 2
	s_waitcnt lgkmcnt(0)
	s_add_u32 s2, s20, s2
	s_addc_u32 s3, s21, s3
	s_mul_hi_i32 s20, s6, s7
	s_mul_i32 s6, s6, s7
	s_ashr_i32 s19, s18, 31
	s_ashr_i32 s7, s30, 31
	s_add_u32 s37, s6, s30
	s_addc_u32 s39, s20, s7
	s_mul_hi_i32 s6, s28, s38
	s_mul_i32 s28, s28, s38
	s_ashr_i32 s52, s10, 31
	s_add_u32 s20, s37, s28
	s_addc_u32 s6, s39, s6
	s_mul_hi_i32 s7, s10, s9
	s_mul_i32 s6, s33, s6
	s_mul_hi_u32 s9, s33, s20
	s_add_i32 s9, s9, s6
	s_mul_i32 s21, s7, s20
	s_load_dwordx2 s[6:7], s[0:1], 0x20
	s_load_dword s38, s[0:1], 0xec
	s_add_i32 s21, s9, s21
	s_mul_i32 s20, s33, s20
	s_lshl_b64 s[20:21], s[20:21], 2
	s_waitcnt lgkmcnt(0)
	s_add_u32 s6, s6, s20
	s_addc_u32 s7, s7, s21
	s_cmp_gt_i32 s8, 0
	s_cselect_b64 s[20:21], -1, 0
	s_cmp_gt_i32 s17, 0
	s_cselect_b64 s[28:29], -1, 0
	s_cmp_gt_i32 s18, 0
	s_cselect_b64 s[30:31], -1, 0
	s_abs_i32 s9, s10
	v_cvt_f32_u32_e32 v1, s9
	v_cmp_neq_f64_e64 s[0:1], s[24:25], 1.0
	v_cmp_neq_f64_e64 s[34:35], s[26:27], 0
	s_or_b64 s[34:35], s[0:1], s[34:35]
	v_rcp_iflag_f32_e32 v1, v1
	s_sub_i32 s0, 0, s9
	s_and_b32 s56, s38, 0xffff
	s_mov_b32 s55, s17
	v_mul_f32_e32 v1, 0x4f7ffffe, v1
	v_cvt_u32_f32_e32 v1, v1
	s_mov_b32 s53, s4
	s_mov_b32 s54, s5
	s_mov_b64 s[4:5], 0
	v_mul_lo_u32 v2, s0, v1
	s_mul_i32 s0, s18, s17
	s_mul_i32 s1, s0, s39
	s_mul_hi_u32 s38, s0, s37
	s_add_i32 s38, s38, s1
	s_mul_hi_i32 s1, s18, s17
	s_mul_i32 s17, s1, s37
	s_add_i32 s17, s38, s17
	s_mul_i32 s38, s0, s37
	s_mul_i32 s36, s38, s36
	s_mul_hi_u32 s37, s38, s8
	s_add_i32 s36, s37, s36
	s_mul_i32 s17, s17, s8
	s_add_i32 s37, s36, s17
	s_mul_i32 s36, s38, s8
	s_lshl_b64 s[36:37], s[36:37], 2
	v_mul_hi_u32 v2, v1, v2
	s_add_u32 s22, s22, s36
	v_add_u32_e32 v1, v1, v2
	v_mov_b32_e32 v3, 0
	s_addc_u32 s23, s23, s37
	s_lshl_b64 s[36:37], s[0:1], 2
	s_lshl_b64 s[38:39], s[18:19], 2
	s_branch .LBB2_3
.LBB2_2:                                ;   in Loop: Header=BB2_3 Depth=1
	v_add_u32_e32 v0, s56, v0
	v_cmp_le_i32_e32 vcc, s33, v0
	v_cvt_f32_f64_e32 v2, v[4:5]
	s_or_b64 s[4:5], vcc, s[4:5]
	global_store_dword v[6:7], v2, off
	s_andn2_b64 exec, exec, s[4:5]
	s_cbranch_execz .LBB2_17
.LBB2_3:                                ; =>This Loop Header: Depth=1
                                        ;     Child Loop BB2_6 Depth 2
                                        ;       Child Loop BB2_9 Depth 3
                                        ;         Child Loop BB2_12 Depth 4
	v_sub_u32_e32 v4, 0, v0
	v_max_i32_e32 v4, v0, v4
	v_mul_hi_u32 v5, v4, v1
	v_mul_lo_u32 v6, v5, s9
	v_sub_u32_e32 v4, v4, v6
	v_add_u32_e32 v6, 1, v5
	v_cmp_le_u32_e32 vcc, s9, v4
	v_ashrrev_i32_e32 v2, 31, v0
	v_xor_b32_e32 v2, s52, v2
	v_cndmask_b32_e32 v5, v5, v6, vcc
	v_subrev_u32_e32 v6, s9, v4
	v_cndmask_b32_e32 v4, v4, v6, vcc
	v_add_u32_e32 v6, 1, v5
	v_cmp_le_u32_e32 vcc, s9, v4
	s_nop 1
	v_cndmask_b32_e32 v4, v5, v6, vcc
	v_xor_b32_e32 v4, v4, v2
	v_sub_u32_e32 v7, v4, v2
	v_mul_lo_u32 v2, v7, s10
	s_andn2_b64 vcc, exec, s[20:21]
	v_sub_u32_e32 v6, v0, v2
	s_cbranch_vccnz .LBB2_14
; %bb.4:                                ;   in Loop: Header=BB2_3 Depth=1
	v_mul_lo_u32 v2, v7, s11
	v_subrev_u32_e32 v10, s15, v2
	v_mul_lo_u32 v2, v6, s12
	v_subrev_u32_e32 v11, s16, v2
	s_mov_b32 s17, 0
	v_mov_b64_e32 v[4:5], 0
	s_mov_b64 s[40:41], s[22:23]
	s_branch .LBB2_6
.LBB2_5:                                ;   in Loop: Header=BB2_6 Depth=2
	s_add_i32 s17, s17, 1
	s_add_u32 s40, s40, s36
	s_addc_u32 s41, s41, s37
	s_cmp_eq_u32 s17, s8
	s_cbranch_scc1 .LBB2_15
.LBB2_6:                                ;   Parent Loop BB2_3 Depth=1
                                        ; =>  This Loop Header: Depth=2
                                        ;       Child Loop BB2_9 Depth 3
                                        ;         Child Loop BB2_12 Depth 4
	s_andn2_b64 vcc, exec, s[28:29]
	s_cbranch_vccnz .LBB2_5
; %bb.7:                                ;   in Loop: Header=BB2_6 Depth=2
	s_mul_i32 s0, s17, s50
	s_mul_hi_u32 s1, s17, s53
	s_add_i32 s43, s1, s0
	s_mul_i32 s42, s17, s53
	s_mov_b32 s19, 0
	s_mov_b64 s[44:45], s[40:41]
	s_branch .LBB2_9
.LBB2_8:                                ;   in Loop: Header=BB2_9 Depth=3
	s_add_i32 s19, s19, 1
	s_add_u32 s44, s44, s38
	s_addc_u32 s45, s45, s39
	s_cmp_eq_u32 s19, s55
	s_cbranch_scc1 .LBB2_5
.LBB2_9:                                ;   Parent Loop BB2_3 Depth=1
                                        ;     Parent Loop BB2_6 Depth=2
                                        ; =>    This Loop Header: Depth=3
                                        ;         Child Loop BB2_12 Depth 4
	s_andn2_b64 vcc, exec, s[30:31]
	s_cbranch_vccnz .LBB2_8
; %bb.10:                               ;   in Loop: Header=BB2_9 Depth=3
	s_mul_i32 s0, s19, s13
	v_add_u32_e32 v2, s0, v10
	v_cmp_gt_i32_e32 vcc, 0, v2
	v_cmp_le_i32_e64 s[0:1], s53, v2
	v_lshl_add_u64 v[8:9], s[42:43], 0, v[2:3]
	s_or_b64 s[46:47], vcc, s[0:1]
	v_mul_lo_u32 v2, v9, s54
	v_mul_lo_u32 v12, v8, s51
	v_mad_u64_u32 v[8:9], s[0:1], v8, s54, 0
	v_add3_u32 v9, v9, v12, v2
	v_lshl_add_u64 v[8:9], v[8:9], 2, s[2:3]
	v_mov_b32_e32 v2, v11
	s_mov_b64 s[48:49], s[44:45]
	s_mov_b32 s57, s18
	s_branch .LBB2_12
.LBB2_11:                               ;   in Loop: Header=BB2_12 Depth=4
	s_or_b64 exec, exec, s[0:1]
	s_add_i32 s57, s57, -1
	s_add_u32 s48, s48, 4
	s_addc_u32 s49, s49, 0
	s_cmp_eq_u32 s57, 0
	v_add_u32_e32 v2, s14, v2
	s_cbranch_scc1 .LBB2_8
.LBB2_12:                               ;   Parent Loop BB2_3 Depth=1
                                        ;     Parent Loop BB2_6 Depth=2
                                        ;       Parent Loop BB2_9 Depth=3
                                        ; =>      This Inner Loop Header: Depth=4
	v_cmp_gt_i32_e32 vcc, 0, v2
	v_cmp_le_i32_e64 s[0:1], s54, v2
	s_or_b64 s[0:1], vcc, s[0:1]
	s_or_b64 s[0:1], s[46:47], s[0:1]
	s_xor_b64 s[58:59], s[0:1], -1
	s_and_saveexec_b64 s[0:1], s[58:59]
	s_cbranch_execz .LBB2_11
; %bb.13:                               ;   in Loop: Header=BB2_12 Depth=4
	v_lshl_add_u64 v[12:13], v[2:3], 2, v[8:9]
	global_load_dword v12, v[12:13], off
	s_load_dword s58, s[48:49], 0x0
	s_waitcnt lgkmcnt(0)
	s_and_b32 s58, s58, 0xffffe000
	s_waitcnt vmcnt(0)
	v_and_b32_e32 v14, 0xffffe000, v12
	v_cvt_f64_f32_e32 v[12:13], s58
	v_cvt_f64_f32_e32 v[14:15], v14
	v_fmac_f64_e32 v[4:5], v[14:15], v[12:13]
	s_branch .LBB2_11
.LBB2_14:                               ;   in Loop: Header=BB2_3 Depth=1
	v_mov_b64_e32 v[4:5], 0
.LBB2_15:                               ;   in Loop: Header=BB2_3 Depth=1
	v_mad_i64_i32 v[8:9], s[0:1], v7, s10, 0
	v_ashrrev_i32_e32 v7, 31, v6
	v_lshl_add_u64 v[8:9], v[8:9], 2, s[6:7]
	s_andn2_b64 vcc, exec, s[34:35]
	v_lshl_add_u64 v[6:7], v[6:7], 2, v[8:9]
	s_cbranch_vccnz .LBB2_2
; %bb.16:                               ;   in Loop: Header=BB2_3 Depth=1
	global_load_dword v2, v[6:7], off
	s_waitcnt vmcnt(0)
	v_cvt_f64_f32_e32 v[8:9], v2
	v_mul_f64 v[8:9], v[8:9], s[26:27]
	v_fmac_f64_e32 v[8:9], s[24:25], v[4:5]
	v_mov_b64_e32 v[4:5], v[8:9]
	s_branch .LBB2_2
.LBB2_17:
	s_endpgm
	.section	.rodata,"a",@progbits
	.p2align	6, 0x0
	.amdhsa_kernel naive_conv_ab_packed_fwd_nchw_float_double_float_1
		.amdhsa_group_segment_fixed_size 0
		.amdhsa_private_segment_fixed_size 0
		.amdhsa_kernarg_size 480
		.amdhsa_user_sgpr_count 2
		.amdhsa_user_sgpr_dispatch_ptr 0
		.amdhsa_user_sgpr_queue_ptr 0
		.amdhsa_user_sgpr_kernarg_segment_ptr 1
		.amdhsa_user_sgpr_dispatch_id 0
		.amdhsa_user_sgpr_kernarg_preload_length 0
		.amdhsa_user_sgpr_kernarg_preload_offset 0
		.amdhsa_user_sgpr_private_segment_size 0
		.amdhsa_uses_dynamic_stack 0
		.amdhsa_enable_private_segment 0
		.amdhsa_system_sgpr_workgroup_id_x 1
		.amdhsa_system_sgpr_workgroup_id_y 0
		.amdhsa_system_sgpr_workgroup_id_z 0
		.amdhsa_system_sgpr_workgroup_info 0
		.amdhsa_system_vgpr_workitem_id 0
		.amdhsa_next_free_vgpr 16
		.amdhsa_next_free_sgpr 60
		.amdhsa_accum_offset 16
		.amdhsa_reserve_vcc 1
		.amdhsa_float_round_mode_32 0
		.amdhsa_float_round_mode_16_64 0
		.amdhsa_float_denorm_mode_32 3
		.amdhsa_float_denorm_mode_16_64 3
		.amdhsa_dx10_clamp 1
		.amdhsa_ieee_mode 1
		.amdhsa_fp16_overflow 0
		.amdhsa_tg_split 0
		.amdhsa_exception_fp_ieee_invalid_op 0
		.amdhsa_exception_fp_denorm_src 0
		.amdhsa_exception_fp_ieee_div_zero 0
		.amdhsa_exception_fp_ieee_overflow 0
		.amdhsa_exception_fp_ieee_underflow 0
		.amdhsa_exception_fp_ieee_inexact 0
		.amdhsa_exception_int_div_zero 0
	.end_amdhsa_kernel
	.text
.Lfunc_end2:
	.size	naive_conv_ab_packed_fwd_nchw_float_double_float_1, .Lfunc_end2-naive_conv_ab_packed_fwd_nchw_float_double_float_1
                                        ; -- End function
	.section	.AMDGPU.csdata,"",@progbits
; Kernel info:
; codeLenInByte = 1308
; NumSgprs: 66
; NumVgprs: 16
; NumAgprs: 0
; TotalNumVgprs: 16
; ScratchSize: 0
; MemoryBound: 0
; FloatMode: 240
; IeeeMode: 1
; LDSByteSize: 0 bytes/workgroup (compile time only)
; SGPRBlocks: 8
; VGPRBlocks: 1
; NumSGPRsForWavesPerEU: 66
; NumVGPRsForWavesPerEU: 16
; AccumOffset: 16
; Occupancy: 8
; WaveLimiterHint : 0
; COMPUTE_PGM_RSRC2:SCRATCH_EN: 0
; COMPUTE_PGM_RSRC2:USER_SGPR: 2
; COMPUTE_PGM_RSRC2:TRAP_HANDLER: 0
; COMPUTE_PGM_RSRC2:TGID_X_EN: 1
; COMPUTE_PGM_RSRC2:TGID_Y_EN: 0
; COMPUTE_PGM_RSRC2:TGID_Z_EN: 0
; COMPUTE_PGM_RSRC2:TIDIG_COMP_CNT: 0
; COMPUTE_PGM_RSRC3_GFX90A:ACCUM_OFFSET: 3
; COMPUTE_PGM_RSRC3_GFX90A:TG_SPLIT: 0
	.text
	.protected	naive_conv_ab_nonpacked_fwd_nchw_float_double_float_1 ; -- Begin function naive_conv_ab_nonpacked_fwd_nchw_float_double_float_1
	.globl	naive_conv_ab_nonpacked_fwd_nchw_float_double_float_1
	.p2align	8
	.type	naive_conv_ab_nonpacked_fwd_nchw_float_double_float_1,@function
naive_conv_ab_nonpacked_fwd_nchw_float_double_float_1: ; @naive_conv_ab_nonpacked_fwd_nchw_float_double_float_1
; %bb.0:
	s_load_dwordx8 s[20:27], s[0:1], 0xa0
	s_abs_i32 s3, s2
	s_waitcnt lgkmcnt(0)
	s_abs_i32 s5, s23
	v_cvt_f32_u32_e32 v1, s5
	s_sub_i32 s6, 0, s5
	s_mul_i32 s4, s23, s22
	s_mul_i32 s25, s26, s25
	v_rcp_iflag_f32_e32 v1, v1
	v_cmp_gt_i32_e32 vcc, s25, v0
	v_mul_f32_e32 v1, 0x4f7ffffe, v1
	v_cvt_u32_f32_e32 v1, v1
	s_nop 0
	v_readfirstlane_b32 s7, v1
	s_mul_i32 s6, s6, s7
	s_mul_hi_u32 s6, s7, s6
	s_add_i32 s7, s7, s6
	s_mul_hi_u32 s6, s3, s7
	s_mul_i32 s7, s6, s5
	s_sub_i32 s7, s3, s7
	s_add_i32 s8, s6, 1
	s_sub_i32 s9, s7, s5
	s_cmp_ge_u32 s7, s5
	s_cselect_b32 s6, s8, s6
	s_cselect_b32 s7, s9, s7
	s_add_i32 s8, s6, 1
	s_cmp_ge_u32 s7, s5
	s_cselect_b32 s5, s8, s6
	s_abs_i32 s33, s22
	s_abs_i32 s22, s4
	v_cvt_f32_u32_e32 v1, s33
	v_cvt_f32_u32_e32 v2, s22
	v_rcp_iflag_f32_e32 v1, v1
	v_rcp_iflag_f32_e32 v2, v2
	v_mul_f32_e32 v1, 0x4f7ffffe, v1
	v_mul_f32_e32 v2, 0x4f7ffffe, v2
	v_cvt_u32_f32_e32 v1, v1
	v_cvt_u32_f32_e32 v2, v2
	v_readfirstlane_b32 s7, v1
	v_readfirstlane_b32 s6, v2
	s_and_saveexec_b64 s[8:9], vcc
	s_cbranch_execz .LBB3_17
; %bb.1:
	s_load_dwordx8 s[36:43], s[0:1], 0x0
	s_load_dwordx2 s[34:35], s[0:1], 0x20
	s_load_dwordx8 s[44:51], s[0:1], 0xc0
	s_waitcnt lgkmcnt(0)
	s_ashr_i32 s51, s2, 31
	s_ashr_i32 s8, s23, 31
	s_xor_b32 s8, s51, s8
	s_xor_b32 s5, s5, s8
	s_sub_i32 s54, s5, s8
	s_sub_i32 s5, 0, s33
	s_mul_i32 s5, s5, s7
	s_mul_hi_u32 s5, s7, s5
	s_abs_i32 s56, s54
	s_add_i32 s7, s7, s5
	s_mul_hi_u32 s57, s56, s7
	s_ashr_i32 s58, s4, 31
	s_sub_i32 s4, 0, s22
	s_ashr_i32 s55, s54, 31
	s_mul_i32 s4, s4, s6
	s_mul_i32 s54, s54, s23
	;; [unrolled: 1-line block ×3, first 2 shown]
	s_mul_hi_u32 s4, s6, s4
	s_sub_i32 s60, s2, s54
	s_sub_i32 s2, s56, s57
	s_add_i32 s6, s6, s4
	s_sub_i32 s23, s2, s33
	s_cmp_ge_u32 s2, s33
	s_cselect_b32 s2, s23, s2
	s_sub_i32 s23, s2, s33
	s_mul_hi_u32 s59, s3, s6
	s_cmp_ge_u32 s2, s33
	s_cselect_b32 s2, s23, s2
	s_mul_i32 s33, s59, s22
	s_xor_b32 s2, s2, s55
	s_sub_i32 s3, s3, s33
	s_sub_i32 s23, s2, s55
	s_xor_b32 s2, s51, s58
	s_add_i32 s33, s59, 1
	s_sub_i32 s51, s3, s22
	s_cmp_ge_u32 s3, s22
	s_cselect_b32 s33, s33, s59
	s_cselect_b32 s3, s51, s3
	s_add_i32 s51, s33, 1
	s_load_dwordx16 s[4:19], s[0:1], 0x28
	s_load_dwordx2 s[52:53], s[0:1], 0x98
	s_load_dwordx4 s[28:31], s[0:1], 0x88
	s_cmp_ge_u32 s3, s22
	s_cselect_b32 s3, s51, s33
	s_xor_b32 s3, s3, s2
	s_ashr_i32 s22, s23, 31
	s_sub_i32 s61, s3, s2
	s_waitcnt lgkmcnt(0)
	s_mul_i32 s2, s12, s22
	s_mul_hi_u32 s3, s12, s23
	s_add_i32 s2, s3, s2
	s_mul_i32 s3, s13, s23
	s_ashr_i32 s65, s61, 31
	s_add_i32 s3, s2, s3
	s_mul_i32 s2, s12, s23
	s_mul_i32 s12, s10, s65
	s_mul_hi_u32 s13, s10, s61
	s_add_i32 s12, s13, s12
	s_mul_i32 s11, s11, s61
	s_add_i32 s11, s12, s11
	s_lshl_b64 s[2:3], s[2:3], 2
	s_mul_i32 s10, s10, s61
	s_add_u32 s12, s36, s2
	s_addc_u32 s13, s37, s3
	s_lshl_b64 s[2:3], s[10:11], 2
	s_add_u32 s33, s12, s2
	s_addc_u32 s51, s13, s3
	s_ashr_i32 s36, s60, 31
	s_mul_i32 s2, s52, s22
	s_mul_hi_u32 s3, s52, s23
	s_add_i32 s2, s3, s2
	s_mul_i32 s3, s53, s23
	s_mul_i32 s10, s30, s65
	s_mul_hi_u32 s11, s30, s61
	s_mul_i32 s12, s28, s36
	s_mul_hi_u32 s13, s28, s60
	s_add_i32 s3, s2, s3
	s_mul_i32 s2, s52, s23
	s_add_i32 s10, s11, s10
	s_mul_i32 s11, s31, s61
	;; [unrolled: 2-line block ×3, first 2 shown]
	s_add_i32 s11, s10, s11
	s_add_i32 s13, s12, s13
	s_lshl_b64 s[2:3], s[2:3], 2
	s_mul_i32 s10, s30, s61
	s_add_u32 s22, s34, s2
	s_addc_u32 s23, s35, s3
	s_lshl_b64 s[2:3], s[10:11], 2
	s_mul_i32 s12, s28, s60
	s_add_u32 s10, s22, s2
	s_addc_u32 s11, s23, s3
	s_lshl_b64 s[2:3], s[12:13], 2
	s_add_u32 s2, s10, s2
	s_addc_u32 s3, s11, s3
	s_cmp_gt_i32 s24, 0
	s_cselect_b64 s[10:11], -1, 0
	s_cmp_gt_i32 s49, 0
	s_cselect_b64 s[12:13], -1, 0
	s_cmp_gt_i32 s50, 0
	s_cselect_b64 s[22:23], -1, 0
	s_abs_i32 s62, s26
	v_cvt_f32_u32_e32 v1, s62
	s_load_dwordx8 s[52:59], s[0:1], 0x68
	s_load_dword s34, s[0:1], 0xec
	v_cmp_neq_f64_e64 s[30:31], s[40:41], 1.0
	v_rcp_iflag_f32_e32 v1, v1
	v_cmp_neq_f64_e64 s[0:1], s[42:43], 0
	s_or_b64 s[30:31], s[30:31], s[0:1]
	s_sub_i32 s0, 0, s62
	v_mul_f32_e32 v1, 0x4f7ffffe, v1
	v_cvt_u32_f32_e32 v1, v1
	s_waitcnt lgkmcnt(0)
	s_and_b32 s63, s34, 0xffff
	s_mul_hi_u32 s1, s52, s60
	s_mul_i32 s34, s54, s65
	v_mul_lo_u32 v2, s0, v1
	s_mul_i32 s0, s52, s36
	s_mul_hi_u32 s35, s54, s61
	s_add_i32 s0, s1, s0
	s_mul_i32 s1, s53, s60
	s_add_i32 s34, s35, s34
	s_mul_i32 s35, s55, s61
	;; [unrolled: 2-line block ×4, first 2 shown]
	s_ashr_i32 s64, s26, 31
	s_lshl_b64 s[0:1], s[0:1], 2
	s_lshl_b64 s[34:35], s[34:35], 2
	s_add_u32 s0, s0, s34
	s_addc_u32 s1, s1, s35
	v_mul_hi_u32 v2, v1, v2
	s_add_u32 s34, s38, s0
	s_mov_b64 s[28:29], 0
	v_add_u32_e32 v1, v1, v2
	s_addc_u32 s35, s39, s1
	s_lshl_b64 s[18:19], s[18:19], 2
	s_lshl_b64 s[16:17], s[16:17], 2
	;; [unrolled: 1-line block ×3, first 2 shown]
	s_branch .LBB3_3
.LBB3_2:                                ;   in Loop: Header=BB3_3 Depth=1
	v_add_u32_e32 v0, s63, v0
	v_cmp_le_i32_e32 vcc, s25, v0
	v_cvt_f32_f64_e32 v2, v[2:3]
	s_or_b64 s[28:29], vcc, s[28:29]
	global_store_dword v[4:5], v2, off
	s_andn2_b64 exec, exec, s[28:29]
	s_cbranch_execz .LBB3_17
.LBB3_3:                                ; =>This Loop Header: Depth=1
                                        ;     Child Loop BB3_6 Depth 2
                                        ;       Child Loop BB3_9 Depth 3
                                        ;         Child Loop BB3_12 Depth 4
	v_sub_u32_e32 v3, 0, v0
	v_max_i32_e32 v3, v0, v3
	v_mul_hi_u32 v4, v3, v1
	v_mul_lo_u32 v5, v4, s62
	v_sub_u32_e32 v3, v3, v5
	v_add_u32_e32 v5, 1, v4
	v_cmp_le_u32_e32 vcc, s62, v3
	v_ashrrev_i32_e32 v2, 31, v0
	v_xor_b32_e32 v2, s64, v2
	v_cndmask_b32_e32 v4, v4, v5, vcc
	v_subrev_u32_e32 v5, s62, v3
	v_cndmask_b32_e32 v3, v3, v5, vcc
	v_add_u32_e32 v5, 1, v4
	v_cmp_le_u32_e32 vcc, s62, v3
	s_nop 1
	v_cndmask_b32_e32 v3, v4, v5, vcc
	v_xor_b32_e32 v3, v3, v2
	v_sub_u32_e32 v7, v3, v2
	v_mul_lo_u32 v2, v7, s26
	s_andn2_b64 vcc, exec, s[10:11]
	v_sub_u32_e32 v6, v0, v2
	s_cbranch_vccnz .LBB3_14
; %bb.4:                                ;   in Loop: Header=BB3_3 Depth=1
	v_mul_lo_u32 v2, v7, s27
	v_subrev_u32_e32 v8, s47, v2
	v_mul_lo_u32 v2, v6, s44
	v_subrev_u32_e32 v9, s48, v2
	s_mov_b32 s65, 0
	v_mov_b64_e32 v[2:3], 0
	s_mov_b64 s[36:37], s[34:35]
	s_branch .LBB3_6
.LBB3_5:                                ;   in Loop: Header=BB3_6 Depth=2
	s_add_i32 s65, s65, 1
	s_add_u32 s36, s36, s18
	s_addc_u32 s37, s37, s19
	s_cmp_eq_u32 s65, s24
	s_cbranch_scc1 .LBB3_15
.LBB3_6:                                ;   Parent Loop BB3_3 Depth=1
                                        ; =>  This Loop Header: Depth=2
                                        ;       Child Loop BB3_9 Depth 3
                                        ;         Child Loop BB3_12 Depth 4
	s_andn2_b64 vcc, exec, s[12:13]
	s_cbranch_vccnz .LBB3_5
; %bb.7:                                ;   in Loop: Header=BB3_6 Depth=2
	s_mul_i32 s0, s9, s65
	s_mul_hi_u32 s1, s8, s65
	s_add_i32 s1, s1, s0
	s_mul_i32 s0, s8, s65
	s_lshl_b64 s[0:1], s[0:1], 2
	s_add_u32 s38, s33, s0
	s_addc_u32 s39, s51, s1
	s_mov_b32 s66, 0
	s_mov_b64 s[52:53], s[36:37]
	s_branch .LBB3_9
.LBB3_8:                                ;   in Loop: Header=BB3_9 Depth=3
	s_add_i32 s66, s66, 1
	s_add_u32 s52, s52, s16
	s_addc_u32 s53, s53, s17
	s_cmp_eq_u32 s66, s49
	s_cbranch_scc1 .LBB3_5
.LBB3_9:                                ;   Parent Loop BB3_3 Depth=1
                                        ;     Parent Loop BB3_6 Depth=2
                                        ; =>    This Loop Header: Depth=3
                                        ;         Child Loop BB3_12 Depth 4
	s_andn2_b64 vcc, exec, s[22:23]
	s_cbranch_vccnz .LBB3_8
; %bb.10:                               ;   in Loop: Header=BB3_9 Depth=3
	s_mul_i32 s0, s66, s45
	v_add_u32_e32 v11, s0, v8
	v_cmp_gt_i32_e32 vcc, 0, v11
	v_cmp_le_i32_e64 s[0:1], s20, v11
	s_or_b64 s[54:55], vcc, s[0:1]
	v_mad_u64_u32 v[4:5], s[0:1], s6, v11, 0
	v_mov_b32_e32 v10, v5
	v_mad_u64_u32 v[10:11], s[0:1], s7, v11, v[10:11]
	v_mov_b32_e32 v5, v10
	v_lshl_add_u64 v[4:5], v[4:5], 2, s[38:39]
	v_mov_b32_e32 v10, v9
	s_mov_b64 s[60:61], s[52:53]
	s_mov_b32 s67, s50
	s_branch .LBB3_12
.LBB3_11:                               ;   in Loop: Header=BB3_12 Depth=4
	s_or_b64 exec, exec, s[0:1]
	s_add_i32 s67, s67, -1
	s_add_u32 s60, s60, s14
	s_addc_u32 s61, s61, s15
	s_cmp_eq_u32 s67, 0
	v_add_u32_e32 v10, s46, v10
	s_cbranch_scc1 .LBB3_8
.LBB3_12:                               ;   Parent Loop BB3_3 Depth=1
                                        ;     Parent Loop BB3_6 Depth=2
                                        ;       Parent Loop BB3_9 Depth=3
                                        ; =>      This Inner Loop Header: Depth=4
	v_cmp_gt_i32_e32 vcc, 0, v10
	v_cmp_le_i32_e64 s[0:1], s21, v10
	s_or_b64 s[0:1], vcc, s[0:1]
	s_or_b64 s[0:1], s[54:55], s[0:1]
	s_xor_b64 s[68:69], s[0:1], -1
	s_and_saveexec_b64 s[0:1], s[68:69]
	s_cbranch_execz .LBB3_11
; %bb.13:                               ;   in Loop: Header=BB3_12 Depth=4
	v_mad_u64_u32 v[12:13], s[68:69], s4, v10, 0
	v_mov_b32_e32 v14, v13
	v_mad_u64_u32 v[14:15], s[68:69], s5, v10, v[14:15]
	v_mov_b32_e32 v13, v14
	v_lshl_add_u64 v[12:13], v[12:13], 2, v[4:5]
	global_load_dword v11, v[12:13], off
	s_load_dword s68, s[60:61], 0x0
	s_waitcnt lgkmcnt(0)
	s_and_b32 s68, s68, 0xffffe000
	v_cvt_f64_f32_e32 v[14:15], s68
	s_waitcnt vmcnt(0)
	v_and_b32_e32 v11, 0xffffe000, v11
	v_cvt_f64_f32_e32 v[12:13], v11
	v_fmac_f64_e32 v[2:3], v[12:13], v[14:15]
	s_branch .LBB3_11
.LBB3_14:                               ;   in Loop: Header=BB3_3 Depth=1
	v_mov_b64_e32 v[2:3], 0
.LBB3_15:                               ;   in Loop: Header=BB3_3 Depth=1
	v_ashrrev_i32_e32 v4, 31, v7
	v_mul_lo_u32 v8, s59, v7
	v_mul_lo_u32 v9, s58, v4
	v_mad_u64_u32 v[4:5], s[0:1], s58, v7, 0
	v_ashrrev_i32_e32 v7, 31, v6
	v_add3_u32 v5, v5, v9, v8
	v_mul_lo_u32 v8, s57, v6
	v_mul_lo_u32 v9, s56, v7
	v_mad_u64_u32 v[6:7], s[0:1], s56, v6, 0
	v_add3_u32 v7, v7, v9, v8
	v_lshl_add_u64 v[4:5], v[4:5], 2, s[2:3]
	s_andn2_b64 vcc, exec, s[30:31]
	v_lshl_add_u64 v[4:5], v[6:7], 2, v[4:5]
	s_cbranch_vccnz .LBB3_2
; %bb.16:                               ;   in Loop: Header=BB3_3 Depth=1
	global_load_dword v6, v[4:5], off
	s_waitcnt vmcnt(0)
	v_cvt_f64_f32_e32 v[6:7], v6
	v_mul_f64 v[6:7], v[6:7], s[42:43]
	v_fmac_f64_e32 v[6:7], s[40:41], v[2:3]
	v_mov_b64_e32 v[2:3], v[6:7]
	s_branch .LBB3_2
.LBB3_17:
	s_endpgm
	.section	.rodata,"a",@progbits
	.p2align	6, 0x0
	.amdhsa_kernel naive_conv_ab_nonpacked_fwd_nchw_float_double_float_1
		.amdhsa_group_segment_fixed_size 0
		.amdhsa_private_segment_fixed_size 0
		.amdhsa_kernarg_size 480
		.amdhsa_user_sgpr_count 2
		.amdhsa_user_sgpr_dispatch_ptr 0
		.amdhsa_user_sgpr_queue_ptr 0
		.amdhsa_user_sgpr_kernarg_segment_ptr 1
		.amdhsa_user_sgpr_dispatch_id 0
		.amdhsa_user_sgpr_kernarg_preload_length 0
		.amdhsa_user_sgpr_kernarg_preload_offset 0
		.amdhsa_user_sgpr_private_segment_size 0
		.amdhsa_uses_dynamic_stack 0
		.amdhsa_enable_private_segment 0
		.amdhsa_system_sgpr_workgroup_id_x 1
		.amdhsa_system_sgpr_workgroup_id_y 0
		.amdhsa_system_sgpr_workgroup_id_z 0
		.amdhsa_system_sgpr_workgroup_info 0
		.amdhsa_system_vgpr_workitem_id 0
		.amdhsa_next_free_vgpr 16
		.amdhsa_next_free_sgpr 70
		.amdhsa_accum_offset 16
		.amdhsa_reserve_vcc 1
		.amdhsa_float_round_mode_32 0
		.amdhsa_float_round_mode_16_64 0
		.amdhsa_float_denorm_mode_32 3
		.amdhsa_float_denorm_mode_16_64 3
		.amdhsa_dx10_clamp 1
		.amdhsa_ieee_mode 1
		.amdhsa_fp16_overflow 0
		.amdhsa_tg_split 0
		.amdhsa_exception_fp_ieee_invalid_op 0
		.amdhsa_exception_fp_denorm_src 0
		.amdhsa_exception_fp_ieee_div_zero 0
		.amdhsa_exception_fp_ieee_overflow 0
		.amdhsa_exception_fp_ieee_underflow 0
		.amdhsa_exception_fp_ieee_inexact 0
		.amdhsa_exception_int_div_zero 0
	.end_amdhsa_kernel
	.text
.Lfunc_end3:
	.size	naive_conv_ab_nonpacked_fwd_nchw_float_double_float_1, .Lfunc_end3-naive_conv_ab_nonpacked_fwd_nchw_float_double_float_1
                                        ; -- End function
	.section	.AMDGPU.csdata,"",@progbits
; Kernel info:
; codeLenInByte = 1448
; NumSgprs: 76
; NumVgprs: 16
; NumAgprs: 0
; TotalNumVgprs: 16
; ScratchSize: 0
; MemoryBound: 0
; FloatMode: 240
; IeeeMode: 1
; LDSByteSize: 0 bytes/workgroup (compile time only)
; SGPRBlocks: 9
; VGPRBlocks: 1
; NumSGPRsForWavesPerEU: 76
; NumVGPRsForWavesPerEU: 16
; AccumOffset: 16
; Occupancy: 8
; WaveLimiterHint : 0
; COMPUTE_PGM_RSRC2:SCRATCH_EN: 0
; COMPUTE_PGM_RSRC2:USER_SGPR: 2
; COMPUTE_PGM_RSRC2:TRAP_HANDLER: 0
; COMPUTE_PGM_RSRC2:TGID_X_EN: 1
; COMPUTE_PGM_RSRC2:TGID_Y_EN: 0
; COMPUTE_PGM_RSRC2:TGID_Z_EN: 0
; COMPUTE_PGM_RSRC2:TIDIG_COMP_CNT: 0
; COMPUTE_PGM_RSRC3_GFX90A:ACCUM_OFFSET: 3
; COMPUTE_PGM_RSRC3_GFX90A:TG_SPLIT: 0
	.text
	.protected	naive_conv_ab_packed_fwd_nchw_half_double_half_0 ; -- Begin function naive_conv_ab_packed_fwd_nchw_half_double_half_0
	.globl	naive_conv_ab_packed_fwd_nchw_half_double_half_0
	.p2align	8
	.type	naive_conv_ab_packed_fwd_nchw_half_double_half_0,@function
naive_conv_ab_packed_fwd_nchw_half_double_half_0: ; @naive_conv_ab_packed_fwd_nchw_half_double_half_0
; %bb.0:
	s_load_dwordx16 s[4:19], s[0:1], 0xa0
	s_abs_i32 s3, s2
	s_waitcnt lgkmcnt(0)
	s_abs_i32 s20, s7
	v_cvt_f32_u32_e32 v1, s20
	s_sub_i32 s21, 0, s20
	s_mul_i32 s29, s7, s6
	s_mul_i32 s33, s10, s9
	v_rcp_iflag_f32_e32 v1, v1
	v_cmp_gt_i32_e32 vcc, s33, v0
	v_mul_f32_e32 v1, 0x4f7ffffe, v1
	v_cvt_u32_f32_e32 v1, v1
	s_nop 0
	v_readfirstlane_b32 s22, v1
	s_mul_i32 s21, s21, s22
	s_mul_hi_u32 s21, s22, s21
	s_add_i32 s22, s22, s21
	s_mul_hi_u32 s21, s3, s22
	s_mul_i32 s22, s21, s20
	s_sub_i32 s22, s3, s22
	s_add_i32 s23, s21, 1
	s_sub_i32 s24, s22, s20
	s_cmp_ge_u32 s22, s20
	s_cselect_b32 s21, s23, s21
	s_cselect_b32 s22, s24, s22
	s_add_i32 s23, s21, 1
	s_cmp_ge_u32 s22, s20
	s_cselect_b32 s30, s23, s21
	s_abs_i32 s28, s6
	s_abs_i32 s6, s29
	v_cvt_f32_u32_e32 v1, s28
	v_cvt_f32_u32_e32 v2, s6
	v_rcp_iflag_f32_e32 v1, v1
	v_rcp_iflag_f32_e32 v2, v2
	v_mul_f32_e32 v1, 0x4f7ffffe, v1
	v_mul_f32_e32 v2, 0x4f7ffffe, v2
	v_cvt_u32_f32_e32 v1, v1
	v_cvt_u32_f32_e32 v2, v2
	v_readfirstlane_b32 s34, v1
	v_readfirstlane_b32 s31, v2
	s_and_saveexec_b64 s[20:21], vcc
	s_cbranch_execz .LBB4_19
; %bb.1:
	s_ashr_i32 s35, s2, 31
	s_ashr_i32 s36, s7, 31
	s_xor_b32 s36, s35, s36
	s_sub_i32 s38, 0, s28
	s_xor_b32 s30, s30, s36
	s_mul_i32 s38, s38, s34
	s_sub_i32 s30, s30, s36
	s_mul_hi_u32 s38, s34, s38
	s_abs_i32 s37, s30
	s_add_i32 s34, s34, s38
	s_mul_hi_u32 s34, s37, s34
	s_sub_i32 s38, 0, s6
	s_ashr_i32 s36, s30, 31
	s_mul_i32 s38, s38, s31
	s_mul_i32 s30, s30, s7
	;; [unrolled: 1-line block ×3, first 2 shown]
	s_mul_hi_u32 s38, s31, s38
	s_sub_i32 s30, s2, s30
	s_sub_i32 s2, s37, s34
	s_ashr_i32 s29, s29, 31
	s_add_i32 s31, s31, s38
	s_sub_i32 s34, s2, s28
	s_cmp_ge_u32 s2, s28
	s_cselect_b32 s2, s34, s2
	s_sub_i32 s34, s2, s28
	s_cmp_ge_u32 s2, s28
	s_cselect_b32 s2, s34, s2
	s_mul_hi_u32 s31, s3, s31
	s_xor_b32 s2, s2, s36
	s_sub_i32 s28, s2, s36
	s_xor_b32 s2, s35, s29
	s_mul_i32 s29, s31, s6
	s_sub_i32 s3, s3, s29
	s_add_i32 s29, s31, 1
	s_sub_i32 s34, s3, s6
	s_cmp_ge_u32 s3, s6
	s_cselect_b32 s29, s29, s31
	s_cselect_b32 s3, s34, s3
	s_add_i32 s31, s29, 1
	s_cmp_ge_u32 s3, s6
	s_cselect_b32 s3, s31, s29
	s_xor_b32 s3, s3, s2
	s_mul_i32 s38, s19, s7
	s_mul_i32 s19, s19, s8
	s_sub_i32 s6, s3, s2
	s_mul_i32 s3, s28, s19
	s_ashr_i32 s50, s4, 31
	s_ashr_i32 s51, s5, 31
	;; [unrolled: 1-line block ×3, first 2 shown]
	s_mul_i32 s29, s6, s8
	s_mul_hi_i32 s2, s28, s19
	s_mul_hi_i32 s19, s6, s8
	s_add_u32 s29, s29, s3
	s_load_dwordx8 s[20:27], s[0:1], 0x0
	s_addc_u32 s2, s19, s2
	s_mul_i32 s19, s5, s4
	s_mul_hi_i32 s3, s5, s4
	s_mul_i32 s2, s19, s2
	s_mul_hi_u32 s31, s19, s29
	s_add_i32 s2, s31, s2
	s_mul_i32 s3, s3, s29
	s_add_i32 s3, s2, s3
	s_mul_i32 s2, s19, s29
	s_lshl_b64 s[2:3], s[2:3], 1
	s_waitcnt lgkmcnt(0)
	s_add_u32 s2, s20, s2
	s_addc_u32 s3, s21, s3
	s_mul_hi_i32 s20, s6, s7
	s_mul_i32 s6, s6, s7
	s_ashr_i32 s19, s18, 31
	s_ashr_i32 s7, s30, 31
	s_add_u32 s37, s6, s30
	s_addc_u32 s39, s20, s7
	s_mul_hi_i32 s6, s28, s38
	s_mul_i32 s28, s28, s38
	s_ashr_i32 s52, s10, 31
	s_add_u32 s20, s37, s28
	s_addc_u32 s6, s39, s6
	s_mul_hi_i32 s7, s10, s9
	s_mul_i32 s6, s33, s6
	s_mul_hi_u32 s9, s33, s20
	s_add_i32 s9, s9, s6
	s_mul_i32 s21, s7, s20
	s_load_dwordx2 s[6:7], s[0:1], 0x20
	s_load_dword s38, s[0:1], 0xec
	s_add_i32 s21, s9, s21
	s_mul_i32 s20, s33, s20
	s_lshl_b64 s[20:21], s[20:21], 1
	s_waitcnt lgkmcnt(0)
	s_add_u32 s6, s6, s20
	s_addc_u32 s7, s7, s21
	s_cmp_gt_i32 s8, 0
	s_cselect_b64 s[20:21], -1, 0
	s_cmp_gt_i32 s17, 0
	s_cselect_b64 s[28:29], -1, 0
	;; [unrolled: 2-line block ×3, first 2 shown]
	s_abs_i32 s9, s10
	v_cvt_f32_u32_e32 v1, s9
	v_cmp_neq_f64_e64 s[0:1], s[24:25], 1.0
	v_cmp_neq_f64_e64 s[34:35], s[26:27], 0
	s_or_b64 s[34:35], s[0:1], s[34:35]
	v_rcp_iflag_f32_e32 v1, v1
	s_sub_i32 s0, 0, s9
	s_and_b32 s56, s38, 0xffff
	s_mov_b32 s55, s17
	v_mul_f32_e32 v1, 0x4f7ffffe, v1
	v_cvt_u32_f32_e32 v1, v1
	s_mov_b32 s53, s4
	s_mov_b32 s54, s5
	s_mov_b64 s[4:5], 0
	v_mul_lo_u32 v2, s0, v1
	s_mul_i32 s0, s18, s17
	s_mul_i32 s1, s0, s39
	s_mul_hi_u32 s38, s0, s37
	s_add_i32 s38, s38, s1
	s_mul_hi_i32 s1, s18, s17
	s_mul_i32 s17, s1, s37
	s_add_i32 s17, s38, s17
	s_mul_i32 s38, s0, s37
	s_mul_i32 s36, s38, s36
	s_mul_hi_u32 s37, s38, s8
	s_add_i32 s36, s37, s36
	s_mul_i32 s17, s17, s8
	s_add_i32 s37, s36, s17
	s_mul_i32 s36, s38, s8
	s_lshl_b64 s[36:37], s[36:37], 1
	v_mul_hi_u32 v2, v1, v2
	s_add_u32 s22, s22, s36
	v_add_u32_e32 v1, v1, v2
	v_mov_b32_e32 v3, 0
	s_addc_u32 s23, s23, s37
	s_lshl_b64 s[36:37], s[0:1], 1
	s_lshl_b64 s[38:39], s[18:19], 1
	s_branch .LBB4_3
.LBB4_2:                                ;   in Loop: Header=BB4_3 Depth=1
	v_add_u32_e32 v0, s56, v0
	v_cmp_le_i32_e32 vcc, s33, v0
	s_or_b64 s[4:5], vcc, s[4:5]
	s_andn2_b64 exec, exec, s[4:5]
	s_cbranch_execz .LBB4_19
.LBB4_3:                                ; =>This Loop Header: Depth=1
                                        ;     Child Loop BB4_6 Depth 2
                                        ;       Child Loop BB4_9 Depth 3
                                        ;         Child Loop BB4_12 Depth 4
	v_sub_u32_e32 v4, 0, v0
	v_max_i32_e32 v4, v0, v4
	v_mul_hi_u32 v5, v4, v1
	v_mul_lo_u32 v6, v5, s9
	v_sub_u32_e32 v4, v4, v6
	v_add_u32_e32 v6, 1, v5
	v_cmp_le_u32_e32 vcc, s9, v4
	v_ashrrev_i32_e32 v2, 31, v0
	v_xor_b32_e32 v2, s52, v2
	v_cndmask_b32_e32 v5, v5, v6, vcc
	v_subrev_u32_e32 v6, s9, v4
	v_cndmask_b32_e32 v4, v4, v6, vcc
	v_add_u32_e32 v6, 1, v5
	v_cmp_le_u32_e32 vcc, s9, v4
	s_nop 1
	v_cndmask_b32_e32 v4, v5, v6, vcc
	v_xor_b32_e32 v4, v4, v2
	v_sub_u32_e32 v10, v4, v2
	v_mul_lo_u32 v2, v10, s10
	s_andn2_b64 vcc, exec, s[20:21]
	v_sub_u32_e32 v6, v0, v2
	s_cbranch_vccnz .LBB4_14
; %bb.4:                                ;   in Loop: Header=BB4_3 Depth=1
	v_mul_lo_u32 v2, v10, s11
	v_subrev_u32_e32 v7, s15, v2
	v_mul_lo_u32 v2, v6, s12
	v_subrev_u32_e32 v11, s16, v2
	s_mov_b32 s17, 0
	v_mov_b64_e32 v[4:5], 0
	s_mov_b64 s[40:41], s[22:23]
	s_branch .LBB4_6
.LBB4_5:                                ;   in Loop: Header=BB4_6 Depth=2
	s_add_i32 s17, s17, 1
	s_add_u32 s40, s40, s36
	s_addc_u32 s41, s41, s37
	s_cmp_eq_u32 s17, s8
	s_cbranch_scc1 .LBB4_15
.LBB4_6:                                ;   Parent Loop BB4_3 Depth=1
                                        ; =>  This Loop Header: Depth=2
                                        ;       Child Loop BB4_9 Depth 3
                                        ;         Child Loop BB4_12 Depth 4
	s_andn2_b64 vcc, exec, s[28:29]
	s_cbranch_vccnz .LBB4_5
; %bb.7:                                ;   in Loop: Header=BB4_6 Depth=2
	s_mul_i32 s0, s17, s50
	s_mul_hi_u32 s1, s17, s53
	s_add_i32 s43, s1, s0
	s_mul_i32 s42, s17, s53
	s_mov_b32 s19, 0
	s_mov_b64 s[44:45], s[40:41]
	s_branch .LBB4_9
.LBB4_8:                                ;   in Loop: Header=BB4_9 Depth=3
	s_add_i32 s19, s19, 1
	s_add_u32 s44, s44, s38
	s_addc_u32 s45, s45, s39
	s_cmp_eq_u32 s19, s55
	s_cbranch_scc1 .LBB4_5
.LBB4_9:                                ;   Parent Loop BB4_3 Depth=1
                                        ;     Parent Loop BB4_6 Depth=2
                                        ; =>    This Loop Header: Depth=3
                                        ;         Child Loop BB4_12 Depth 4
	s_andn2_b64 vcc, exec, s[30:31]
	s_cbranch_vccnz .LBB4_8
; %bb.10:                               ;   in Loop: Header=BB4_9 Depth=3
	s_mul_i32 s0, s19, s13
	v_add_u32_e32 v2, s0, v7
	v_cmp_gt_i32_e32 vcc, 0, v2
	v_cmp_le_i32_e64 s[0:1], s53, v2
	v_lshl_add_u64 v[8:9], s[42:43], 0, v[2:3]
	s_or_b64 s[46:47], vcc, s[0:1]
	v_mul_lo_u32 v2, v9, s54
	v_mul_lo_u32 v12, v8, s51
	v_mad_u64_u32 v[8:9], s[0:1], v8, s54, 0
	v_add3_u32 v9, v9, v12, v2
	v_lshl_add_u64 v[8:9], v[8:9], 1, s[2:3]
	v_mov_b32_e32 v2, v11
	s_mov_b64 s[48:49], s[44:45]
	s_mov_b32 s57, s18
	s_branch .LBB4_12
.LBB4_11:                               ;   in Loop: Header=BB4_12 Depth=4
	s_or_b64 exec, exec, s[0:1]
	s_add_i32 s57, s57, -1
	s_add_u32 s48, s48, 2
	s_addc_u32 s49, s49, 0
	s_cmp_eq_u32 s57, 0
	v_add_u32_e32 v2, s14, v2
	s_cbranch_scc1 .LBB4_8
.LBB4_12:                               ;   Parent Loop BB4_3 Depth=1
                                        ;     Parent Loop BB4_6 Depth=2
                                        ;       Parent Loop BB4_9 Depth=3
                                        ; =>      This Inner Loop Header: Depth=4
	v_cmp_gt_i32_e32 vcc, 0, v2
	v_cmp_le_i32_e64 s[0:1], s54, v2
	s_or_b64 s[0:1], vcc, s[0:1]
	s_or_b64 s[0:1], s[46:47], s[0:1]
	s_xor_b64 s[58:59], s[0:1], -1
	s_and_saveexec_b64 s[0:1], s[58:59]
	s_cbranch_execz .LBB4_11
; %bb.13:                               ;   in Loop: Header=BB4_12 Depth=4
	v_lshl_add_u64 v[12:13], v[2:3], 1, v[8:9]
	global_load_ushort v12, v[12:13], off
	s_nop 0
	global_load_ushort v13, v3, s[48:49]
	s_waitcnt vmcnt(1)
	v_cvt_f32_f16_e32 v12, v12
	s_waitcnt vmcnt(0)
	v_cvt_f32_f16_e32 v14, v13
	v_cvt_f64_f32_e32 v[12:13], v12
	v_cvt_f64_f32_e32 v[14:15], v14
	v_fmac_f64_e32 v[4:5], v[12:13], v[14:15]
	s_branch .LBB4_11
.LBB4_14:                               ;   in Loop: Header=BB4_3 Depth=1
	v_mov_b64_e32 v[4:5], 0
.LBB4_15:                               ;   in Loop: Header=BB4_3 Depth=1
	v_ashrrev_i32_e32 v7, 31, v6
	v_mad_i64_i32 v[6:7], s[0:1], v10, s10, v[6:7]
	s_mov_b64 s[0:1], -1
	s_and_b64 vcc, exec, s[34:35]
	s_cbranch_vccz .LBB4_17
; %bb.16:                               ;   in Loop: Header=BB4_3 Depth=1
	v_lshl_add_u64 v[8:9], v[6:7], 1, s[6:7]
	global_load_ushort v2, v[8:9], off
	s_mov_b64 s[0:1], 0
	s_waitcnt vmcnt(0)
	v_cvt_f32_f16_e32 v2, v2
	v_cvt_f64_f32_e32 v[10:11], v2
	v_mul_f64 v[10:11], v[10:11], s[26:27]
	v_fmac_f64_e32 v[10:11], s[24:25], v[4:5]
	v_cvt_f32_f64_e32 v2, v[10:11]
	v_cvt_f16_f32_e32 v2, v2
	global_store_short v[8:9], v2, off
.LBB4_17:                               ;   in Loop: Header=BB4_3 Depth=1
	s_andn2_b64 vcc, exec, s[0:1]
	s_cbranch_vccnz .LBB4_2
; %bb.18:                               ;   in Loop: Header=BB4_3 Depth=1
	v_cvt_f32_f64_e32 v2, v[4:5]
	v_cvt_f16_f32_e32 v2, v2
	v_lshl_add_u64 v[4:5], v[6:7], 1, s[6:7]
	global_store_short v[4:5], v2, off
	s_branch .LBB4_2
.LBB4_19:
	s_endpgm
	.section	.rodata,"a",@progbits
	.p2align	6, 0x0
	.amdhsa_kernel naive_conv_ab_packed_fwd_nchw_half_double_half_0
		.amdhsa_group_segment_fixed_size 0
		.amdhsa_private_segment_fixed_size 0
		.amdhsa_kernarg_size 480
		.amdhsa_user_sgpr_count 2
		.amdhsa_user_sgpr_dispatch_ptr 0
		.amdhsa_user_sgpr_queue_ptr 0
		.amdhsa_user_sgpr_kernarg_segment_ptr 1
		.amdhsa_user_sgpr_dispatch_id 0
		.amdhsa_user_sgpr_kernarg_preload_length 0
		.amdhsa_user_sgpr_kernarg_preload_offset 0
		.amdhsa_user_sgpr_private_segment_size 0
		.amdhsa_uses_dynamic_stack 0
		.amdhsa_enable_private_segment 0
		.amdhsa_system_sgpr_workgroup_id_x 1
		.amdhsa_system_sgpr_workgroup_id_y 0
		.amdhsa_system_sgpr_workgroup_id_z 0
		.amdhsa_system_sgpr_workgroup_info 0
		.amdhsa_system_vgpr_workitem_id 0
		.amdhsa_next_free_vgpr 16
		.amdhsa_next_free_sgpr 60
		.amdhsa_accum_offset 16
		.amdhsa_reserve_vcc 1
		.amdhsa_float_round_mode_32 0
		.amdhsa_float_round_mode_16_64 0
		.amdhsa_float_denorm_mode_32 3
		.amdhsa_float_denorm_mode_16_64 3
		.amdhsa_dx10_clamp 1
		.amdhsa_ieee_mode 1
		.amdhsa_fp16_overflow 0
		.amdhsa_tg_split 0
		.amdhsa_exception_fp_ieee_invalid_op 0
		.amdhsa_exception_fp_denorm_src 0
		.amdhsa_exception_fp_ieee_div_zero 0
		.amdhsa_exception_fp_ieee_overflow 0
		.amdhsa_exception_fp_ieee_underflow 0
		.amdhsa_exception_fp_ieee_inexact 0
		.amdhsa_exception_int_div_zero 0
	.end_amdhsa_kernel
	.text
.Lfunc_end4:
	.size	naive_conv_ab_packed_fwd_nchw_half_double_half_0, .Lfunc_end4-naive_conv_ab_packed_fwd_nchw_half_double_half_0
                                        ; -- End function
	.section	.AMDGPU.csdata,"",@progbits
; Kernel info:
; codeLenInByte = 1340
; NumSgprs: 66
; NumVgprs: 16
; NumAgprs: 0
; TotalNumVgprs: 16
; ScratchSize: 0
; MemoryBound: 0
; FloatMode: 240
; IeeeMode: 1
; LDSByteSize: 0 bytes/workgroup (compile time only)
; SGPRBlocks: 8
; VGPRBlocks: 1
; NumSGPRsForWavesPerEU: 66
; NumVGPRsForWavesPerEU: 16
; AccumOffset: 16
; Occupancy: 8
; WaveLimiterHint : 0
; COMPUTE_PGM_RSRC2:SCRATCH_EN: 0
; COMPUTE_PGM_RSRC2:USER_SGPR: 2
; COMPUTE_PGM_RSRC2:TRAP_HANDLER: 0
; COMPUTE_PGM_RSRC2:TGID_X_EN: 1
; COMPUTE_PGM_RSRC2:TGID_Y_EN: 0
; COMPUTE_PGM_RSRC2:TGID_Z_EN: 0
; COMPUTE_PGM_RSRC2:TIDIG_COMP_CNT: 0
; COMPUTE_PGM_RSRC3_GFX90A:ACCUM_OFFSET: 3
; COMPUTE_PGM_RSRC3_GFX90A:TG_SPLIT: 0
	.text
	.protected	naive_conv_ab_nonpacked_fwd_nchw_half_double_half_0 ; -- Begin function naive_conv_ab_nonpacked_fwd_nchw_half_double_half_0
	.globl	naive_conv_ab_nonpacked_fwd_nchw_half_double_half_0
	.p2align	8
	.type	naive_conv_ab_nonpacked_fwd_nchw_half_double_half_0,@function
naive_conv_ab_nonpacked_fwd_nchw_half_double_half_0: ; @naive_conv_ab_nonpacked_fwd_nchw_half_double_half_0
; %bb.0:
	s_load_dwordx8 s[20:27], s[0:1], 0xa0
	s_abs_i32 s3, s2
	s_waitcnt lgkmcnt(0)
	s_abs_i32 s5, s23
	v_cvt_f32_u32_e32 v1, s5
	s_sub_i32 s6, 0, s5
	s_mul_i32 s4, s23, s22
	s_mul_i32 s25, s26, s25
	v_rcp_iflag_f32_e32 v1, v1
	v_cmp_gt_i32_e32 vcc, s25, v0
	v_mul_f32_e32 v1, 0x4f7ffffe, v1
	v_cvt_u32_f32_e32 v1, v1
	s_nop 0
	v_readfirstlane_b32 s7, v1
	s_mul_i32 s6, s6, s7
	s_mul_hi_u32 s6, s7, s6
	s_add_i32 s7, s7, s6
	s_mul_hi_u32 s6, s3, s7
	s_mul_i32 s7, s6, s5
	s_sub_i32 s7, s3, s7
	s_add_i32 s8, s6, 1
	s_sub_i32 s9, s7, s5
	s_cmp_ge_u32 s7, s5
	s_cselect_b32 s6, s8, s6
	s_cselect_b32 s7, s9, s7
	s_add_i32 s8, s6, 1
	s_cmp_ge_u32 s7, s5
	s_cselect_b32 s5, s8, s6
	s_abs_i32 s33, s22
	s_abs_i32 s22, s4
	v_cvt_f32_u32_e32 v1, s33
	v_cvt_f32_u32_e32 v2, s22
	v_rcp_iflag_f32_e32 v1, v1
	v_rcp_iflag_f32_e32 v2, v2
	v_mul_f32_e32 v1, 0x4f7ffffe, v1
	v_mul_f32_e32 v2, 0x4f7ffffe, v2
	v_cvt_u32_f32_e32 v1, v1
	v_cvt_u32_f32_e32 v2, v2
	v_readfirstlane_b32 s7, v1
	v_readfirstlane_b32 s6, v2
	s_and_saveexec_b64 s[8:9], vcc
	s_cbranch_execz .LBB5_19
; %bb.1:
	s_load_dwordx8 s[36:43], s[0:1], 0x0
	s_load_dwordx2 s[34:35], s[0:1], 0x20
	s_load_dwordx8 s[44:51], s[0:1], 0xc0
	s_waitcnt lgkmcnt(0)
	s_ashr_i32 s51, s2, 31
	s_ashr_i32 s8, s23, 31
	s_xor_b32 s8, s51, s8
	s_xor_b32 s5, s5, s8
	s_sub_i32 s54, s5, s8
	s_sub_i32 s5, 0, s33
	s_mul_i32 s5, s5, s7
	s_mul_hi_u32 s5, s7, s5
	s_abs_i32 s56, s54
	s_add_i32 s7, s7, s5
	s_mul_hi_u32 s57, s56, s7
	s_ashr_i32 s58, s4, 31
	s_sub_i32 s4, 0, s22
	s_ashr_i32 s55, s54, 31
	s_mul_i32 s4, s4, s6
	s_mul_i32 s54, s54, s23
	s_mul_i32 s57, s57, s33
	s_mul_hi_u32 s4, s6, s4
	s_sub_i32 s60, s2, s54
	s_sub_i32 s2, s56, s57
	s_add_i32 s6, s6, s4
	s_sub_i32 s23, s2, s33
	s_cmp_ge_u32 s2, s33
	s_cselect_b32 s2, s23, s2
	s_sub_i32 s23, s2, s33
	s_mul_hi_u32 s59, s3, s6
	s_cmp_ge_u32 s2, s33
	s_cselect_b32 s2, s23, s2
	s_mul_i32 s33, s59, s22
	s_xor_b32 s2, s2, s55
	s_sub_i32 s3, s3, s33
	s_sub_i32 s23, s2, s55
	s_xor_b32 s2, s51, s58
	s_add_i32 s33, s59, 1
	s_sub_i32 s51, s3, s22
	s_cmp_ge_u32 s3, s22
	s_cselect_b32 s33, s33, s59
	s_cselect_b32 s3, s51, s3
	s_add_i32 s51, s33, 1
	s_load_dwordx16 s[4:19], s[0:1], 0x28
	s_load_dwordx2 s[52:53], s[0:1], 0x98
	s_load_dwordx4 s[28:31], s[0:1], 0x88
	s_cmp_ge_u32 s3, s22
	s_cselect_b32 s3, s51, s33
	s_xor_b32 s3, s3, s2
	s_ashr_i32 s22, s23, 31
	s_sub_i32 s61, s3, s2
	s_waitcnt lgkmcnt(0)
	s_mul_i32 s2, s12, s22
	s_mul_hi_u32 s3, s12, s23
	s_add_i32 s2, s3, s2
	s_mul_i32 s3, s13, s23
	s_ashr_i32 s65, s61, 31
	s_add_i32 s3, s2, s3
	s_mul_i32 s2, s12, s23
	s_mul_i32 s12, s10, s65
	s_mul_hi_u32 s13, s10, s61
	s_add_i32 s12, s13, s12
	s_mul_i32 s11, s11, s61
	s_add_i32 s11, s12, s11
	s_lshl_b64 s[2:3], s[2:3], 1
	s_mul_i32 s10, s10, s61
	s_add_u32 s12, s36, s2
	s_addc_u32 s13, s37, s3
	s_lshl_b64 s[2:3], s[10:11], 1
	s_add_u32 s33, s12, s2
	s_addc_u32 s51, s13, s3
	s_ashr_i32 s36, s60, 31
	s_mul_i32 s2, s52, s22
	s_mul_hi_u32 s3, s52, s23
	s_add_i32 s2, s3, s2
	s_mul_i32 s3, s53, s23
	s_mul_i32 s10, s30, s65
	s_mul_hi_u32 s11, s30, s61
	s_mul_i32 s12, s28, s36
	s_mul_hi_u32 s13, s28, s60
	s_add_i32 s3, s2, s3
	s_mul_i32 s2, s52, s23
	s_add_i32 s10, s11, s10
	s_mul_i32 s11, s31, s61
	;; [unrolled: 2-line block ×3, first 2 shown]
	s_add_i32 s11, s10, s11
	s_add_i32 s13, s12, s13
	s_lshl_b64 s[2:3], s[2:3], 1
	s_mul_i32 s10, s30, s61
	s_add_u32 s22, s34, s2
	s_addc_u32 s23, s35, s3
	s_lshl_b64 s[2:3], s[10:11], 1
	s_mul_i32 s12, s28, s60
	s_add_u32 s10, s22, s2
	s_addc_u32 s11, s23, s3
	s_lshl_b64 s[2:3], s[12:13], 1
	s_add_u32 s2, s10, s2
	s_addc_u32 s3, s11, s3
	s_cmp_gt_i32 s24, 0
	s_cselect_b64 s[10:11], -1, 0
	s_cmp_gt_i32 s49, 0
	s_cselect_b64 s[12:13], -1, 0
	s_cmp_gt_i32 s50, 0
	s_cselect_b64 s[22:23], -1, 0
	s_abs_i32 s62, s26
	v_cvt_f32_u32_e32 v1, s62
	s_load_dwordx8 s[52:59], s[0:1], 0x68
	s_load_dword s34, s[0:1], 0xec
	v_cmp_neq_f64_e64 s[30:31], s[40:41], 1.0
	v_rcp_iflag_f32_e32 v1, v1
	v_cmp_neq_f64_e64 s[0:1], s[42:43], 0
	s_or_b64 s[30:31], s[30:31], s[0:1]
	s_sub_i32 s0, 0, s62
	v_mul_f32_e32 v1, 0x4f7ffffe, v1
	v_cvt_u32_f32_e32 v1, v1
	s_waitcnt lgkmcnt(0)
	s_and_b32 s63, s34, 0xffff
	s_mul_hi_u32 s1, s52, s60
	s_mul_i32 s34, s54, s65
	v_mul_lo_u32 v2, s0, v1
	s_mul_i32 s0, s52, s36
	s_mul_hi_u32 s35, s54, s61
	s_add_i32 s0, s1, s0
	s_mul_i32 s1, s53, s60
	s_add_i32 s34, s35, s34
	s_mul_i32 s35, s55, s61
	;; [unrolled: 2-line block ×4, first 2 shown]
	s_ashr_i32 s64, s26, 31
	s_lshl_b64 s[0:1], s[0:1], 1
	s_lshl_b64 s[34:35], s[34:35], 1
	s_add_u32 s0, s0, s34
	s_addc_u32 s1, s1, s35
	v_mul_hi_u32 v2, v1, v2
	s_add_u32 s34, s38, s0
	s_mov_b64 s[28:29], 0
	v_add_u32_e32 v1, v1, v2
	v_mov_b32_e32 v6, 0
	s_addc_u32 s35, s39, s1
	s_lshl_b64 s[18:19], s[18:19], 1
	s_lshl_b64 s[16:17], s[16:17], 1
	s_lshl_b64 s[14:15], s[14:15], 1
	s_branch .LBB5_3
.LBB5_2:                                ;   in Loop: Header=BB5_3 Depth=1
	v_add_u32_e32 v0, s63, v0
	v_cmp_le_i32_e32 vcc, s25, v0
	s_or_b64 s[28:29], vcc, s[28:29]
	s_andn2_b64 exec, exec, s[28:29]
	s_cbranch_execz .LBB5_19
.LBB5_3:                                ; =>This Loop Header: Depth=1
                                        ;     Child Loop BB5_6 Depth 2
                                        ;       Child Loop BB5_9 Depth 3
                                        ;         Child Loop BB5_12 Depth 4
	v_sub_u32_e32 v3, 0, v0
	v_max_i32_e32 v3, v0, v3
	v_mul_hi_u32 v4, v3, v1
	v_mul_lo_u32 v5, v4, s62
	v_sub_u32_e32 v3, v3, v5
	v_add_u32_e32 v5, 1, v4
	v_cmp_le_u32_e32 vcc, s62, v3
	v_ashrrev_i32_e32 v2, 31, v0
	v_xor_b32_e32 v2, s64, v2
	v_cndmask_b32_e32 v4, v4, v5, vcc
	v_subrev_u32_e32 v5, s62, v3
	v_cndmask_b32_e32 v3, v3, v5, vcc
	v_add_u32_e32 v5, 1, v4
	v_cmp_le_u32_e32 vcc, s62, v3
	s_nop 1
	v_cndmask_b32_e32 v3, v4, v5, vcc
	v_xor_b32_e32 v3, v3, v2
	v_sub_u32_e32 v8, v3, v2
	v_mul_lo_u32 v2, v8, s26
	s_andn2_b64 vcc, exec, s[10:11]
	v_sub_u32_e32 v7, v0, v2
	s_cbranch_vccnz .LBB5_14
; %bb.4:                                ;   in Loop: Header=BB5_3 Depth=1
	v_mul_lo_u32 v2, v8, s27
	v_subrev_u32_e32 v9, s47, v2
	v_mul_lo_u32 v2, v7, s44
	v_subrev_u32_e32 v10, s48, v2
	s_mov_b32 s65, 0
	v_mov_b64_e32 v[2:3], 0
	s_mov_b64 s[36:37], s[34:35]
	s_branch .LBB5_6
.LBB5_5:                                ;   in Loop: Header=BB5_6 Depth=2
	s_add_i32 s65, s65, 1
	s_add_u32 s36, s36, s18
	s_addc_u32 s37, s37, s19
	s_cmp_eq_u32 s65, s24
	s_cbranch_scc1 .LBB5_15
.LBB5_6:                                ;   Parent Loop BB5_3 Depth=1
                                        ; =>  This Loop Header: Depth=2
                                        ;       Child Loop BB5_9 Depth 3
                                        ;         Child Loop BB5_12 Depth 4
	s_andn2_b64 vcc, exec, s[12:13]
	s_cbranch_vccnz .LBB5_5
; %bb.7:                                ;   in Loop: Header=BB5_6 Depth=2
	s_mul_i32 s0, s9, s65
	s_mul_hi_u32 s1, s8, s65
	s_add_i32 s1, s1, s0
	s_mul_i32 s0, s8, s65
	s_lshl_b64 s[0:1], s[0:1], 1
	s_add_u32 s38, s33, s0
	s_addc_u32 s39, s51, s1
	s_mov_b32 s66, 0
	s_mov_b64 s[52:53], s[36:37]
	s_branch .LBB5_9
.LBB5_8:                                ;   in Loop: Header=BB5_9 Depth=3
	s_add_i32 s66, s66, 1
	s_add_u32 s52, s52, s16
	s_addc_u32 s53, s53, s17
	s_cmp_eq_u32 s66, s49
	s_cbranch_scc1 .LBB5_5
.LBB5_9:                                ;   Parent Loop BB5_3 Depth=1
                                        ;     Parent Loop BB5_6 Depth=2
                                        ; =>    This Loop Header: Depth=3
                                        ;         Child Loop BB5_12 Depth 4
	s_andn2_b64 vcc, exec, s[22:23]
	s_cbranch_vccnz .LBB5_8
; %bb.10:                               ;   in Loop: Header=BB5_9 Depth=3
	s_mul_i32 s0, s66, s45
	v_add_u32_e32 v11, s0, v9
	v_cmp_gt_i32_e32 vcc, 0, v11
	v_cmp_le_i32_e64 s[0:1], s20, v11
	s_or_b64 s[54:55], vcc, s[0:1]
	v_mad_u64_u32 v[4:5], s[0:1], s6, v11, 0
	v_mov_b32_e32 v12, v5
	v_mad_u64_u32 v[12:13], s[0:1], s7, v11, v[12:13]
	v_mov_b32_e32 v5, v12
	v_lshl_add_u64 v[4:5], v[4:5], 1, s[38:39]
	v_mov_b32_e32 v11, v10
	s_mov_b64 s[60:61], s[52:53]
	s_mov_b32 s67, s50
	s_branch .LBB5_12
.LBB5_11:                               ;   in Loop: Header=BB5_12 Depth=4
	s_or_b64 exec, exec, s[0:1]
	s_add_i32 s67, s67, -1
	s_add_u32 s60, s60, s14
	s_addc_u32 s61, s61, s15
	s_cmp_eq_u32 s67, 0
	v_add_u32_e32 v11, s46, v11
	s_cbranch_scc1 .LBB5_8
.LBB5_12:                               ;   Parent Loop BB5_3 Depth=1
                                        ;     Parent Loop BB5_6 Depth=2
                                        ;       Parent Loop BB5_9 Depth=3
                                        ; =>      This Inner Loop Header: Depth=4
	v_cmp_gt_i32_e32 vcc, 0, v11
	v_cmp_le_i32_e64 s[0:1], s21, v11
	s_or_b64 s[0:1], vcc, s[0:1]
	s_or_b64 s[0:1], s[54:55], s[0:1]
	s_xor_b64 s[68:69], s[0:1], -1
	s_and_saveexec_b64 s[0:1], s[68:69]
	s_cbranch_execz .LBB5_11
; %bb.13:                               ;   in Loop: Header=BB5_12 Depth=4
	v_mad_u64_u32 v[12:13], s[68:69], s4, v11, 0
	v_mov_b32_e32 v14, v13
	v_mad_u64_u32 v[14:15], s[68:69], s5, v11, v[14:15]
	v_mov_b32_e32 v13, v14
	v_lshl_add_u64 v[12:13], v[12:13], 1, v[4:5]
	global_load_ushort v12, v[12:13], off
	s_nop 0
	global_load_ushort v13, v6, s[60:61]
	s_waitcnt vmcnt(1)
	v_cvt_f32_f16_e32 v12, v12
	s_waitcnt vmcnt(0)
	v_cvt_f32_f16_e32 v14, v13
	v_cvt_f64_f32_e32 v[12:13], v12
	v_cvt_f64_f32_e32 v[14:15], v14
	v_fmac_f64_e32 v[2:3], v[12:13], v[14:15]
	s_branch .LBB5_11
.LBB5_14:                               ;   in Loop: Header=BB5_3 Depth=1
	v_mov_b64_e32 v[2:3], 0
.LBB5_15:                               ;   in Loop: Header=BB5_3 Depth=1
	v_ashrrev_i32_e32 v4, 31, v8
	v_mul_lo_u32 v9, s59, v8
	v_mul_lo_u32 v10, s58, v4
	v_mad_u64_u32 v[4:5], s[0:1], s58, v8, 0
	v_add3_u32 v5, v5, v10, v9
	v_ashrrev_i32_e32 v8, 31, v7
	v_mad_u64_u32 v[4:5], s[0:1], s56, v7, v[4:5]
	v_mul_lo_u32 v7, s57, v7
	v_mul_lo_u32 v8, s56, v8
	v_add3_u32 v5, v7, v5, v8
	s_mov_b64 s[0:1], -1
	s_and_b64 vcc, exec, s[30:31]
	s_cbranch_vccz .LBB5_17
; %bb.16:                               ;   in Loop: Header=BB5_3 Depth=1
	v_lshl_add_u64 v[8:9], v[4:5], 1, s[2:3]
	global_load_ushort v7, v[8:9], off
	s_mov_b64 s[0:1], 0
	s_waitcnt vmcnt(0)
	v_cvt_f32_f16_e32 v7, v7
	v_cvt_f64_f32_e32 v[10:11], v7
	v_mul_f64 v[10:11], v[10:11], s[42:43]
	v_fmac_f64_e32 v[10:11], s[40:41], v[2:3]
	v_cvt_f32_f64_e32 v7, v[10:11]
	v_cvt_f16_f32_e32 v7, v7
	global_store_short v[8:9], v7, off
.LBB5_17:                               ;   in Loop: Header=BB5_3 Depth=1
	s_andn2_b64 vcc, exec, s[0:1]
	s_cbranch_vccnz .LBB5_2
; %bb.18:                               ;   in Loop: Header=BB5_3 Depth=1
	v_cvt_f32_f64_e32 v2, v[2:3]
	v_cvt_f16_f32_e32 v7, v2
	v_lshl_add_u64 v[2:3], v[4:5], 1, s[2:3]
	global_store_short v[2:3], v7, off
	s_branch .LBB5_2
.LBB5_19:
	s_endpgm
	.section	.rodata,"a",@progbits
	.p2align	6, 0x0
	.amdhsa_kernel naive_conv_ab_nonpacked_fwd_nchw_half_double_half_0
		.amdhsa_group_segment_fixed_size 0
		.amdhsa_private_segment_fixed_size 0
		.amdhsa_kernarg_size 480
		.amdhsa_user_sgpr_count 2
		.amdhsa_user_sgpr_dispatch_ptr 0
		.amdhsa_user_sgpr_queue_ptr 0
		.amdhsa_user_sgpr_kernarg_segment_ptr 1
		.amdhsa_user_sgpr_dispatch_id 0
		.amdhsa_user_sgpr_kernarg_preload_length 0
		.amdhsa_user_sgpr_kernarg_preload_offset 0
		.amdhsa_user_sgpr_private_segment_size 0
		.amdhsa_uses_dynamic_stack 0
		.amdhsa_enable_private_segment 0
		.amdhsa_system_sgpr_workgroup_id_x 1
		.amdhsa_system_sgpr_workgroup_id_y 0
		.amdhsa_system_sgpr_workgroup_id_z 0
		.amdhsa_system_sgpr_workgroup_info 0
		.amdhsa_system_vgpr_workitem_id 0
		.amdhsa_next_free_vgpr 16
		.amdhsa_next_free_sgpr 70
		.amdhsa_accum_offset 16
		.amdhsa_reserve_vcc 1
		.amdhsa_float_round_mode_32 0
		.amdhsa_float_round_mode_16_64 0
		.amdhsa_float_denorm_mode_32 3
		.amdhsa_float_denorm_mode_16_64 3
		.amdhsa_dx10_clamp 1
		.amdhsa_ieee_mode 1
		.amdhsa_fp16_overflow 0
		.amdhsa_tg_split 0
		.amdhsa_exception_fp_ieee_invalid_op 0
		.amdhsa_exception_fp_denorm_src 0
		.amdhsa_exception_fp_ieee_div_zero 0
		.amdhsa_exception_fp_ieee_overflow 0
		.amdhsa_exception_fp_ieee_underflow 0
		.amdhsa_exception_fp_ieee_inexact 0
		.amdhsa_exception_int_div_zero 0
	.end_amdhsa_kernel
	.text
.Lfunc_end5:
	.size	naive_conv_ab_nonpacked_fwd_nchw_half_double_half_0, .Lfunc_end5-naive_conv_ab_nonpacked_fwd_nchw_half_double_half_0
                                        ; -- End function
	.section	.AMDGPU.csdata,"",@progbits
; Kernel info:
; codeLenInByte = 1484
; NumSgprs: 76
; NumVgprs: 16
; NumAgprs: 0
; TotalNumVgprs: 16
; ScratchSize: 0
; MemoryBound: 0
; FloatMode: 240
; IeeeMode: 1
; LDSByteSize: 0 bytes/workgroup (compile time only)
; SGPRBlocks: 9
; VGPRBlocks: 1
; NumSGPRsForWavesPerEU: 76
; NumVGPRsForWavesPerEU: 16
; AccumOffset: 16
; Occupancy: 8
; WaveLimiterHint : 0
; COMPUTE_PGM_RSRC2:SCRATCH_EN: 0
; COMPUTE_PGM_RSRC2:USER_SGPR: 2
; COMPUTE_PGM_RSRC2:TRAP_HANDLER: 0
; COMPUTE_PGM_RSRC2:TGID_X_EN: 1
; COMPUTE_PGM_RSRC2:TGID_Y_EN: 0
; COMPUTE_PGM_RSRC2:TGID_Z_EN: 0
; COMPUTE_PGM_RSRC2:TIDIG_COMP_CNT: 0
; COMPUTE_PGM_RSRC3_GFX90A:ACCUM_OFFSET: 3
; COMPUTE_PGM_RSRC3_GFX90A:TG_SPLIT: 0
	.text
	.protected	naive_conv_ab_packed_fwd_nchw_ushort_double_ushort_0 ; -- Begin function naive_conv_ab_packed_fwd_nchw_ushort_double_ushort_0
	.globl	naive_conv_ab_packed_fwd_nchw_ushort_double_ushort_0
	.p2align	8
	.type	naive_conv_ab_packed_fwd_nchw_ushort_double_ushort_0,@function
naive_conv_ab_packed_fwd_nchw_ushort_double_ushort_0: ; @naive_conv_ab_packed_fwd_nchw_ushort_double_ushort_0
; %bb.0:
	s_load_dwordx16 s[4:19], s[0:1], 0xa0
	s_abs_i32 s3, s2
	s_waitcnt lgkmcnt(0)
	s_abs_i32 s20, s7
	v_cvt_f32_u32_e32 v1, s20
	s_sub_i32 s21, 0, s20
	s_mul_i32 s29, s7, s6
	s_mul_i32 s33, s10, s9
	v_rcp_iflag_f32_e32 v1, v1
	v_cmp_gt_i32_e32 vcc, s33, v0
	v_mul_f32_e32 v1, 0x4f7ffffe, v1
	v_cvt_u32_f32_e32 v1, v1
	s_nop 0
	v_readfirstlane_b32 s22, v1
	s_mul_i32 s21, s21, s22
	s_mul_hi_u32 s21, s22, s21
	s_add_i32 s22, s22, s21
	s_mul_hi_u32 s21, s3, s22
	s_mul_i32 s22, s21, s20
	s_sub_i32 s22, s3, s22
	s_add_i32 s23, s21, 1
	s_sub_i32 s24, s22, s20
	s_cmp_ge_u32 s22, s20
	s_cselect_b32 s21, s23, s21
	s_cselect_b32 s22, s24, s22
	s_add_i32 s23, s21, 1
	s_cmp_ge_u32 s22, s20
	s_cselect_b32 s30, s23, s21
	s_abs_i32 s28, s6
	s_abs_i32 s6, s29
	v_cvt_f32_u32_e32 v1, s28
	v_cvt_f32_u32_e32 v2, s6
	v_rcp_iflag_f32_e32 v1, v1
	v_rcp_iflag_f32_e32 v2, v2
	v_mul_f32_e32 v1, 0x4f7ffffe, v1
	v_mul_f32_e32 v2, 0x4f7ffffe, v2
	v_cvt_u32_f32_e32 v1, v1
	v_cvt_u32_f32_e32 v2, v2
	v_readfirstlane_b32 s34, v1
	v_readfirstlane_b32 s31, v2
	s_and_saveexec_b64 s[20:21], vcc
	s_cbranch_execz .LBB6_19
; %bb.1:
	s_ashr_i32 s35, s2, 31
	s_ashr_i32 s36, s7, 31
	s_xor_b32 s36, s35, s36
	s_sub_i32 s38, 0, s28
	s_xor_b32 s30, s30, s36
	s_mul_i32 s38, s38, s34
	s_sub_i32 s30, s30, s36
	s_mul_hi_u32 s38, s34, s38
	s_abs_i32 s37, s30
	s_add_i32 s34, s34, s38
	s_mul_hi_u32 s34, s37, s34
	s_sub_i32 s38, 0, s6
	s_ashr_i32 s36, s30, 31
	s_mul_i32 s38, s38, s31
	s_mul_i32 s30, s30, s7
	;; [unrolled: 1-line block ×3, first 2 shown]
	s_mul_hi_u32 s38, s31, s38
	s_sub_i32 s30, s2, s30
	s_sub_i32 s2, s37, s34
	s_ashr_i32 s29, s29, 31
	s_add_i32 s31, s31, s38
	s_sub_i32 s34, s2, s28
	s_cmp_ge_u32 s2, s28
	s_cselect_b32 s2, s34, s2
	s_sub_i32 s34, s2, s28
	s_cmp_ge_u32 s2, s28
	s_cselect_b32 s2, s34, s2
	s_mul_hi_u32 s31, s3, s31
	s_xor_b32 s2, s2, s36
	s_sub_i32 s28, s2, s36
	s_xor_b32 s2, s35, s29
	s_mul_i32 s29, s31, s6
	s_sub_i32 s3, s3, s29
	s_add_i32 s29, s31, 1
	s_sub_i32 s34, s3, s6
	s_cmp_ge_u32 s3, s6
	s_cselect_b32 s29, s29, s31
	s_cselect_b32 s3, s34, s3
	s_add_i32 s31, s29, 1
	s_cmp_ge_u32 s3, s6
	s_cselect_b32 s3, s31, s29
	s_xor_b32 s3, s3, s2
	s_mul_i32 s38, s19, s7
	s_mul_i32 s19, s19, s8
	s_sub_i32 s6, s3, s2
	s_mul_i32 s3, s28, s19
	s_ashr_i32 s50, s4, 31
	s_ashr_i32 s51, s5, 31
	;; [unrolled: 1-line block ×3, first 2 shown]
	s_mul_i32 s29, s6, s8
	s_mul_hi_i32 s2, s28, s19
	s_mul_hi_i32 s19, s6, s8
	s_add_u32 s29, s29, s3
	s_load_dwordx8 s[20:27], s[0:1], 0x0
	s_addc_u32 s2, s19, s2
	s_mul_i32 s19, s5, s4
	s_mul_hi_i32 s3, s5, s4
	s_mul_i32 s2, s19, s2
	s_mul_hi_u32 s31, s19, s29
	s_add_i32 s2, s31, s2
	s_mul_i32 s3, s3, s29
	s_add_i32 s3, s2, s3
	s_mul_i32 s2, s19, s29
	s_lshl_b64 s[2:3], s[2:3], 1
	s_waitcnt lgkmcnt(0)
	s_add_u32 s2, s20, s2
	s_addc_u32 s3, s21, s3
	s_mul_hi_i32 s20, s6, s7
	s_mul_i32 s6, s6, s7
	s_ashr_i32 s19, s18, 31
	s_ashr_i32 s7, s30, 31
	s_add_u32 s37, s6, s30
	s_addc_u32 s39, s20, s7
	s_mul_hi_i32 s6, s28, s38
	s_mul_i32 s28, s28, s38
	s_ashr_i32 s52, s10, 31
	s_add_u32 s20, s37, s28
	s_addc_u32 s6, s39, s6
	s_mul_hi_i32 s7, s10, s9
	s_mul_i32 s6, s33, s6
	s_mul_hi_u32 s9, s33, s20
	s_add_i32 s9, s9, s6
	s_mul_i32 s21, s7, s20
	s_load_dwordx2 s[6:7], s[0:1], 0x20
	s_load_dword s38, s[0:1], 0xec
	s_add_i32 s21, s9, s21
	s_mul_i32 s20, s33, s20
	s_lshl_b64 s[20:21], s[20:21], 1
	s_waitcnt lgkmcnt(0)
	s_add_u32 s6, s6, s20
	s_addc_u32 s7, s7, s21
	s_cmp_gt_i32 s8, 0
	s_cselect_b64 s[20:21], -1, 0
	s_cmp_gt_i32 s17, 0
	s_cselect_b64 s[28:29], -1, 0
	;; [unrolled: 2-line block ×3, first 2 shown]
	s_abs_i32 s9, s10
	v_cvt_f32_u32_e32 v1, s9
	v_cmp_neq_f64_e64 s[0:1], s[24:25], 1.0
	v_cmp_neq_f64_e64 s[34:35], s[26:27], 0
	s_or_b64 s[34:35], s[0:1], s[34:35]
	v_rcp_iflag_f32_e32 v1, v1
	s_sub_i32 s0, 0, s9
	s_and_b32 s56, s38, 0xffff
	s_mov_b32 s55, s17
	v_mul_f32_e32 v1, 0x4f7ffffe, v1
	v_cvt_u32_f32_e32 v1, v1
	s_mov_b32 s53, s4
	s_mov_b32 s54, s5
	s_mov_b64 s[4:5], 0
	v_mul_lo_u32 v2, s0, v1
	s_mul_i32 s0, s18, s17
	s_mul_i32 s1, s0, s39
	s_mul_hi_u32 s38, s0, s37
	s_add_i32 s38, s38, s1
	s_mul_hi_i32 s1, s18, s17
	s_mul_i32 s17, s1, s37
	s_add_i32 s17, s38, s17
	s_mul_i32 s38, s0, s37
	s_mul_i32 s36, s38, s36
	s_mul_hi_u32 s37, s38, s8
	s_add_i32 s36, s37, s36
	s_mul_i32 s17, s17, s8
	s_add_i32 s37, s36, s17
	s_mul_i32 s36, s38, s8
	s_lshl_b64 s[36:37], s[36:37], 1
	v_mul_hi_u32 v2, v1, v2
	s_add_u32 s22, s22, s36
	v_add_u32_e32 v1, v1, v2
	v_mov_b32_e32 v3, 0
	s_addc_u32 s23, s23, s37
	s_lshl_b64 s[36:37], s[0:1], 1
	s_lshl_b64 s[38:39], s[18:19], 1
	s_mov_b32 s17, 0x7f800000
	s_branch .LBB6_3
.LBB6_2:                                ;   in Loop: Header=BB6_3 Depth=1
	v_add_u32_e32 v0, s56, v0
	v_cmp_le_i32_e32 vcc, s33, v0
	s_or_b64 s[4:5], vcc, s[4:5]
	s_andn2_b64 exec, exec, s[4:5]
	s_cbranch_execz .LBB6_19
.LBB6_3:                                ; =>This Loop Header: Depth=1
                                        ;     Child Loop BB6_6 Depth 2
                                        ;       Child Loop BB6_9 Depth 3
                                        ;         Child Loop BB6_12 Depth 4
	v_sub_u32_e32 v4, 0, v0
	v_max_i32_e32 v4, v0, v4
	v_mul_hi_u32 v5, v4, v1
	v_mul_lo_u32 v6, v5, s9
	v_sub_u32_e32 v4, v4, v6
	v_add_u32_e32 v6, 1, v5
	v_cmp_le_u32_e32 vcc, s9, v4
	v_ashrrev_i32_e32 v2, 31, v0
	v_xor_b32_e32 v2, s52, v2
	v_cndmask_b32_e32 v5, v5, v6, vcc
	v_subrev_u32_e32 v6, s9, v4
	v_cndmask_b32_e32 v4, v4, v6, vcc
	v_add_u32_e32 v6, 1, v5
	v_cmp_le_u32_e32 vcc, s9, v4
	s_nop 1
	v_cndmask_b32_e32 v4, v5, v6, vcc
	v_xor_b32_e32 v4, v4, v2
	v_sub_u32_e32 v10, v4, v2
	v_mul_lo_u32 v2, v10, s10
	s_andn2_b64 vcc, exec, s[20:21]
	v_sub_u32_e32 v6, v0, v2
	s_cbranch_vccnz .LBB6_14
; %bb.4:                                ;   in Loop: Header=BB6_3 Depth=1
	v_mul_lo_u32 v2, v10, s11
	v_subrev_u32_e32 v7, s15, v2
	v_mul_lo_u32 v2, v6, s12
	v_subrev_u32_e32 v11, s16, v2
	s_mov_b32 s19, 0
	v_mov_b64_e32 v[4:5], 0
	s_mov_b64 s[40:41], s[22:23]
	s_branch .LBB6_6
.LBB6_5:                                ;   in Loop: Header=BB6_6 Depth=2
	s_add_i32 s19, s19, 1
	s_add_u32 s40, s40, s36
	s_addc_u32 s41, s41, s37
	s_cmp_eq_u32 s19, s8
	s_cbranch_scc1 .LBB6_15
.LBB6_6:                                ;   Parent Loop BB6_3 Depth=1
                                        ; =>  This Loop Header: Depth=2
                                        ;       Child Loop BB6_9 Depth 3
                                        ;         Child Loop BB6_12 Depth 4
	s_andn2_b64 vcc, exec, s[28:29]
	s_cbranch_vccnz .LBB6_5
; %bb.7:                                ;   in Loop: Header=BB6_6 Depth=2
	s_mul_i32 s0, s19, s50
	s_mul_hi_u32 s1, s19, s53
	s_add_i32 s43, s1, s0
	s_mul_i32 s42, s19, s53
	s_mov_b32 s57, 0
	s_mov_b64 s[44:45], s[40:41]
	s_branch .LBB6_9
.LBB6_8:                                ;   in Loop: Header=BB6_9 Depth=3
	s_add_i32 s57, s57, 1
	s_add_u32 s44, s44, s38
	s_addc_u32 s45, s45, s39
	s_cmp_eq_u32 s57, s55
	s_cbranch_scc1 .LBB6_5
.LBB6_9:                                ;   Parent Loop BB6_3 Depth=1
                                        ;     Parent Loop BB6_6 Depth=2
                                        ; =>    This Loop Header: Depth=3
                                        ;         Child Loop BB6_12 Depth 4
	s_andn2_b64 vcc, exec, s[30:31]
	s_cbranch_vccnz .LBB6_8
; %bb.10:                               ;   in Loop: Header=BB6_9 Depth=3
	s_mul_i32 s0, s57, s13
	v_add_u32_e32 v2, s0, v7
	v_cmp_gt_i32_e32 vcc, 0, v2
	v_cmp_le_i32_e64 s[0:1], s53, v2
	v_lshl_add_u64 v[8:9], s[42:43], 0, v[2:3]
	s_or_b64 s[46:47], vcc, s[0:1]
	v_mul_lo_u32 v2, v9, s54
	v_mul_lo_u32 v12, v8, s51
	v_mad_u64_u32 v[8:9], s[0:1], v8, s54, 0
	v_add3_u32 v9, v9, v12, v2
	v_lshl_add_u64 v[8:9], v[8:9], 1, s[2:3]
	v_mov_b32_e32 v2, v11
	s_mov_b64 s[48:49], s[44:45]
	s_mov_b32 s58, s18
	s_branch .LBB6_12
.LBB6_11:                               ;   in Loop: Header=BB6_12 Depth=4
	s_or_b64 exec, exec, s[0:1]
	s_add_i32 s58, s58, -1
	s_add_u32 s48, s48, 2
	s_addc_u32 s49, s49, 0
	s_cmp_eq_u32 s58, 0
	v_add_u32_e32 v2, s14, v2
	s_cbranch_scc1 .LBB6_8
.LBB6_12:                               ;   Parent Loop BB6_3 Depth=1
                                        ;     Parent Loop BB6_6 Depth=2
                                        ;       Parent Loop BB6_9 Depth=3
                                        ; =>      This Inner Loop Header: Depth=4
	v_cmp_gt_i32_e32 vcc, 0, v2
	v_cmp_le_i32_e64 s[0:1], s54, v2
	s_or_b64 s[0:1], vcc, s[0:1]
	s_or_b64 s[0:1], s[46:47], s[0:1]
	s_xor_b64 s[60:61], s[0:1], -1
	s_and_saveexec_b64 s[0:1], s[60:61]
	s_cbranch_execz .LBB6_11
; %bb.13:                               ;   in Loop: Header=BB6_12 Depth=4
	v_lshl_add_u64 v[12:13], v[2:3], 1, v[8:9]
	global_load_ushort v14, v3, s[48:49]
	s_nop 0
	global_load_ushort v12, v[12:13], off
	s_waitcnt vmcnt(1)
	v_lshlrev_b32_e32 v14, 16, v14
	s_waitcnt vmcnt(0)
	v_lshlrev_b32_e32 v12, 16, v12
	v_cvt_f64_f32_e32 v[12:13], v12
	v_cvt_f64_f32_e32 v[14:15], v14
	v_fmac_f64_e32 v[4:5], v[12:13], v[14:15]
	s_branch .LBB6_11
.LBB6_14:                               ;   in Loop: Header=BB6_3 Depth=1
	v_mov_b64_e32 v[4:5], 0
.LBB6_15:                               ;   in Loop: Header=BB6_3 Depth=1
	v_ashrrev_i32_e32 v7, 31, v6
	v_mad_i64_i32 v[6:7], s[0:1], v10, s10, v[6:7]
	s_mov_b64 s[0:1], -1
	s_and_b64 vcc, exec, s[34:35]
	s_cbranch_vccz .LBB6_17
; %bb.16:                               ;   in Loop: Header=BB6_3 Depth=1
	v_lshl_add_u64 v[8:9], v[6:7], 1, s[6:7]
	global_load_ushort v2, v[8:9], off
	s_waitcnt vmcnt(0)
	v_lshlrev_b32_e32 v2, 16, v2
	v_cvt_f64_f32_e32 v[10:11], v2
	v_mul_f64 v[10:11], v[10:11], s[26:27]
	v_fmac_f64_e32 v[10:11], s[24:25], v[4:5]
	v_cvt_f32_f64_e32 v2, v[10:11]
	v_and_b32_e32 v10, 0x7f800000, v2
	v_cmp_ne_u32_sdwa s[0:1], v2, v3 src0_sel:WORD_0 src1_sel:DWORD
	v_cmp_eq_u32_e32 vcc, s17, v10
	s_and_b64 s[0:1], vcc, s[0:1]
	v_cndmask_b32_e64 v10, 0, 1, s[0:1]
	v_or_b32_sdwa v2, v2, v10 dst_sel:DWORD dst_unused:UNUSED_PAD src0_sel:WORD_1 src1_sel:DWORD
	global_store_short v[8:9], v2, off
	s_mov_b64 s[0:1], 0
.LBB6_17:                               ;   in Loop: Header=BB6_3 Depth=1
	s_andn2_b64 vcc, exec, s[0:1]
	s_cbranch_vccnz .LBB6_2
; %bb.18:                               ;   in Loop: Header=BB6_3 Depth=1
	v_cvt_f32_f64_e32 v2, v[4:5]
	v_and_b32_e32 v4, 0x7f800000, v2
	v_cmp_eq_u32_e32 vcc, s17, v4
	v_cmp_ne_u32_sdwa s[0:1], v2, v3 src0_sel:WORD_0 src1_sel:DWORD
	s_and_b64 s[0:1], vcc, s[0:1]
	s_nop 0
	v_cndmask_b32_e64 v4, 0, 1, s[0:1]
	v_or_b32_sdwa v2, v2, v4 dst_sel:DWORD dst_unused:UNUSED_PAD src0_sel:WORD_1 src1_sel:DWORD
	v_lshl_add_u64 v[4:5], v[6:7], 1, s[6:7]
	global_store_short v[4:5], v2, off
	s_branch .LBB6_2
.LBB6_19:
	s_endpgm
	.section	.rodata,"a",@progbits
	.p2align	6, 0x0
	.amdhsa_kernel naive_conv_ab_packed_fwd_nchw_ushort_double_ushort_0
		.amdhsa_group_segment_fixed_size 0
		.amdhsa_private_segment_fixed_size 0
		.amdhsa_kernarg_size 480
		.amdhsa_user_sgpr_count 2
		.amdhsa_user_sgpr_dispatch_ptr 0
		.amdhsa_user_sgpr_queue_ptr 0
		.amdhsa_user_sgpr_kernarg_segment_ptr 1
		.amdhsa_user_sgpr_dispatch_id 0
		.amdhsa_user_sgpr_kernarg_preload_length 0
		.amdhsa_user_sgpr_kernarg_preload_offset 0
		.amdhsa_user_sgpr_private_segment_size 0
		.amdhsa_uses_dynamic_stack 0
		.amdhsa_enable_private_segment 0
		.amdhsa_system_sgpr_workgroup_id_x 1
		.amdhsa_system_sgpr_workgroup_id_y 0
		.amdhsa_system_sgpr_workgroup_id_z 0
		.amdhsa_system_sgpr_workgroup_info 0
		.amdhsa_system_vgpr_workitem_id 0
		.amdhsa_next_free_vgpr 16
		.amdhsa_next_free_sgpr 62
		.amdhsa_accum_offset 16
		.amdhsa_reserve_vcc 1
		.amdhsa_float_round_mode_32 0
		.amdhsa_float_round_mode_16_64 0
		.amdhsa_float_denorm_mode_32 3
		.amdhsa_float_denorm_mode_16_64 3
		.amdhsa_dx10_clamp 1
		.amdhsa_ieee_mode 1
		.amdhsa_fp16_overflow 0
		.amdhsa_tg_split 0
		.amdhsa_exception_fp_ieee_invalid_op 0
		.amdhsa_exception_fp_denorm_src 0
		.amdhsa_exception_fp_ieee_div_zero 0
		.amdhsa_exception_fp_ieee_overflow 0
		.amdhsa_exception_fp_ieee_underflow 0
		.amdhsa_exception_fp_ieee_inexact 0
		.amdhsa_exception_int_div_zero 0
	.end_amdhsa_kernel
	.text
.Lfunc_end6:
	.size	naive_conv_ab_packed_fwd_nchw_ushort_double_ushort_0, .Lfunc_end6-naive_conv_ab_packed_fwd_nchw_ushort_double_ushort_0
                                        ; -- End function
	.section	.AMDGPU.csdata,"",@progbits
; Kernel info:
; codeLenInByte = 1424
; NumSgprs: 68
; NumVgprs: 16
; NumAgprs: 0
; TotalNumVgprs: 16
; ScratchSize: 0
; MemoryBound: 0
; FloatMode: 240
; IeeeMode: 1
; LDSByteSize: 0 bytes/workgroup (compile time only)
; SGPRBlocks: 8
; VGPRBlocks: 1
; NumSGPRsForWavesPerEU: 68
; NumVGPRsForWavesPerEU: 16
; AccumOffset: 16
; Occupancy: 8
; WaveLimiterHint : 0
; COMPUTE_PGM_RSRC2:SCRATCH_EN: 0
; COMPUTE_PGM_RSRC2:USER_SGPR: 2
; COMPUTE_PGM_RSRC2:TRAP_HANDLER: 0
; COMPUTE_PGM_RSRC2:TGID_X_EN: 1
; COMPUTE_PGM_RSRC2:TGID_Y_EN: 0
; COMPUTE_PGM_RSRC2:TGID_Z_EN: 0
; COMPUTE_PGM_RSRC2:TIDIG_COMP_CNT: 0
; COMPUTE_PGM_RSRC3_GFX90A:ACCUM_OFFSET: 3
; COMPUTE_PGM_RSRC3_GFX90A:TG_SPLIT: 0
	.text
	.protected	naive_conv_ab_nonpacked_fwd_nchw_ushort_double_ushort_0 ; -- Begin function naive_conv_ab_nonpacked_fwd_nchw_ushort_double_ushort_0
	.globl	naive_conv_ab_nonpacked_fwd_nchw_ushort_double_ushort_0
	.p2align	8
	.type	naive_conv_ab_nonpacked_fwd_nchw_ushort_double_ushort_0,@function
naive_conv_ab_nonpacked_fwd_nchw_ushort_double_ushort_0: ; @naive_conv_ab_nonpacked_fwd_nchw_ushort_double_ushort_0
; %bb.0:
	s_load_dwordx8 s[20:27], s[0:1], 0xa0
	s_abs_i32 s3, s2
	s_waitcnt lgkmcnt(0)
	s_abs_i32 s5, s23
	v_cvt_f32_u32_e32 v1, s5
	s_sub_i32 s6, 0, s5
	s_mul_i32 s4, s23, s22
	s_mul_i32 s25, s26, s25
	v_rcp_iflag_f32_e32 v1, v1
	v_cmp_gt_i32_e32 vcc, s25, v0
	v_mul_f32_e32 v1, 0x4f7ffffe, v1
	v_cvt_u32_f32_e32 v1, v1
	s_nop 0
	v_readfirstlane_b32 s7, v1
	s_mul_i32 s6, s6, s7
	s_mul_hi_u32 s6, s7, s6
	s_add_i32 s7, s7, s6
	s_mul_hi_u32 s6, s3, s7
	s_mul_i32 s7, s6, s5
	s_sub_i32 s7, s3, s7
	s_add_i32 s8, s6, 1
	s_sub_i32 s9, s7, s5
	s_cmp_ge_u32 s7, s5
	s_cselect_b32 s6, s8, s6
	s_cselect_b32 s7, s9, s7
	s_add_i32 s8, s6, 1
	s_cmp_ge_u32 s7, s5
	s_cselect_b32 s5, s8, s6
	s_abs_i32 s33, s22
	s_abs_i32 s22, s4
	v_cvt_f32_u32_e32 v1, s33
	v_cvt_f32_u32_e32 v2, s22
	v_rcp_iflag_f32_e32 v1, v1
	v_rcp_iflag_f32_e32 v2, v2
	v_mul_f32_e32 v1, 0x4f7ffffe, v1
	v_mul_f32_e32 v2, 0x4f7ffffe, v2
	v_cvt_u32_f32_e32 v1, v1
	v_cvt_u32_f32_e32 v2, v2
	v_readfirstlane_b32 s7, v1
	v_readfirstlane_b32 s6, v2
	s_and_saveexec_b64 s[8:9], vcc
	s_cbranch_execz .LBB7_19
; %bb.1:
	s_load_dwordx8 s[36:43], s[0:1], 0x0
	s_load_dwordx2 s[34:35], s[0:1], 0x20
	s_load_dwordx8 s[44:51], s[0:1], 0xc0
	s_waitcnt lgkmcnt(0)
	s_ashr_i32 s51, s2, 31
	s_ashr_i32 s8, s23, 31
	s_xor_b32 s8, s51, s8
	s_xor_b32 s5, s5, s8
	s_sub_i32 s54, s5, s8
	s_sub_i32 s5, 0, s33
	s_mul_i32 s5, s5, s7
	s_mul_hi_u32 s5, s7, s5
	s_abs_i32 s56, s54
	s_add_i32 s7, s7, s5
	s_mul_hi_u32 s57, s56, s7
	s_ashr_i32 s58, s4, 31
	s_sub_i32 s4, 0, s22
	s_ashr_i32 s55, s54, 31
	s_mul_i32 s4, s4, s6
	s_mul_i32 s54, s54, s23
	;; [unrolled: 1-line block ×3, first 2 shown]
	s_mul_hi_u32 s4, s6, s4
	s_sub_i32 s60, s2, s54
	s_sub_i32 s2, s56, s57
	s_add_i32 s6, s6, s4
	s_sub_i32 s23, s2, s33
	s_cmp_ge_u32 s2, s33
	s_cselect_b32 s2, s23, s2
	s_sub_i32 s23, s2, s33
	s_mul_hi_u32 s59, s3, s6
	s_cmp_ge_u32 s2, s33
	s_cselect_b32 s2, s23, s2
	s_mul_i32 s33, s59, s22
	s_xor_b32 s2, s2, s55
	s_sub_i32 s3, s3, s33
	s_sub_i32 s23, s2, s55
	s_xor_b32 s2, s51, s58
	s_add_i32 s33, s59, 1
	s_sub_i32 s51, s3, s22
	s_cmp_ge_u32 s3, s22
	s_cselect_b32 s33, s33, s59
	s_cselect_b32 s3, s51, s3
	s_add_i32 s51, s33, 1
	s_load_dwordx16 s[4:19], s[0:1], 0x28
	s_load_dwordx2 s[52:53], s[0:1], 0x98
	s_load_dwordx4 s[28:31], s[0:1], 0x88
	s_cmp_ge_u32 s3, s22
	s_cselect_b32 s3, s51, s33
	s_xor_b32 s3, s3, s2
	s_ashr_i32 s22, s23, 31
	s_sub_i32 s61, s3, s2
	s_waitcnt lgkmcnt(0)
	s_mul_i32 s2, s12, s22
	s_mul_hi_u32 s3, s12, s23
	s_add_i32 s2, s3, s2
	s_mul_i32 s3, s13, s23
	s_ashr_i32 s65, s61, 31
	s_add_i32 s3, s2, s3
	s_mul_i32 s2, s12, s23
	s_mul_i32 s12, s10, s65
	s_mul_hi_u32 s13, s10, s61
	s_add_i32 s12, s13, s12
	s_mul_i32 s11, s11, s61
	s_add_i32 s11, s12, s11
	s_lshl_b64 s[2:3], s[2:3], 1
	s_mul_i32 s10, s10, s61
	s_add_u32 s12, s36, s2
	s_addc_u32 s13, s37, s3
	s_lshl_b64 s[2:3], s[10:11], 1
	s_add_u32 s33, s12, s2
	s_addc_u32 s51, s13, s3
	s_ashr_i32 s36, s60, 31
	s_mul_i32 s2, s52, s22
	s_mul_hi_u32 s3, s52, s23
	s_add_i32 s2, s3, s2
	s_mul_i32 s3, s53, s23
	s_mul_i32 s10, s30, s65
	s_mul_hi_u32 s11, s30, s61
	s_mul_i32 s12, s28, s36
	s_mul_hi_u32 s13, s28, s60
	s_add_i32 s3, s2, s3
	s_mul_i32 s2, s52, s23
	s_add_i32 s10, s11, s10
	s_mul_i32 s11, s31, s61
	;; [unrolled: 2-line block ×3, first 2 shown]
	s_add_i32 s11, s10, s11
	s_add_i32 s13, s12, s13
	s_lshl_b64 s[2:3], s[2:3], 1
	s_mul_i32 s10, s30, s61
	s_add_u32 s22, s34, s2
	s_addc_u32 s23, s35, s3
	s_lshl_b64 s[2:3], s[10:11], 1
	s_mul_i32 s12, s28, s60
	s_add_u32 s10, s22, s2
	s_addc_u32 s11, s23, s3
	s_lshl_b64 s[2:3], s[12:13], 1
	s_add_u32 s2, s10, s2
	s_addc_u32 s3, s11, s3
	s_cmp_gt_i32 s24, 0
	s_cselect_b64 s[10:11], -1, 0
	s_cmp_gt_i32 s49, 0
	s_cselect_b64 s[12:13], -1, 0
	;; [unrolled: 2-line block ×3, first 2 shown]
	s_abs_i32 s62, s26
	v_cvt_f32_u32_e32 v1, s62
	s_load_dwordx8 s[52:59], s[0:1], 0x68
	s_load_dword s34, s[0:1], 0xec
	v_cmp_neq_f64_e64 s[30:31], s[40:41], 1.0
	v_rcp_iflag_f32_e32 v1, v1
	v_cmp_neq_f64_e64 s[0:1], s[42:43], 0
	s_or_b64 s[30:31], s[30:31], s[0:1]
	s_sub_i32 s0, 0, s62
	v_mul_f32_e32 v1, 0x4f7ffffe, v1
	v_cvt_u32_f32_e32 v1, v1
	s_waitcnt lgkmcnt(0)
	s_and_b32 s63, s34, 0xffff
	s_mul_hi_u32 s1, s52, s60
	s_mul_i32 s34, s54, s65
	v_mul_lo_u32 v2, s0, v1
	s_mul_i32 s0, s52, s36
	s_mul_hi_u32 s35, s54, s61
	s_add_i32 s0, s1, s0
	s_mul_i32 s1, s53, s60
	s_add_i32 s34, s35, s34
	s_mul_i32 s35, s55, s61
	;; [unrolled: 2-line block ×4, first 2 shown]
	s_ashr_i32 s64, s26, 31
	s_lshl_b64 s[0:1], s[0:1], 1
	s_lshl_b64 s[34:35], s[34:35], 1
	s_add_u32 s0, s0, s34
	s_addc_u32 s1, s1, s35
	v_mul_hi_u32 v2, v1, v2
	s_add_u32 s34, s38, s0
	s_mov_b64 s[28:29], 0
	v_add_u32_e32 v1, v1, v2
	v_mov_b32_e32 v6, 0
	s_addc_u32 s35, s39, s1
	s_lshl_b64 s[18:19], s[18:19], 1
	s_lshl_b64 s[16:17], s[16:17], 1
	;; [unrolled: 1-line block ×3, first 2 shown]
	s_mov_b32 s65, 0x7f800000
	s_branch .LBB7_3
.LBB7_2:                                ;   in Loop: Header=BB7_3 Depth=1
	v_add_u32_e32 v0, s63, v0
	v_cmp_le_i32_e32 vcc, s25, v0
	s_or_b64 s[28:29], vcc, s[28:29]
	s_andn2_b64 exec, exec, s[28:29]
	s_cbranch_execz .LBB7_19
.LBB7_3:                                ; =>This Loop Header: Depth=1
                                        ;     Child Loop BB7_6 Depth 2
                                        ;       Child Loop BB7_9 Depth 3
                                        ;         Child Loop BB7_12 Depth 4
	v_sub_u32_e32 v3, 0, v0
	v_max_i32_e32 v3, v0, v3
	v_mul_hi_u32 v4, v3, v1
	v_mul_lo_u32 v5, v4, s62
	v_sub_u32_e32 v3, v3, v5
	v_add_u32_e32 v5, 1, v4
	v_cmp_le_u32_e32 vcc, s62, v3
	v_ashrrev_i32_e32 v2, 31, v0
	v_xor_b32_e32 v2, s64, v2
	v_cndmask_b32_e32 v4, v4, v5, vcc
	v_subrev_u32_e32 v5, s62, v3
	v_cndmask_b32_e32 v3, v3, v5, vcc
	v_add_u32_e32 v5, 1, v4
	v_cmp_le_u32_e32 vcc, s62, v3
	s_nop 1
	v_cndmask_b32_e32 v3, v4, v5, vcc
	v_xor_b32_e32 v3, v3, v2
	v_sub_u32_e32 v8, v3, v2
	v_mul_lo_u32 v2, v8, s26
	s_andn2_b64 vcc, exec, s[10:11]
	v_sub_u32_e32 v7, v0, v2
	s_cbranch_vccnz .LBB7_14
; %bb.4:                                ;   in Loop: Header=BB7_3 Depth=1
	v_mul_lo_u32 v2, v8, s27
	v_subrev_u32_e32 v9, s47, v2
	v_mul_lo_u32 v2, v7, s44
	v_subrev_u32_e32 v10, s48, v2
	s_mov_b32 s66, 0
	v_mov_b64_e32 v[2:3], 0
	s_mov_b64 s[36:37], s[34:35]
	s_branch .LBB7_6
.LBB7_5:                                ;   in Loop: Header=BB7_6 Depth=2
	s_add_i32 s66, s66, 1
	s_add_u32 s36, s36, s18
	s_addc_u32 s37, s37, s19
	s_cmp_eq_u32 s66, s24
	s_cbranch_scc1 .LBB7_15
.LBB7_6:                                ;   Parent Loop BB7_3 Depth=1
                                        ; =>  This Loop Header: Depth=2
                                        ;       Child Loop BB7_9 Depth 3
                                        ;         Child Loop BB7_12 Depth 4
	s_andn2_b64 vcc, exec, s[12:13]
	s_cbranch_vccnz .LBB7_5
; %bb.7:                                ;   in Loop: Header=BB7_6 Depth=2
	s_mul_i32 s0, s9, s66
	s_mul_hi_u32 s1, s8, s66
	s_add_i32 s1, s1, s0
	s_mul_i32 s0, s8, s66
	s_lshl_b64 s[0:1], s[0:1], 1
	s_add_u32 s38, s33, s0
	s_addc_u32 s39, s51, s1
	s_mov_b32 s67, 0
	s_mov_b64 s[52:53], s[36:37]
	s_branch .LBB7_9
.LBB7_8:                                ;   in Loop: Header=BB7_9 Depth=3
	s_add_i32 s67, s67, 1
	s_add_u32 s52, s52, s16
	s_addc_u32 s53, s53, s17
	s_cmp_eq_u32 s67, s49
	s_cbranch_scc1 .LBB7_5
.LBB7_9:                                ;   Parent Loop BB7_3 Depth=1
                                        ;     Parent Loop BB7_6 Depth=2
                                        ; =>    This Loop Header: Depth=3
                                        ;         Child Loop BB7_12 Depth 4
	s_andn2_b64 vcc, exec, s[22:23]
	s_cbranch_vccnz .LBB7_8
; %bb.10:                               ;   in Loop: Header=BB7_9 Depth=3
	s_mul_i32 s0, s67, s45
	v_add_u32_e32 v11, s0, v9
	v_cmp_gt_i32_e32 vcc, 0, v11
	v_cmp_le_i32_e64 s[0:1], s20, v11
	s_or_b64 s[54:55], vcc, s[0:1]
	v_mad_u64_u32 v[4:5], s[0:1], s6, v11, 0
	v_mov_b32_e32 v12, v5
	v_mad_u64_u32 v[12:13], s[0:1], s7, v11, v[12:13]
	v_mov_b32_e32 v5, v12
	v_lshl_add_u64 v[4:5], v[4:5], 1, s[38:39]
	v_mov_b32_e32 v11, v10
	s_mov_b64 s[60:61], s[52:53]
	s_mov_b32 s68, s50
	s_branch .LBB7_12
.LBB7_11:                               ;   in Loop: Header=BB7_12 Depth=4
	s_or_b64 exec, exec, s[0:1]
	s_add_i32 s68, s68, -1
	s_add_u32 s60, s60, s14
	s_addc_u32 s61, s61, s15
	s_cmp_eq_u32 s68, 0
	v_add_u32_e32 v11, s46, v11
	s_cbranch_scc1 .LBB7_8
.LBB7_12:                               ;   Parent Loop BB7_3 Depth=1
                                        ;     Parent Loop BB7_6 Depth=2
                                        ;       Parent Loop BB7_9 Depth=3
                                        ; =>      This Inner Loop Header: Depth=4
	v_cmp_gt_i32_e32 vcc, 0, v11
	v_cmp_le_i32_e64 s[0:1], s21, v11
	s_or_b64 s[0:1], vcc, s[0:1]
	s_or_b64 s[0:1], s[54:55], s[0:1]
	s_xor_b64 s[70:71], s[0:1], -1
	s_and_saveexec_b64 s[0:1], s[70:71]
	s_cbranch_execz .LBB7_11
; %bb.13:                               ;   in Loop: Header=BB7_12 Depth=4
	v_mad_u64_u32 v[12:13], s[70:71], s4, v11, 0
	v_mov_b32_e32 v14, v13
	v_mad_u64_u32 v[14:15], s[70:71], s5, v11, v[14:15]
	v_mov_b32_e32 v13, v14
	v_lshl_add_u64 v[12:13], v[12:13], 1, v[4:5]
	global_load_ushort v14, v6, s[60:61]
	s_nop 0
	global_load_ushort v12, v[12:13], off
	s_waitcnt vmcnt(1)
	v_lshlrev_b32_e32 v14, 16, v14
	s_waitcnt vmcnt(0)
	v_lshlrev_b32_e32 v12, 16, v12
	v_cvt_f64_f32_e32 v[12:13], v12
	v_cvt_f64_f32_e32 v[14:15], v14
	v_fmac_f64_e32 v[2:3], v[12:13], v[14:15]
	s_branch .LBB7_11
.LBB7_14:                               ;   in Loop: Header=BB7_3 Depth=1
	v_mov_b64_e32 v[2:3], 0
.LBB7_15:                               ;   in Loop: Header=BB7_3 Depth=1
	v_ashrrev_i32_e32 v4, 31, v8
	v_mul_lo_u32 v9, s59, v8
	v_mul_lo_u32 v10, s58, v4
	v_mad_u64_u32 v[4:5], s[0:1], s58, v8, 0
	v_add3_u32 v5, v5, v10, v9
	v_ashrrev_i32_e32 v8, 31, v7
	v_mad_u64_u32 v[4:5], s[0:1], s56, v7, v[4:5]
	v_mul_lo_u32 v7, s57, v7
	v_mul_lo_u32 v8, s56, v8
	v_add3_u32 v5, v7, v5, v8
	s_mov_b64 s[0:1], -1
	s_and_b64 vcc, exec, s[30:31]
	s_cbranch_vccz .LBB7_17
; %bb.16:                               ;   in Loop: Header=BB7_3 Depth=1
	v_lshl_add_u64 v[8:9], v[4:5], 1, s[2:3]
	global_load_ushort v7, v[8:9], off
	s_waitcnt vmcnt(0)
	v_lshlrev_b32_e32 v7, 16, v7
	v_cvt_f64_f32_e32 v[10:11], v7
	v_mul_f64 v[10:11], v[10:11], s[42:43]
	v_fmac_f64_e32 v[10:11], s[40:41], v[2:3]
	v_cvt_f32_f64_e32 v7, v[10:11]
	v_and_b32_e32 v10, 0x7f800000, v7
	v_cmp_ne_u32_sdwa s[0:1], v7, v6 src0_sel:WORD_0 src1_sel:DWORD
	v_cmp_eq_u32_e32 vcc, s65, v10
	s_and_b64 s[0:1], vcc, s[0:1]
	v_cndmask_b32_e64 v10, 0, 1, s[0:1]
	v_or_b32_sdwa v7, v7, v10 dst_sel:DWORD dst_unused:UNUSED_PAD src0_sel:WORD_1 src1_sel:DWORD
	global_store_short v[8:9], v7, off
	s_mov_b64 s[0:1], 0
.LBB7_17:                               ;   in Loop: Header=BB7_3 Depth=1
	s_andn2_b64 vcc, exec, s[0:1]
	s_cbranch_vccnz .LBB7_2
; %bb.18:                               ;   in Loop: Header=BB7_3 Depth=1
	v_cvt_f32_f64_e32 v2, v[2:3]
	v_and_b32_e32 v3, 0x7f800000, v2
	v_cmp_eq_u32_e32 vcc, s65, v3
	v_cmp_ne_u32_sdwa s[0:1], v2, v6 src0_sel:WORD_0 src1_sel:DWORD
	s_and_b64 s[0:1], vcc, s[0:1]
	s_nop 0
	v_cndmask_b32_e64 v3, 0, 1, s[0:1]
	v_or_b32_sdwa v7, v2, v3 dst_sel:DWORD dst_unused:UNUSED_PAD src0_sel:WORD_1 src1_sel:DWORD
	v_lshl_add_u64 v[2:3], v[4:5], 1, s[2:3]
	global_store_short v[2:3], v7, off
	s_branch .LBB7_2
.LBB7_19:
	s_endpgm
	.section	.rodata,"a",@progbits
	.p2align	6, 0x0
	.amdhsa_kernel naive_conv_ab_nonpacked_fwd_nchw_ushort_double_ushort_0
		.amdhsa_group_segment_fixed_size 0
		.amdhsa_private_segment_fixed_size 0
		.amdhsa_kernarg_size 480
		.amdhsa_user_sgpr_count 2
		.amdhsa_user_sgpr_dispatch_ptr 0
		.amdhsa_user_sgpr_queue_ptr 0
		.amdhsa_user_sgpr_kernarg_segment_ptr 1
		.amdhsa_user_sgpr_dispatch_id 0
		.amdhsa_user_sgpr_kernarg_preload_length 0
		.amdhsa_user_sgpr_kernarg_preload_offset 0
		.amdhsa_user_sgpr_private_segment_size 0
		.amdhsa_uses_dynamic_stack 0
		.amdhsa_enable_private_segment 0
		.amdhsa_system_sgpr_workgroup_id_x 1
		.amdhsa_system_sgpr_workgroup_id_y 0
		.amdhsa_system_sgpr_workgroup_id_z 0
		.amdhsa_system_sgpr_workgroup_info 0
		.amdhsa_system_vgpr_workitem_id 0
		.amdhsa_next_free_vgpr 16
		.amdhsa_next_free_sgpr 72
		.amdhsa_accum_offset 16
		.amdhsa_reserve_vcc 1
		.amdhsa_float_round_mode_32 0
		.amdhsa_float_round_mode_16_64 0
		.amdhsa_float_denorm_mode_32 3
		.amdhsa_float_denorm_mode_16_64 3
		.amdhsa_dx10_clamp 1
		.amdhsa_ieee_mode 1
		.amdhsa_fp16_overflow 0
		.amdhsa_tg_split 0
		.amdhsa_exception_fp_ieee_invalid_op 0
		.amdhsa_exception_fp_denorm_src 0
		.amdhsa_exception_fp_ieee_div_zero 0
		.amdhsa_exception_fp_ieee_overflow 0
		.amdhsa_exception_fp_ieee_underflow 0
		.amdhsa_exception_fp_ieee_inexact 0
		.amdhsa_exception_int_div_zero 0
	.end_amdhsa_kernel
	.text
.Lfunc_end7:
	.size	naive_conv_ab_nonpacked_fwd_nchw_ushort_double_ushort_0, .Lfunc_end7-naive_conv_ab_nonpacked_fwd_nchw_ushort_double_ushort_0
                                        ; -- End function
	.section	.AMDGPU.csdata,"",@progbits
; Kernel info:
; codeLenInByte = 1568
; NumSgprs: 78
; NumVgprs: 16
; NumAgprs: 0
; TotalNumVgprs: 16
; ScratchSize: 0
; MemoryBound: 0
; FloatMode: 240
; IeeeMode: 1
; LDSByteSize: 0 bytes/workgroup (compile time only)
; SGPRBlocks: 9
; VGPRBlocks: 1
; NumSGPRsForWavesPerEU: 78
; NumVGPRsForWavesPerEU: 16
; AccumOffset: 16
; Occupancy: 8
; WaveLimiterHint : 0
; COMPUTE_PGM_RSRC2:SCRATCH_EN: 0
; COMPUTE_PGM_RSRC2:USER_SGPR: 2
; COMPUTE_PGM_RSRC2:TRAP_HANDLER: 0
; COMPUTE_PGM_RSRC2:TGID_X_EN: 1
; COMPUTE_PGM_RSRC2:TGID_Y_EN: 0
; COMPUTE_PGM_RSRC2:TGID_Z_EN: 0
; COMPUTE_PGM_RSRC2:TIDIG_COMP_CNT: 0
; COMPUTE_PGM_RSRC3_GFX90A:ACCUM_OFFSET: 3
; COMPUTE_PGM_RSRC3_GFX90A:TG_SPLIT: 0
	.text
	.protected	naive_conv_ab_packed_fwd_nchw_int8_t_int32_t_int8_t_0 ; -- Begin function naive_conv_ab_packed_fwd_nchw_int8_t_int32_t_int8_t_0
	.globl	naive_conv_ab_packed_fwd_nchw_int8_t_int32_t_int8_t_0
	.p2align	8
	.type	naive_conv_ab_packed_fwd_nchw_int8_t_int32_t_int8_t_0,@function
naive_conv_ab_packed_fwd_nchw_int8_t_int32_t_int8_t_0: ; @naive_conv_ab_packed_fwd_nchw_int8_t_int32_t_int8_t_0
; %bb.0:
	s_load_dwordx16 s[4:19], s[0:1], 0xa0
	s_abs_i32 s3, s2
	s_waitcnt lgkmcnt(0)
	s_abs_i32 s20, s7
	v_cvt_f32_u32_e32 v1, s20
	s_sub_i32 s21, 0, s20
	s_mul_i32 s29, s7, s6
	s_mul_i32 s33, s10, s9
	v_rcp_iflag_f32_e32 v1, v1
	v_cmp_gt_i32_e32 vcc, s33, v0
	v_mul_f32_e32 v1, 0x4f7ffffe, v1
	v_cvt_u32_f32_e32 v1, v1
	s_nop 0
	v_readfirstlane_b32 s22, v1
	s_mul_i32 s21, s21, s22
	s_mul_hi_u32 s21, s22, s21
	s_add_i32 s22, s22, s21
	s_mul_hi_u32 s21, s3, s22
	s_mul_i32 s22, s21, s20
	s_sub_i32 s22, s3, s22
	s_add_i32 s23, s21, 1
	s_sub_i32 s24, s22, s20
	s_cmp_ge_u32 s22, s20
	s_cselect_b32 s21, s23, s21
	s_cselect_b32 s22, s24, s22
	s_add_i32 s23, s21, 1
	s_cmp_ge_u32 s22, s20
	s_cselect_b32 s30, s23, s21
	s_abs_i32 s28, s6
	s_abs_i32 s6, s29
	v_cvt_f32_u32_e32 v1, s28
	v_cvt_f32_u32_e32 v2, s6
	v_rcp_iflag_f32_e32 v1, v1
	v_rcp_iflag_f32_e32 v2, v2
	v_mul_f32_e32 v1, 0x4f7ffffe, v1
	v_mul_f32_e32 v2, 0x4f7ffffe, v2
	v_cvt_u32_f32_e32 v1, v1
	v_cvt_u32_f32_e32 v2, v2
	v_readfirstlane_b32 s34, v1
	v_readfirstlane_b32 s31, v2
	s_and_saveexec_b64 s[20:21], vcc
	s_cbranch_execz .LBB8_16
; %bb.1:
	s_ashr_i32 s35, s2, 31
	s_ashr_i32 s36, s7, 31
	s_xor_b32 s36, s35, s36
	s_sub_i32 s38, 0, s28
	s_xor_b32 s30, s30, s36
	s_mul_i32 s38, s38, s34
	s_sub_i32 s30, s30, s36
	s_mul_hi_u32 s38, s34, s38
	s_abs_i32 s37, s30
	s_add_i32 s34, s34, s38
	s_mul_hi_u32 s34, s37, s34
	s_sub_i32 s38, 0, s6
	s_ashr_i32 s36, s30, 31
	s_mul_i32 s38, s38, s31
	s_mul_i32 s30, s30, s7
	;; [unrolled: 1-line block ×3, first 2 shown]
	s_mul_hi_u32 s38, s31, s38
	s_sub_i32 s30, s2, s30
	s_sub_i32 s2, s37, s34
	s_ashr_i32 s29, s29, 31
	s_add_i32 s31, s31, s38
	s_sub_i32 s34, s2, s28
	s_cmp_ge_u32 s2, s28
	s_cselect_b32 s2, s34, s2
	s_sub_i32 s34, s2, s28
	s_cmp_ge_u32 s2, s28
	s_cselect_b32 s2, s34, s2
	s_mul_hi_u32 s31, s3, s31
	s_xor_b32 s2, s2, s36
	s_sub_i32 s28, s2, s36
	s_xor_b32 s2, s35, s29
	s_mul_i32 s29, s31, s6
	s_sub_i32 s3, s3, s29
	s_add_i32 s29, s31, 1
	s_sub_i32 s34, s3, s6
	s_cmp_ge_u32 s3, s6
	s_cselect_b32 s29, s29, s31
	s_cselect_b32 s3, s34, s3
	s_add_i32 s31, s29, 1
	s_cmp_ge_u32 s3, s6
	s_cselect_b32 s3, s31, s29
	s_xor_b32 s3, s3, s2
	s_mul_i32 s38, s19, s7
	s_mul_i32 s19, s19, s8
	s_sub_i32 s6, s3, s2
	s_mul_hi_i32 s2, s28, s19
	s_mul_i32 s3, s28, s19
	s_ashr_i32 s19, s4, 31
	s_ashr_i32 s41, s5, 31
	;; [unrolled: 1-line block ×3, first 2 shown]
	s_mul_i32 s31, s6, s8
	s_load_dwordx8 s[20:27], s[0:1], 0x0
	s_mul_hi_i32 s29, s6, s8
	s_add_u32 s3, s31, s3
	s_mov_b32 s40, s4
	s_addc_u32 s2, s29, s2
	s_mul_hi_i32 s29, s5, s4
	s_mul_i32 s4, s5, s4
	s_mov_b32 s42, s5
	s_mul_i32 s2, s4, s2
	s_mul_hi_u32 s5, s4, s3
	s_add_i32 s2, s5, s2
	s_mul_i32 s29, s29, s3
	s_add_i32 s5, s2, s29
	s_mul_i32 s4, s4, s3
	s_waitcnt lgkmcnt(0)
	s_add_u32 s2, s20, s4
	s_addc_u32 s3, s21, s5
	s_mul_hi_i32 s4, s6, s7
	s_mul_i32 s6, s6, s7
	s_ashr_i32 s43, s18, 31
	s_ashr_i32 s5, s30, 31
	s_add_u32 s37, s6, s30
	s_addc_u32 s39, s4, s5
	s_mul_hi_i32 s4, s28, s38
	s_mul_i32 s28, s28, s38
	s_ashr_i32 s44, s10, 31
	s_add_u32 s6, s37, s28
	s_addc_u32 s4, s39, s4
	s_mul_i32 s4, s33, s4
	s_mul_hi_u32 s5, s33, s6
	s_mul_hi_i32 s7, s10, s9
	s_add_i32 s9, s5, s4
	s_load_dwordx2 s[4:5], s[0:1], 0x20
	s_load_dword s38, s[0:1], 0xec
	s_mul_i32 s7, s7, s6
	s_add_i32 s9, s9, s7
	s_mul_i32 s6, s33, s6
	s_waitcnt lgkmcnt(0)
	s_add_u32 s0, s4, s6
	s_addc_u32 s1, s5, s9
	s_cmp_gt_i32 s8, 0
	s_cselect_b64 s[4:5], -1, 0
	s_cmp_gt_i32 s17, 0
	s_cselect_b64 s[6:7], -1, 0
	;; [unrolled: 2-line block ×3, first 2 shown]
	s_abs_i32 s9, s10
	v_cvt_f32_u32_e32 v1, s9
	v_cmp_neq_f64_e64 s[30:31], s[24:25], 1.0
	s_mul_i32 s47, s18, s17
	s_mov_b32 s45, s17
	v_rcp_iflag_f32_e32 v2, v1
	v_cvt_i32_f64_e32 v1, s[24:25]
	s_sub_i32 s24, 0, s9
	s_mul_hi_u32 s25, s47, s37
	v_mul_f32_e32 v2, 0x4f7ffffe, v2
	v_cvt_u32_f32_e32 v2, v2
	s_mul_hi_i32 s17, s18, s17
	v_cmp_neq_f64_e64 s[34:35], s[26:27], 0
	v_cvt_i32_f64_e32 v12, s[26:27]
	v_mul_lo_u32 v3, s24, v2
	s_mul_i32 s24, s47, s39
	s_add_i32 s24, s25, s24
	s_mul_i32 s25, s17, s37
	s_add_i32 s24, s24, s25
	s_mul_i32 s25, s47, s37
	s_mul_i32 s26, s25, s36
	s_mul_hi_u32 s27, s25, s8
	s_add_i32 s26, s27, s26
	s_mul_i32 s24, s24, s8
	s_or_b64 s[30:31], s[30:31], s[34:35]
	s_and_b32 s46, s38, 0xffff
	s_add_i32 s26, s26, s24
	s_mul_i32 s25, s25, s8
	v_mul_hi_u32 v3, v2, v3
	s_add_u32 s22, s22, s25
	s_mov_b64 s[28:29], 0
	v_add_u32_e32 v13, v2, v3
	v_mov_b32_e32 v3, 0
	s_addc_u32 s23, s23, s26
	v_mov_b64_e32 v[4:5], s[0:1]
	s_branch .LBB8_3
.LBB8_2:                                ;   in Loop: Header=BB8_3 Depth=1
	v_add_u32_e32 v0, s46, v0
	v_cmp_le_i32_e32 vcc, s33, v0
	s_or_b64 s[28:29], vcc, s[28:29]
	global_store_byte v[8:9], v6, off
	s_andn2_b64 exec, exec, s[28:29]
	s_cbranch_execz .LBB8_16
.LBB8_3:                                ; =>This Loop Header: Depth=1
                                        ;     Child Loop BB8_6 Depth 2
                                        ;       Child Loop BB8_9 Depth 3
                                        ;         Child Loop BB8_12 Depth 4
	v_sub_u32_e32 v6, 0, v0
	v_max_i32_e32 v6, v0, v6
	v_mul_hi_u32 v7, v6, v13
	v_mul_lo_u32 v8, v7, s9
	v_sub_u32_e32 v6, v6, v8
	v_add_u32_e32 v8, 1, v7
	v_cmp_le_u32_e32 vcc, s9, v6
	v_ashrrev_i32_e32 v2, 31, v0
	v_xor_b32_e32 v2, s44, v2
	v_cndmask_b32_e32 v7, v7, v8, vcc
	v_subrev_u32_e32 v8, s9, v6
	v_cndmask_b32_e32 v6, v6, v8, vcc
	v_add_u32_e32 v8, 1, v7
	v_cmp_le_u32_e32 vcc, s9, v6
	s_mov_b32 s48, 0
	s_nop 0
	v_cndmask_b32_e32 v6, v7, v8, vcc
	v_xor_b32_e32 v6, v6, v2
	v_sub_u32_e32 v7, v6, v2
	v_mul_lo_u32 v2, v7, s10
	v_sub_u32_e32 v8, v0, v2
	s_andn2_b64 vcc, exec, s[4:5]
	v_mov_b32_e32 v6, v3
	s_cbranch_vccnz .LBB8_14
; %bb.4:                                ;   in Loop: Header=BB8_3 Depth=1
	v_mul_lo_u32 v2, v7, s11
	v_subrev_u32_e32 v9, s15, v2
	v_mul_lo_u32 v2, v8, s12
	v_subrev_u32_e32 v14, s16, v2
	v_mov_b32_e32 v6, 0
	s_mov_b64 s[24:25], s[22:23]
	s_branch .LBB8_6
.LBB8_5:                                ;   in Loop: Header=BB8_6 Depth=2
	s_add_i32 s48, s48, 1
	s_add_u32 s24, s24, s47
	s_addc_u32 s25, s25, s17
	s_cmp_eq_u32 s48, s8
	s_cbranch_scc1 .LBB8_14
.LBB8_6:                                ;   Parent Loop BB8_3 Depth=1
                                        ; =>  This Loop Header: Depth=2
                                        ;       Child Loop BB8_9 Depth 3
                                        ;         Child Loop BB8_12 Depth 4
	s_andn2_b64 vcc, exec, s[6:7]
	s_cbranch_vccnz .LBB8_5
; %bb.7:                                ;   in Loop: Header=BB8_6 Depth=2
	s_mul_i32 s0, s48, s19
	s_mul_hi_u32 s1, s48, s40
	s_add_i32 s27, s1, s0
	s_mul_i32 s26, s48, s40
	s_mov_b32 s49, 0
	s_mov_b64 s[34:35], s[24:25]
	s_branch .LBB8_9
.LBB8_8:                                ;   in Loop: Header=BB8_9 Depth=3
	s_add_i32 s49, s49, 1
	s_add_u32 s34, s34, s18
	s_addc_u32 s35, s35, s43
	s_cmp_eq_u32 s49, s45
	s_cbranch_scc1 .LBB8_5
.LBB8_9:                                ;   Parent Loop BB8_3 Depth=1
                                        ;     Parent Loop BB8_6 Depth=2
                                        ; =>    This Loop Header: Depth=3
                                        ;         Child Loop BB8_12 Depth 4
	s_andn2_b64 vcc, exec, s[20:21]
	s_cbranch_vccnz .LBB8_8
; %bb.10:                               ;   in Loop: Header=BB8_9 Depth=3
	s_mul_i32 s0, s49, s13
	v_add_u32_e32 v2, s0, v9
	v_cmp_gt_i32_e32 vcc, 0, v2
	v_cmp_le_i32_e64 s[0:1], s40, v2
	v_lshl_add_u64 v[10:11], s[26:27], 0, v[2:3]
	v_mov_b64_e32 v[16:17], s[2:3]
	s_or_b64 s[36:37], vcc, s[0:1]
	v_mul_lo_u32 v2, v10, s41
	v_mul_lo_u32 v15, v11, s42
	v_mad_u64_u32 v[10:11], s[0:1], v10, s42, v[16:17]
	v_add3_u32 v11, v15, v11, v2
	v_mov_b32_e32 v2, v14
	s_mov_b64 s[38:39], s[34:35]
	s_mov_b32 s50, s18
	s_branch .LBB8_12
.LBB8_11:                               ;   in Loop: Header=BB8_12 Depth=4
	s_or_b64 exec, exec, s[0:1]
	s_add_i32 s50, s50, -1
	s_add_u32 s38, s38, 1
	s_addc_u32 s39, s39, 0
	s_cmp_eq_u32 s50, 0
	v_add_u32_e32 v2, s14, v2
	s_cbranch_scc1 .LBB8_8
.LBB8_12:                               ;   Parent Loop BB8_3 Depth=1
                                        ;     Parent Loop BB8_6 Depth=2
                                        ;       Parent Loop BB8_9 Depth=3
                                        ; =>      This Inner Loop Header: Depth=4
	v_cmp_gt_i32_e32 vcc, 0, v2
	v_cmp_le_i32_e64 s[0:1], s42, v2
	s_or_b64 s[0:1], vcc, s[0:1]
	s_or_b64 s[0:1], s[36:37], s[0:1]
	s_xor_b64 s[52:53], s[0:1], -1
	s_and_saveexec_b64 s[0:1], s[52:53]
	s_cbranch_execz .LBB8_11
; %bb.13:                               ;   in Loop: Header=BB8_12 Depth=4
	v_lshl_add_u64 v[16:17], v[10:11], 0, v[2:3]
	global_load_ubyte v15, v[16:17], off
	s_nop 0
	global_load_ubyte v16, v3, s[38:39]
	s_waitcnt vmcnt(0)
	v_mad_u32_u24 v6, v16, v15, v6
	s_branch .LBB8_11
.LBB8_14:                               ;   in Loop: Header=BB8_3 Depth=1
	v_ashrrev_i32_e32 v9, 31, v8
	v_mad_i64_i32 v[10:11], s[0:1], v7, s10, v[4:5]
	s_andn2_b64 vcc, exec, s[30:31]
	v_lshl_add_u64 v[8:9], v[10:11], 0, v[8:9]
	s_cbranch_vccnz .LBB8_2
; %bb.15:                               ;   in Loop: Header=BB8_3 Depth=1
	global_load_ubyte v7, v[8:9], off
	v_mul_lo_u32 v2, v6, v1
	s_waitcnt vmcnt(0)
	v_mad_u64_u32 v[6:7], s[0:1], v7, v12, v[2:3]
	s_branch .LBB8_2
.LBB8_16:
	s_endpgm
	.section	.rodata,"a",@progbits
	.p2align	6, 0x0
	.amdhsa_kernel naive_conv_ab_packed_fwd_nchw_int8_t_int32_t_int8_t_0
		.amdhsa_group_segment_fixed_size 0
		.amdhsa_private_segment_fixed_size 0
		.amdhsa_kernarg_size 480
		.amdhsa_user_sgpr_count 2
		.amdhsa_user_sgpr_dispatch_ptr 0
		.amdhsa_user_sgpr_queue_ptr 0
		.amdhsa_user_sgpr_kernarg_segment_ptr 1
		.amdhsa_user_sgpr_dispatch_id 0
		.amdhsa_user_sgpr_kernarg_preload_length 0
		.amdhsa_user_sgpr_kernarg_preload_offset 0
		.amdhsa_user_sgpr_private_segment_size 0
		.amdhsa_uses_dynamic_stack 0
		.amdhsa_enable_private_segment 0
		.amdhsa_system_sgpr_workgroup_id_x 1
		.amdhsa_system_sgpr_workgroup_id_y 0
		.amdhsa_system_sgpr_workgroup_id_z 0
		.amdhsa_system_sgpr_workgroup_info 0
		.amdhsa_system_vgpr_workitem_id 0
		.amdhsa_next_free_vgpr 18
		.amdhsa_next_free_sgpr 54
		.amdhsa_accum_offset 20
		.amdhsa_reserve_vcc 1
		.amdhsa_float_round_mode_32 0
		.amdhsa_float_round_mode_16_64 0
		.amdhsa_float_denorm_mode_32 3
		.amdhsa_float_denorm_mode_16_64 3
		.amdhsa_dx10_clamp 1
		.amdhsa_ieee_mode 1
		.amdhsa_fp16_overflow 0
		.amdhsa_tg_split 0
		.amdhsa_exception_fp_ieee_invalid_op 0
		.amdhsa_exception_fp_denorm_src 0
		.amdhsa_exception_fp_ieee_div_zero 0
		.amdhsa_exception_fp_ieee_overflow 0
		.amdhsa_exception_fp_ieee_underflow 0
		.amdhsa_exception_fp_ieee_inexact 0
		.amdhsa_exception_int_div_zero 0
	.end_amdhsa_kernel
	.text
.Lfunc_end8:
	.size	naive_conv_ab_packed_fwd_nchw_int8_t_int32_t_int8_t_0, .Lfunc_end8-naive_conv_ab_packed_fwd_nchw_int8_t_int32_t_int8_t_0
                                        ; -- End function
	.section	.AMDGPU.csdata,"",@progbits
; Kernel info:
; codeLenInByte = 1260
; NumSgprs: 60
; NumVgprs: 18
; NumAgprs: 0
; TotalNumVgprs: 18
; ScratchSize: 0
; MemoryBound: 0
; FloatMode: 240
; IeeeMode: 1
; LDSByteSize: 0 bytes/workgroup (compile time only)
; SGPRBlocks: 7
; VGPRBlocks: 2
; NumSGPRsForWavesPerEU: 60
; NumVGPRsForWavesPerEU: 18
; AccumOffset: 20
; Occupancy: 8
; WaveLimiterHint : 0
; COMPUTE_PGM_RSRC2:SCRATCH_EN: 0
; COMPUTE_PGM_RSRC2:USER_SGPR: 2
; COMPUTE_PGM_RSRC2:TRAP_HANDLER: 0
; COMPUTE_PGM_RSRC2:TGID_X_EN: 1
; COMPUTE_PGM_RSRC2:TGID_Y_EN: 0
; COMPUTE_PGM_RSRC2:TGID_Z_EN: 0
; COMPUTE_PGM_RSRC2:TIDIG_COMP_CNT: 0
; COMPUTE_PGM_RSRC3_GFX90A:ACCUM_OFFSET: 4
; COMPUTE_PGM_RSRC3_GFX90A:TG_SPLIT: 0
	.text
	.protected	naive_conv_ab_nonpacked_fwd_nchw_int8_t_int32_t_int8_t_0 ; -- Begin function naive_conv_ab_nonpacked_fwd_nchw_int8_t_int32_t_int8_t_0
	.globl	naive_conv_ab_nonpacked_fwd_nchw_int8_t_int32_t_int8_t_0
	.p2align	8
	.type	naive_conv_ab_nonpacked_fwd_nchw_int8_t_int32_t_int8_t_0,@function
naive_conv_ab_nonpacked_fwd_nchw_int8_t_int32_t_int8_t_0: ; @naive_conv_ab_nonpacked_fwd_nchw_int8_t_int32_t_int8_t_0
; %bb.0:
	s_load_dwordx8 s[20:27], s[0:1], 0xa0
	s_abs_i32 s3, s2
	s_waitcnt lgkmcnt(0)
	s_abs_i32 s5, s23
	v_cvt_f32_u32_e32 v1, s5
	s_sub_i32 s6, 0, s5
	s_mul_i32 s4, s23, s22
	s_mul_i32 s25, s26, s25
	v_rcp_iflag_f32_e32 v1, v1
	v_cmp_gt_i32_e32 vcc, s25, v0
	v_mul_f32_e32 v1, 0x4f7ffffe, v1
	v_cvt_u32_f32_e32 v1, v1
	s_nop 0
	v_readfirstlane_b32 s7, v1
	s_mul_i32 s6, s6, s7
	s_mul_hi_u32 s6, s7, s6
	s_add_i32 s7, s7, s6
	s_mul_hi_u32 s6, s3, s7
	s_mul_i32 s7, s6, s5
	s_sub_i32 s7, s3, s7
	s_add_i32 s8, s6, 1
	s_sub_i32 s9, s7, s5
	s_cmp_ge_u32 s7, s5
	s_cselect_b32 s6, s8, s6
	s_cselect_b32 s7, s9, s7
	s_add_i32 s8, s6, 1
	s_cmp_ge_u32 s7, s5
	s_cselect_b32 s5, s8, s6
	s_abs_i32 s33, s22
	s_abs_i32 s22, s4
	v_cvt_f32_u32_e32 v1, s33
	v_cvt_f32_u32_e32 v2, s22
	v_rcp_iflag_f32_e32 v1, v1
	v_rcp_iflag_f32_e32 v2, v2
	v_mul_f32_e32 v1, 0x4f7ffffe, v1
	v_mul_f32_e32 v2, 0x4f7ffffe, v2
	v_cvt_u32_f32_e32 v1, v1
	v_cvt_u32_f32_e32 v2, v2
	v_readfirstlane_b32 s7, v1
	v_readfirstlane_b32 s6, v2
	s_and_saveexec_b64 s[8:9], vcc
	s_cbranch_execz .LBB9_16
; %bb.1:
	s_load_dwordx8 s[52:59], s[0:1], 0x0
	s_load_dwordx2 s[34:35], s[0:1], 0x20
	s_load_dwordx8 s[36:43], s[0:1], 0xc0
	s_waitcnt lgkmcnt(0)
	s_ashr_i32 s43, s2, 31
	s_ashr_i32 s8, s23, 31
	s_xor_b32 s8, s43, s8
	s_xor_b32 s5, s5, s8
	s_sub_i32 s62, s5, s8
	s_sub_i32 s5, 0, s33
	s_mul_i32 s5, s5, s7
	s_mul_hi_u32 s5, s7, s5
	s_abs_i32 s64, s62
	s_add_i32 s7, s7, s5
	s_mul_hi_u32 s65, s64, s7
	s_ashr_i32 s66, s4, 31
	s_sub_i32 s4, 0, s22
	s_mul_i32 s4, s4, s6
	s_mul_i32 s65, s65, s33
	s_ashr_i32 s63, s62, 31
	s_mul_hi_u32 s4, s6, s4
	s_mul_i32 s62, s62, s23
	s_sub_i32 s23, s64, s65
	s_add_i32 s6, s6, s4
	s_sub_i32 s2, s2, s62
	s_sub_i32 s62, s23, s33
	s_cmp_ge_u32 s23, s33
	s_cselect_b32 s23, s62, s23
	s_sub_i32 s62, s23, s33
	s_mul_hi_u32 s67, s3, s6
	s_cmp_ge_u32 s23, s33
	s_cselect_b32 s23, s62, s23
	s_xor_b32 s33, s43, s66
	s_mul_i32 s43, s67, s22
	s_xor_b32 s23, s23, s63
	s_sub_i32 s3, s3, s43
	s_sub_i32 s23, s23, s63
	s_add_i32 s43, s67, 1
	s_sub_i32 s62, s3, s22
	s_cmp_ge_u32 s3, s22
	s_cselect_b32 s43, s43, s67
	s_cselect_b32 s3, s62, s3
	s_add_i32 s62, s43, 1
	s_cmp_ge_u32 s3, s22
	s_load_dwordx16 s[4:19], s[0:1], 0x28
	s_load_dwordx2 s[60:61], s[0:1], 0x98
	s_load_dwordx4 s[28:31], s[0:1], 0x88
	s_load_dwordx8 s[44:51], s[0:1], 0x68
	s_cselect_b32 s3, s62, s43
	s_xor_b32 s3, s3, s33
	s_ashr_i32 s22, s23, 31
	s_sub_i32 s3, s3, s33
	s_waitcnt lgkmcnt(0)
	s_mul_i32 s33, s12, s22
	s_mul_hi_u32 s43, s12, s23
	s_add_i32 s33, s43, s33
	s_mul_i32 s13, s13, s23
	s_add_i32 s33, s33, s13
	s_ashr_i32 s13, s3, 31
	s_mul_i32 s43, s10, s13
	s_mul_hi_u32 s62, s10, s3
	s_add_i32 s43, s62, s43
	s_mul_i32 s11, s11, s3
	s_mul_i32 s12, s12, s23
	s_add_i32 s43, s43, s11
	s_add_u32 s11, s52, s12
	s_mul_i32 s10, s10, s3
	s_addc_u32 s12, s53, s33
	s_add_u32 s33, s11, s10
	s_mul_i32 s10, s46, s13
	s_mul_hi_u32 s11, s46, s3
	s_addc_u32 s43, s12, s43
	s_add_i32 s10, s11, s10
	s_mul_i32 s11, s47, s3
	s_add_i32 s47, s10, s11
	s_ashr_i32 s10, s2, 31
	s_mul_i32 s11, s44, s10
	s_mul_hi_u32 s12, s44, s2
	s_add_i32 s11, s12, s11
	s_mul_i32 s12, s45, s2
	s_add_i32 s45, s11, s12
	s_mul_i32 s11, s60, s22
	s_mul_i32 s13, s30, s13
	s_mul_hi_u32 s22, s30, s3
	s_add_i32 s13, s22, s13
	s_mul_i32 s22, s31, s3
	s_mul_hi_u32 s12, s60, s23
	s_add_i32 s13, s13, s22
	s_mul_i32 s10, s28, s10
	s_mul_hi_u32 s22, s28, s2
	s_add_i32 s11, s12, s11
	s_mul_i32 s12, s61, s23
	s_add_i32 s10, s22, s10
	s_mul_i32 s22, s29, s2
	s_add_i32 s11, s11, s12
	;; [unrolled: 2-line block ×3, first 2 shown]
	s_add_u32 s12, s34, s12
	s_mul_i32 s46, s46, s3
	s_mul_i32 s3, s30, s3
	s_addc_u32 s11, s35, s11
	s_add_u32 s3, s12, s3
	s_mul_i32 s44, s44, s2
	s_mul_i32 s2, s28, s2
	s_addc_u32 s11, s11, s13
	s_add_u32 s34, s3, s2
	s_addc_u32 s35, s11, s10
	s_cmp_gt_i32 s24, 0
	s_cselect_b64 s[2:3], -1, 0
	s_cmp_gt_i32 s41, 0
	s_cselect_b64 s[10:11], -1, 0
	;; [unrolled: 2-line block ×3, first 2 shown]
	s_abs_i32 s60, s26
	v_cvt_f32_u32_e32 v1, s60
	s_load_dword s0, s[0:1], 0xec
	v_cmp_neq_f64_e64 s[28:29], s[56:57], 1.0
	v_cmp_neq_f64_e64 s[30:31], s[58:59], 0
	v_rcp_iflag_f32_e32 v2, v1
	s_or_b64 s[28:29], s[28:29], s[30:31]
	v_cvt_i32_f64_e32 v1, s[56:57]
	s_waitcnt lgkmcnt(0)
	s_and_b32 s56, s0, 0xffff
	v_mul_f32_e32 v2, 0x4f7ffffe, v2
	v_cvt_u32_f32_e32 v2, v2
	s_ashr_i32 s57, s26, 31
	s_sub_i32 s0, 0, s60
	s_mov_b64 s[22:23], 0
	v_mul_lo_u32 v3, s0, v2
	s_add_u32 s0, s44, s46
	s_addc_u32 s1, s45, s47
	v_mul_hi_u32 v3, v2, v3
	s_add_u32 s30, s54, s0
	v_cvt_i32_f64_e32 v8, s[58:59]
	v_add_u32_e32 v9, v2, v3
	v_mov_b32_e32 v10, 0
	s_addc_u32 s31, s55, s1
	v_mov_b64_e32 v[2:3], s[34:35]
	s_branch .LBB9_3
.LBB9_2:                                ;   in Loop: Header=BB9_3 Depth=1
	v_add_u32_e32 v0, s56, v0
	v_cmp_le_i32_e32 vcc, s25, v0
	s_or_b64 s[22:23], vcc, s[22:23]
	global_store_byte v[6:7], v4, off
	s_andn2_b64 exec, exec, s[22:23]
	s_cbranch_execz .LBB9_16
.LBB9_3:                                ; =>This Loop Header: Depth=1
                                        ;     Child Loop BB9_6 Depth 2
                                        ;       Child Loop BB9_9 Depth 3
                                        ;         Child Loop BB9_12 Depth 4
	v_sub_u32_e32 v5, 0, v0
	v_max_i32_e32 v5, v0, v5
	v_mul_hi_u32 v6, v5, v9
	v_mul_lo_u32 v7, v6, s60
	v_sub_u32_e32 v5, v5, v7
	v_add_u32_e32 v7, 1, v6
	v_cmp_le_u32_e32 vcc, s60, v5
	v_ashrrev_i32_e32 v4, 31, v0
	v_xor_b32_e32 v4, s57, v4
	v_cndmask_b32_e32 v6, v6, v7, vcc
	v_subrev_u32_e32 v7, s60, v5
	v_cndmask_b32_e32 v5, v5, v7, vcc
	v_add_u32_e32 v7, 1, v6
	v_cmp_le_u32_e32 vcc, s60, v5
	s_mov_b32 s58, 0
	s_nop 0
	v_cndmask_b32_e32 v5, v6, v7, vcc
	v_xor_b32_e32 v5, v5, v4
	v_sub_u32_e32 v5, v5, v4
	v_mul_lo_u32 v4, v5, s26
	v_sub_u32_e32 v11, v0, v4
	s_andn2_b64 vcc, exec, s[2:3]
	v_mov_b32_e32 v4, 0
	s_cbranch_vccnz .LBB9_14
; %bb.4:                                ;   in Loop: Header=BB9_3 Depth=1
	v_mul_lo_u32 v4, v5, s27
	v_subrev_u32_e32 v12, s39, v4
	v_mul_lo_u32 v4, v11, s36
	v_subrev_u32_e32 v13, s40, v4
	v_mov_b32_e32 v4, 0
	s_mov_b64 s[34:35], s[30:31]
	s_branch .LBB9_6
.LBB9_5:                                ;   in Loop: Header=BB9_6 Depth=2
	s_add_i32 s58, s58, 1
	s_add_u32 s34, s34, s18
	s_addc_u32 s35, s35, s19
	s_cmp_eq_u32 s58, s24
	s_cbranch_scc1 .LBB9_14
.LBB9_6:                                ;   Parent Loop BB9_3 Depth=1
                                        ; =>  This Loop Header: Depth=2
                                        ;       Child Loop BB9_9 Depth 3
                                        ;         Child Loop BB9_12 Depth 4
	s_andn2_b64 vcc, exec, s[10:11]
	s_cbranch_vccnz .LBB9_5
; %bb.7:                                ;   in Loop: Header=BB9_6 Depth=2
	s_mul_i32 s0, s9, s58
	s_mul_hi_u32 s1, s8, s58
	s_add_i32 s1, s1, s0
	s_mul_i32 s0, s8, s58
	s_add_u32 s44, s33, s0
	s_addc_u32 s45, s43, s1
	s_mov_b32 s59, 0
	s_mov_b64 s[46:47], s[34:35]
	s_branch .LBB9_9
.LBB9_8:                                ;   in Loop: Header=BB9_9 Depth=3
	s_add_i32 s59, s59, 1
	s_add_u32 s46, s46, s16
	s_addc_u32 s47, s47, s17
	s_cmp_eq_u32 s59, s41
	s_cbranch_scc1 .LBB9_5
.LBB9_9:                                ;   Parent Loop BB9_3 Depth=1
                                        ;     Parent Loop BB9_6 Depth=2
                                        ; =>    This Loop Header: Depth=3
                                        ;         Child Loop BB9_12 Depth 4
	s_andn2_b64 vcc, exec, s[12:13]
	s_cbranch_vccnz .LBB9_8
; %bb.10:                               ;   in Loop: Header=BB9_9 Depth=3
	s_mul_i32 s0, s59, s37
	v_add_u32_e32 v15, s0, v12
	v_cmp_gt_i32_e32 vcc, 0, v15
	v_cmp_le_i32_e64 s[0:1], s20, v15
	v_mov_b64_e32 v[6:7], s[44:45]
	s_or_b64 s[52:53], vcc, s[0:1]
	v_mad_u64_u32 v[6:7], s[0:1], s6, v15, v[6:7]
	v_mov_b32_e32 v14, v7
	v_mad_u64_u32 v[14:15], s[0:1], s7, v15, v[14:15]
	v_mov_b32_e32 v7, v14
	v_mov_b32_e32 v14, v13
	s_mov_b64 s[54:55], s[46:47]
	s_mov_b32 s61, s42
	s_branch .LBB9_12
.LBB9_11:                               ;   in Loop: Header=BB9_12 Depth=4
	s_or_b64 exec, exec, s[0:1]
	s_add_i32 s61, s61, -1
	s_add_u32 s54, s54, s14
	s_addc_u32 s55, s55, s15
	s_cmp_eq_u32 s61, 0
	v_add_u32_e32 v14, s38, v14
	s_cbranch_scc1 .LBB9_8
.LBB9_12:                               ;   Parent Loop BB9_3 Depth=1
                                        ;     Parent Loop BB9_6 Depth=2
                                        ;       Parent Loop BB9_9 Depth=3
                                        ; =>      This Inner Loop Header: Depth=4
	v_cmp_gt_i32_e32 vcc, 0, v14
	v_cmp_le_i32_e64 s[0:1], s21, v14
	s_or_b64 s[0:1], vcc, s[0:1]
	s_or_b64 s[0:1], s[52:53], s[0:1]
	s_xor_b64 s[62:63], s[0:1], -1
	s_and_saveexec_b64 s[0:1], s[62:63]
	s_cbranch_execz .LBB9_11
; %bb.13:                               ;   in Loop: Header=BB9_12 Depth=4
	v_mad_u64_u32 v[16:17], s[62:63], s4, v14, v[6:7]
	v_mov_b32_e32 v18, v17
	v_mad_u64_u32 v[18:19], s[62:63], s5, v14, v[18:19]
	v_mov_b32_e32 v17, v18
	global_load_ubyte v15, v[16:17], off
	s_nop 0
	global_load_ubyte v16, v10, s[54:55]
	s_waitcnt vmcnt(0)
	v_mad_u32_u24 v4, v16, v15, v4
	s_branch .LBB9_11
.LBB9_14:                               ;   in Loop: Header=BB9_3 Depth=1
	v_ashrrev_i32_e32 v13, 31, v11
	v_mad_u64_u32 v[6:7], s[0:1], s48, v11, v[2:3]
	v_mul_lo_u32 v11, s49, v11
	v_mul_lo_u32 v13, s48, v13
	v_ashrrev_i32_e32 v12, 31, v5
	v_add3_u32 v7, v11, v7, v13
	v_mad_u64_u32 v[6:7], s[0:1], s50, v5, v[6:7]
	v_mul_lo_u32 v5, s51, v5
	v_mul_lo_u32 v11, s50, v12
	s_andn2_b64 vcc, exec, s[28:29]
	v_add3_u32 v7, v5, v7, v11
	s_cbranch_vccnz .LBB9_2
; %bb.15:                               ;   in Loop: Header=BB9_3 Depth=1
	global_load_ubyte v5, v[6:7], off
	v_mul_lo_u32 v4, v4, v1
	s_waitcnt vmcnt(0)
	v_mad_u64_u32 v[4:5], s[0:1], v5, v8, v[4:5]
	s_branch .LBB9_2
.LBB9_16:
	s_endpgm
	.section	.rodata,"a",@progbits
	.p2align	6, 0x0
	.amdhsa_kernel naive_conv_ab_nonpacked_fwd_nchw_int8_t_int32_t_int8_t_0
		.amdhsa_group_segment_fixed_size 0
		.amdhsa_private_segment_fixed_size 0
		.amdhsa_kernarg_size 480
		.amdhsa_user_sgpr_count 2
		.amdhsa_user_sgpr_dispatch_ptr 0
		.amdhsa_user_sgpr_queue_ptr 0
		.amdhsa_user_sgpr_kernarg_segment_ptr 1
		.amdhsa_user_sgpr_dispatch_id 0
		.amdhsa_user_sgpr_kernarg_preload_length 0
		.amdhsa_user_sgpr_kernarg_preload_offset 0
		.amdhsa_user_sgpr_private_segment_size 0
		.amdhsa_uses_dynamic_stack 0
		.amdhsa_enable_private_segment 0
		.amdhsa_system_sgpr_workgroup_id_x 1
		.amdhsa_system_sgpr_workgroup_id_y 0
		.amdhsa_system_sgpr_workgroup_id_z 0
		.amdhsa_system_sgpr_workgroup_info 0
		.amdhsa_system_vgpr_workitem_id 0
		.amdhsa_next_free_vgpr 20
		.amdhsa_next_free_sgpr 68
		.amdhsa_accum_offset 20
		.amdhsa_reserve_vcc 1
		.amdhsa_float_round_mode_32 0
		.amdhsa_float_round_mode_16_64 0
		.amdhsa_float_denorm_mode_32 3
		.amdhsa_float_denorm_mode_16_64 3
		.amdhsa_dx10_clamp 1
		.amdhsa_ieee_mode 1
		.amdhsa_fp16_overflow 0
		.amdhsa_tg_split 0
		.amdhsa_exception_fp_ieee_invalid_op 0
		.amdhsa_exception_fp_denorm_src 0
		.amdhsa_exception_fp_ieee_div_zero 0
		.amdhsa_exception_fp_ieee_overflow 0
		.amdhsa_exception_fp_ieee_underflow 0
		.amdhsa_exception_fp_ieee_inexact 0
		.amdhsa_exception_int_div_zero 0
	.end_amdhsa_kernel
	.text
.Lfunc_end9:
	.size	naive_conv_ab_nonpacked_fwd_nchw_int8_t_int32_t_int8_t_0, .Lfunc_end9-naive_conv_ab_nonpacked_fwd_nchw_int8_t_int32_t_int8_t_0
                                        ; -- End function
	.section	.AMDGPU.csdata,"",@progbits
; Kernel info:
; codeLenInByte = 1364
; NumSgprs: 74
; NumVgprs: 20
; NumAgprs: 0
; TotalNumVgprs: 20
; ScratchSize: 0
; MemoryBound: 0
; FloatMode: 240
; IeeeMode: 1
; LDSByteSize: 0 bytes/workgroup (compile time only)
; SGPRBlocks: 9
; VGPRBlocks: 2
; NumSGPRsForWavesPerEU: 74
; NumVGPRsForWavesPerEU: 20
; AccumOffset: 20
; Occupancy: 8
; WaveLimiterHint : 0
; COMPUTE_PGM_RSRC2:SCRATCH_EN: 0
; COMPUTE_PGM_RSRC2:USER_SGPR: 2
; COMPUTE_PGM_RSRC2:TRAP_HANDLER: 0
; COMPUTE_PGM_RSRC2:TGID_X_EN: 1
; COMPUTE_PGM_RSRC2:TGID_Y_EN: 0
; COMPUTE_PGM_RSRC2:TGID_Z_EN: 0
; COMPUTE_PGM_RSRC2:TIDIG_COMP_CNT: 0
; COMPUTE_PGM_RSRC3_GFX90A:ACCUM_OFFSET: 4
; COMPUTE_PGM_RSRC3_GFX90A:TG_SPLIT: 0
	.text
	.protected	naive_conv_ab_packed_fwd_nchw_int8_t_int32_t_int32_t_0 ; -- Begin function naive_conv_ab_packed_fwd_nchw_int8_t_int32_t_int32_t_0
	.globl	naive_conv_ab_packed_fwd_nchw_int8_t_int32_t_int32_t_0
	.p2align	8
	.type	naive_conv_ab_packed_fwd_nchw_int8_t_int32_t_int32_t_0,@function
naive_conv_ab_packed_fwd_nchw_int8_t_int32_t_int32_t_0: ; @naive_conv_ab_packed_fwd_nchw_int8_t_int32_t_int32_t_0
; %bb.0:
	s_load_dwordx16 s[4:19], s[0:1], 0xa0
	s_abs_i32 s3, s2
	s_waitcnt lgkmcnt(0)
	s_abs_i32 s20, s7
	v_cvt_f32_u32_e32 v1, s20
	s_sub_i32 s21, 0, s20
	s_mul_i32 s29, s7, s6
	s_mul_i32 s33, s10, s9
	v_rcp_iflag_f32_e32 v1, v1
	v_cmp_gt_i32_e32 vcc, s33, v0
	v_mul_f32_e32 v1, 0x4f7ffffe, v1
	v_cvt_u32_f32_e32 v1, v1
	s_nop 0
	v_readfirstlane_b32 s22, v1
	s_mul_i32 s21, s21, s22
	s_mul_hi_u32 s21, s22, s21
	s_add_i32 s22, s22, s21
	s_mul_hi_u32 s21, s3, s22
	s_mul_i32 s22, s21, s20
	s_sub_i32 s22, s3, s22
	s_add_i32 s23, s21, 1
	s_sub_i32 s24, s22, s20
	s_cmp_ge_u32 s22, s20
	s_cselect_b32 s21, s23, s21
	s_cselect_b32 s22, s24, s22
	s_add_i32 s23, s21, 1
	s_cmp_ge_u32 s22, s20
	s_cselect_b32 s30, s23, s21
	s_abs_i32 s28, s6
	s_abs_i32 s6, s29
	v_cvt_f32_u32_e32 v1, s28
	v_cvt_f32_u32_e32 v2, s6
	v_rcp_iflag_f32_e32 v1, v1
	v_rcp_iflag_f32_e32 v2, v2
	v_mul_f32_e32 v1, 0x4f7ffffe, v1
	v_mul_f32_e32 v2, 0x4f7ffffe, v2
	v_cvt_u32_f32_e32 v1, v1
	v_cvt_u32_f32_e32 v2, v2
	v_readfirstlane_b32 s34, v1
	v_readfirstlane_b32 s31, v2
	s_and_saveexec_b64 s[20:21], vcc
	s_cbranch_execz .LBB10_18
; %bb.1:
	s_ashr_i32 s35, s2, 31
	s_ashr_i32 s36, s7, 31
	s_xor_b32 s36, s35, s36
	s_sub_i32 s38, 0, s28
	s_xor_b32 s30, s30, s36
	s_mul_i32 s38, s38, s34
	s_sub_i32 s30, s30, s36
	s_mul_hi_u32 s38, s34, s38
	s_abs_i32 s37, s30
	s_add_i32 s34, s34, s38
	s_mul_hi_u32 s34, s37, s34
	s_sub_i32 s38, 0, s6
	s_ashr_i32 s36, s30, 31
	s_mul_i32 s38, s38, s31
	s_mul_i32 s30, s30, s7
	;; [unrolled: 1-line block ×3, first 2 shown]
	s_mul_hi_u32 s38, s31, s38
	s_sub_i32 s30, s2, s30
	s_sub_i32 s2, s37, s34
	s_ashr_i32 s29, s29, 31
	s_add_i32 s31, s31, s38
	s_sub_i32 s34, s2, s28
	s_cmp_ge_u32 s2, s28
	s_cselect_b32 s2, s34, s2
	s_sub_i32 s34, s2, s28
	s_cmp_ge_u32 s2, s28
	s_cselect_b32 s2, s34, s2
	s_mul_hi_u32 s31, s3, s31
	s_xor_b32 s2, s2, s36
	s_sub_i32 s28, s2, s36
	s_xor_b32 s2, s35, s29
	s_mul_i32 s29, s31, s6
	s_sub_i32 s3, s3, s29
	s_add_i32 s29, s31, 1
	s_sub_i32 s34, s3, s6
	s_cmp_ge_u32 s3, s6
	s_cselect_b32 s29, s29, s31
	s_cselect_b32 s3, s34, s3
	s_add_i32 s31, s29, 1
	s_cmp_ge_u32 s3, s6
	s_cselect_b32 s3, s31, s29
	s_xor_b32 s3, s3, s2
	s_mul_i32 s38, s19, s7
	s_mul_i32 s19, s19, s8
	s_sub_i32 s6, s3, s2
	s_mul_hi_i32 s2, s28, s19
	s_mul_i32 s3, s28, s19
	s_ashr_i32 s19, s4, 31
	s_ashr_i32 s43, s5, 31
	;; [unrolled: 1-line block ×3, first 2 shown]
	s_mul_i32 s31, s6, s8
	s_load_dwordx8 s[20:27], s[0:1], 0x0
	s_mul_hi_i32 s29, s6, s8
	s_add_u32 s3, s31, s3
	s_mov_b32 s42, s4
	s_addc_u32 s2, s29, s2
	s_mul_hi_i32 s29, s5, s4
	s_mul_i32 s4, s5, s4
	s_mov_b32 s44, s5
	s_mul_i32 s2, s4, s2
	s_mul_hi_u32 s5, s4, s3
	s_add_i32 s2, s5, s2
	s_mul_i32 s29, s29, s3
	s_add_i32 s5, s2, s29
	s_mul_i32 s4, s4, s3
	s_waitcnt lgkmcnt(0)
	s_add_u32 s2, s20, s4
	s_addc_u32 s3, s21, s5
	s_mul_hi_i32 s4, s6, s7
	s_mul_i32 s6, s6, s7
	s_ashr_i32 s45, s18, 31
	s_ashr_i32 s5, s30, 31
	s_add_u32 s37, s6, s30
	s_addc_u32 s39, s4, s5
	s_mul_hi_i32 s4, s28, s38
	s_mul_i32 s28, s28, s38
	s_ashr_i32 s46, s10, 31
	s_add_u32 s6, s37, s28
	s_addc_u32 s4, s39, s4
	s_mul_hi_i32 s5, s10, s9
	s_mul_i32 s4, s33, s4
	s_mul_hi_u32 s7, s33, s6
	s_add_i32 s7, s7, s4
	s_mul_i32 s9, s5, s6
	s_load_dwordx2 s[4:5], s[0:1], 0x20
	s_load_dword s38, s[0:1], 0xec
	s_add_i32 s7, s7, s9
	s_mul_i32 s6, s33, s6
	s_lshl_b64 s[6:7], s[6:7], 2
	s_waitcnt lgkmcnt(0)
	s_add_u32 s4, s4, s6
	s_addc_u32 s5, s5, s7
	s_cmp_gt_i32 s8, 0
	s_cselect_b64 s[6:7], -1, 0
	s_cmp_gt_i32 s17, 0
	s_cselect_b64 s[20:21], -1, 0
	;; [unrolled: 2-line block ×3, first 2 shown]
	s_abs_i32 s9, s10
	v_cvt_f32_u32_e32 v1, s9
	v_cmp_neq_f64_e64 s[0:1], s[24:25], 1.0
	v_cmp_neq_f64_e64 s[34:35], s[26:27], 0
	s_or_b64 s[34:35], s[0:1], s[34:35]
	v_rcp_iflag_f32_e32 v2, v1
	s_sub_i32 s0, 0, s9
	s_mul_i32 s49, s18, s17
	s_mov_b32 s47, s17
	v_mul_f32_e32 v2, 0x4f7ffffe, v2
	v_cvt_u32_f32_e32 v2, v2
	s_mul_hi_u32 s1, s49, s37
	s_mul_hi_i32 s17, s18, s17
	v_cvt_i32_f64_e32 v1, s[24:25]
	v_mul_lo_u32 v3, s0, v2
	s_mul_i32 s0, s49, s39
	s_add_i32 s0, s1, s0
	s_mul_i32 s1, s17, s37
	s_add_i32 s0, s0, s1
	s_mul_i32 s1, s49, s37
	s_mul_i32 s24, s1, s36
	s_mul_hi_u32 s25, s1, s8
	s_add_i32 s24, s25, s24
	s_mul_i32 s0, s0, s8
	s_and_b32 s48, s38, 0xffff
	s_add_i32 s24, s24, s0
	s_mul_i32 s1, s1, s8
	v_mul_hi_u32 v3, v2, v3
	s_add_u32 s22, s22, s1
	s_mov_b64 s[30:31], 0
	v_cvt_i32_f64_e32 v8, s[26:27]
	v_add_u32_e32 v9, v2, v3
	v_mov_b32_e32 v3, 0
	s_addc_u32 s23, s23, s24
	s_branch .LBB10_3
.LBB10_2:                               ;   in Loop: Header=BB10_3 Depth=1
	v_add_u32_e32 v0, s48, v0
	v_cmp_le_i32_e32 vcc, s33, v0
	s_or_b64 s[30:31], vcc, s[30:31]
	s_andn2_b64 exec, exec, s[30:31]
	s_cbranch_execz .LBB10_18
.LBB10_3:                               ; =>This Loop Header: Depth=1
                                        ;     Child Loop BB10_6 Depth 2
                                        ;       Child Loop BB10_9 Depth 3
                                        ;         Child Loop BB10_12 Depth 4
	v_sub_u32_e32 v4, 0, v0
	v_max_i32_e32 v4, v0, v4
	v_mul_hi_u32 v5, v4, v9
	v_mul_lo_u32 v6, v5, s9
	v_sub_u32_e32 v4, v4, v6
	v_add_u32_e32 v6, 1, v5
	v_cmp_le_u32_e32 vcc, s9, v4
	v_ashrrev_i32_e32 v2, 31, v0
	v_xor_b32_e32 v2, s46, v2
	v_cndmask_b32_e32 v5, v5, v6, vcc
	v_subrev_u32_e32 v6, s9, v4
	v_cndmask_b32_e32 v4, v4, v6, vcc
	v_add_u32_e32 v6, 1, v5
	v_cmp_le_u32_e32 vcc, s9, v4
	s_mov_b32 s50, 0
	v_mov_b32_e32 v10, v3
	v_cndmask_b32_e32 v4, v5, v6, vcc
	v_xor_b32_e32 v4, v4, v2
	v_sub_u32_e32 v11, v4, v2
	v_mul_lo_u32 v2, v11, s10
	v_sub_u32_e32 v4, v0, v2
	s_andn2_b64 vcc, exec, s[6:7]
	s_cbranch_vccnz .LBB10_14
; %bb.4:                                ;   in Loop: Header=BB10_3 Depth=1
	v_mul_lo_u32 v2, v11, s11
	v_subrev_u32_e32 v5, s15, v2
	v_mul_lo_u32 v2, v4, s12
	v_subrev_u32_e32 v12, s16, v2
	v_mov_b32_e32 v10, 0
	s_mov_b64 s[24:25], s[22:23]
	s_branch .LBB10_6
.LBB10_5:                               ;   in Loop: Header=BB10_6 Depth=2
	s_add_i32 s50, s50, 1
	s_add_u32 s24, s24, s49
	s_addc_u32 s25, s25, s17
	s_cmp_eq_u32 s50, s8
	s_cbranch_scc1 .LBB10_14
.LBB10_6:                               ;   Parent Loop BB10_3 Depth=1
                                        ; =>  This Loop Header: Depth=2
                                        ;       Child Loop BB10_9 Depth 3
                                        ;         Child Loop BB10_12 Depth 4
	s_andn2_b64 vcc, exec, s[20:21]
	s_cbranch_vccnz .LBB10_5
; %bb.7:                                ;   in Loop: Header=BB10_6 Depth=2
	s_mul_i32 s0, s50, s19
	s_mul_hi_u32 s1, s50, s42
	s_add_i32 s27, s1, s0
	s_mul_i32 s26, s50, s42
	s_mov_b32 s51, 0
	s_mov_b64 s[36:37], s[24:25]
	s_branch .LBB10_9
.LBB10_8:                               ;   in Loop: Header=BB10_9 Depth=3
	s_add_i32 s51, s51, 1
	s_add_u32 s36, s36, s18
	s_addc_u32 s37, s37, s45
	s_cmp_eq_u32 s51, s47
	s_cbranch_scc1 .LBB10_5
.LBB10_9:                               ;   Parent Loop BB10_3 Depth=1
                                        ;     Parent Loop BB10_6 Depth=2
                                        ; =>    This Loop Header: Depth=3
                                        ;         Child Loop BB10_12 Depth 4
	s_andn2_b64 vcc, exec, s[28:29]
	s_cbranch_vccnz .LBB10_8
; %bb.10:                               ;   in Loop: Header=BB10_9 Depth=3
	s_mul_i32 s0, s51, s13
	v_add_u32_e32 v2, s0, v5
	v_cmp_gt_i32_e32 vcc, 0, v2
	v_cmp_le_i32_e64 s[0:1], s42, v2
	v_lshl_add_u64 v[6:7], s[26:27], 0, v[2:3]
	v_mov_b64_e32 v[14:15], s[2:3]
	s_or_b64 s[38:39], vcc, s[0:1]
	v_mul_lo_u32 v2, v6, s43
	v_mul_lo_u32 v13, v7, s44
	v_mad_u64_u32 v[6:7], s[0:1], v6, s44, v[14:15]
	v_add3_u32 v7, v13, v7, v2
	v_mov_b32_e32 v2, v12
	s_mov_b64 s[40:41], s[36:37]
	s_mov_b32 s52, s18
	s_branch .LBB10_12
.LBB10_11:                              ;   in Loop: Header=BB10_12 Depth=4
	s_or_b64 exec, exec, s[0:1]
	s_add_i32 s52, s52, -1
	s_add_u32 s40, s40, 1
	s_addc_u32 s41, s41, 0
	s_cmp_eq_u32 s52, 0
	v_add_u32_e32 v2, s14, v2
	s_cbranch_scc1 .LBB10_8
.LBB10_12:                              ;   Parent Loop BB10_3 Depth=1
                                        ;     Parent Loop BB10_6 Depth=2
                                        ;       Parent Loop BB10_9 Depth=3
                                        ; =>      This Inner Loop Header: Depth=4
	v_cmp_gt_i32_e32 vcc, 0, v2
	v_cmp_le_i32_e64 s[0:1], s44, v2
	s_or_b64 s[0:1], vcc, s[0:1]
	s_or_b64 s[0:1], s[38:39], s[0:1]
	s_xor_b64 s[54:55], s[0:1], -1
	s_and_saveexec_b64 s[0:1], s[54:55]
	s_cbranch_execz .LBB10_11
; %bb.13:                               ;   in Loop: Header=BB10_12 Depth=4
	v_lshl_add_u64 v[14:15], v[6:7], 0, v[2:3]
	global_load_sbyte v13, v[14:15], off
	s_nop 0
	global_load_sbyte v14, v3, s[40:41]
	s_waitcnt vmcnt(0)
	v_mad_i32_i24 v10, v14, v13, v10
	s_branch .LBB10_11
.LBB10_14:                              ;   in Loop: Header=BB10_3 Depth=1
	v_ashrrev_i32_e32 v5, 31, v4
	v_mad_i64_i32 v[4:5], s[0:1], v11, s10, v[4:5]
	s_mov_b64 s[0:1], -1
	s_and_b64 vcc, exec, s[34:35]
	s_cbranch_vccz .LBB10_16
; %bb.15:                               ;   in Loop: Header=BB10_3 Depth=1
	v_lshl_add_u64 v[6:7], v[4:5], 2, s[4:5]
	global_load_dword v11, v[6:7], off
	v_mul_lo_u32 v2, v10, v1
	s_waitcnt vmcnt(0)
	v_mad_u64_u32 v[12:13], s[0:1], v11, v8, v[2:3]
	global_store_dword v[6:7], v12, off
	s_mov_b64 s[0:1], 0
.LBB10_16:                              ;   in Loop: Header=BB10_3 Depth=1
	s_andn2_b64 vcc, exec, s[0:1]
	s_cbranch_vccnz .LBB10_2
; %bb.17:                               ;   in Loop: Header=BB10_3 Depth=1
	v_lshl_add_u64 v[4:5], v[4:5], 2, s[4:5]
	global_store_dword v[4:5], v10, off
	s_branch .LBB10_2
.LBB10_18:
	s_endpgm
	.section	.rodata,"a",@progbits
	.p2align	6, 0x0
	.amdhsa_kernel naive_conv_ab_packed_fwd_nchw_int8_t_int32_t_int32_t_0
		.amdhsa_group_segment_fixed_size 0
		.amdhsa_private_segment_fixed_size 0
		.amdhsa_kernarg_size 480
		.amdhsa_user_sgpr_count 2
		.amdhsa_user_sgpr_dispatch_ptr 0
		.amdhsa_user_sgpr_queue_ptr 0
		.amdhsa_user_sgpr_kernarg_segment_ptr 1
		.amdhsa_user_sgpr_dispatch_id 0
		.amdhsa_user_sgpr_kernarg_preload_length 0
		.amdhsa_user_sgpr_kernarg_preload_offset 0
		.amdhsa_user_sgpr_private_segment_size 0
		.amdhsa_uses_dynamic_stack 0
		.amdhsa_enable_private_segment 0
		.amdhsa_system_sgpr_workgroup_id_x 1
		.amdhsa_system_sgpr_workgroup_id_y 0
		.amdhsa_system_sgpr_workgroup_id_z 0
		.amdhsa_system_sgpr_workgroup_info 0
		.amdhsa_system_vgpr_workitem_id 0
		.amdhsa_next_free_vgpr 16
		.amdhsa_next_free_sgpr 56
		.amdhsa_accum_offset 16
		.amdhsa_reserve_vcc 1
		.amdhsa_float_round_mode_32 0
		.amdhsa_float_round_mode_16_64 0
		.amdhsa_float_denorm_mode_32 3
		.amdhsa_float_denorm_mode_16_64 3
		.amdhsa_dx10_clamp 1
		.amdhsa_ieee_mode 1
		.amdhsa_fp16_overflow 0
		.amdhsa_tg_split 0
		.amdhsa_exception_fp_ieee_invalid_op 0
		.amdhsa_exception_fp_denorm_src 0
		.amdhsa_exception_fp_ieee_div_zero 0
		.amdhsa_exception_fp_ieee_overflow 0
		.amdhsa_exception_fp_ieee_underflow 0
		.amdhsa_exception_fp_ieee_inexact 0
		.amdhsa_exception_int_div_zero 0
	.end_amdhsa_kernel
	.text
.Lfunc_end10:
	.size	naive_conv_ab_packed_fwd_nchw_int8_t_int32_t_int32_t_0, .Lfunc_end10-naive_conv_ab_packed_fwd_nchw_int8_t_int32_t_int32_t_0
                                        ; -- End function
	.section	.AMDGPU.csdata,"",@progbits
; Kernel info:
; codeLenInByte = 1288
; NumSgprs: 62
; NumVgprs: 16
; NumAgprs: 0
; TotalNumVgprs: 16
; ScratchSize: 0
; MemoryBound: 0
; FloatMode: 240
; IeeeMode: 1
; LDSByteSize: 0 bytes/workgroup (compile time only)
; SGPRBlocks: 7
; VGPRBlocks: 1
; NumSGPRsForWavesPerEU: 62
; NumVGPRsForWavesPerEU: 16
; AccumOffset: 16
; Occupancy: 8
; WaveLimiterHint : 0
; COMPUTE_PGM_RSRC2:SCRATCH_EN: 0
; COMPUTE_PGM_RSRC2:USER_SGPR: 2
; COMPUTE_PGM_RSRC2:TRAP_HANDLER: 0
; COMPUTE_PGM_RSRC2:TGID_X_EN: 1
; COMPUTE_PGM_RSRC2:TGID_Y_EN: 0
; COMPUTE_PGM_RSRC2:TGID_Z_EN: 0
; COMPUTE_PGM_RSRC2:TIDIG_COMP_CNT: 0
; COMPUTE_PGM_RSRC3_GFX90A:ACCUM_OFFSET: 3
; COMPUTE_PGM_RSRC3_GFX90A:TG_SPLIT: 0
	.text
	.protected	naive_conv_ab_nonpacked_fwd_nchw_int8_t_int32_t_int32_t_0 ; -- Begin function naive_conv_ab_nonpacked_fwd_nchw_int8_t_int32_t_int32_t_0
	.globl	naive_conv_ab_nonpacked_fwd_nchw_int8_t_int32_t_int32_t_0
	.p2align	8
	.type	naive_conv_ab_nonpacked_fwd_nchw_int8_t_int32_t_int32_t_0,@function
naive_conv_ab_nonpacked_fwd_nchw_int8_t_int32_t_int32_t_0: ; @naive_conv_ab_nonpacked_fwd_nchw_int8_t_int32_t_int32_t_0
; %bb.0:
	s_load_dwordx8 s[20:27], s[0:1], 0xa0
	s_abs_i32 s3, s2
	s_waitcnt lgkmcnt(0)
	s_abs_i32 s5, s23
	v_cvt_f32_u32_e32 v1, s5
	s_sub_i32 s6, 0, s5
	s_mul_i32 s4, s23, s22
	s_mul_i32 s25, s26, s25
	v_rcp_iflag_f32_e32 v1, v1
	v_cmp_gt_i32_e32 vcc, s25, v0
	v_mul_f32_e32 v1, 0x4f7ffffe, v1
	v_cvt_u32_f32_e32 v1, v1
	s_nop 0
	v_readfirstlane_b32 s7, v1
	s_mul_i32 s6, s6, s7
	s_mul_hi_u32 s6, s7, s6
	s_add_i32 s7, s7, s6
	s_mul_hi_u32 s6, s3, s7
	s_mul_i32 s7, s6, s5
	s_sub_i32 s7, s3, s7
	s_add_i32 s8, s6, 1
	s_sub_i32 s9, s7, s5
	s_cmp_ge_u32 s7, s5
	s_cselect_b32 s6, s8, s6
	s_cselect_b32 s7, s9, s7
	s_add_i32 s8, s6, 1
	s_cmp_ge_u32 s7, s5
	s_cselect_b32 s5, s8, s6
	s_abs_i32 s33, s22
	s_abs_i32 s22, s4
	v_cvt_f32_u32_e32 v1, s33
	v_cvt_f32_u32_e32 v2, s22
	v_rcp_iflag_f32_e32 v1, v1
	v_rcp_iflag_f32_e32 v2, v2
	v_mul_f32_e32 v1, 0x4f7ffffe, v1
	v_mul_f32_e32 v2, 0x4f7ffffe, v2
	v_cvt_u32_f32_e32 v1, v1
	v_cvt_u32_f32_e32 v2, v2
	v_readfirstlane_b32 s7, v1
	v_readfirstlane_b32 s6, v2
	s_and_saveexec_b64 s[8:9], vcc
	s_cbranch_execz .LBB11_18
; %bb.1:
	s_load_dwordx8 s[52:59], s[0:1], 0x0
	s_load_dwordx2 s[34:35], s[0:1], 0x20
	s_load_dwordx8 s[36:43], s[0:1], 0xc0
	s_waitcnt lgkmcnt(0)
	s_ashr_i32 s43, s2, 31
	s_ashr_i32 s8, s23, 31
	s_xor_b32 s8, s43, s8
	s_xor_b32 s5, s5, s8
	s_sub_i32 s62, s5, s8
	s_sub_i32 s5, 0, s33
	s_mul_i32 s5, s5, s7
	s_mul_hi_u32 s5, s7, s5
	s_abs_i32 s64, s62
	s_add_i32 s7, s7, s5
	s_mul_hi_u32 s65, s64, s7
	s_ashr_i32 s66, s4, 31
	s_sub_i32 s4, 0, s22
	s_ashr_i32 s63, s62, 31
	s_mul_i32 s4, s4, s6
	s_mul_i32 s62, s62, s23
	;; [unrolled: 1-line block ×3, first 2 shown]
	s_mul_hi_u32 s4, s6, s4
	s_sub_i32 s23, s2, s62
	s_sub_i32 s2, s64, s65
	s_add_i32 s6, s6, s4
	s_sub_i32 s62, s2, s33
	s_cmp_ge_u32 s2, s33
	s_cselect_b32 s2, s62, s2
	s_sub_i32 s62, s2, s33
	s_mul_hi_u32 s67, s3, s6
	s_cmp_ge_u32 s2, s33
	s_cselect_b32 s2, s62, s2
	s_xor_b32 s33, s43, s66
	s_mul_i32 s43, s67, s22
	s_xor_b32 s2, s2, s63
	s_sub_i32 s3, s3, s43
	s_sub_i32 s2, s2, s63
	s_add_i32 s43, s67, 1
	s_sub_i32 s62, s3, s22
	s_cmp_ge_u32 s3, s22
	s_cselect_b32 s43, s43, s67
	s_cselect_b32 s3, s62, s3
	s_add_i32 s62, s43, 1
	s_cmp_ge_u32 s3, s22
	s_cselect_b32 s3, s62, s43
	s_load_dwordx16 s[4:19], s[0:1], 0x28
	s_load_dwordx2 s[60:61], s[0:1], 0x98
	s_load_dwordx4 s[28:31], s[0:1], 0x88
	s_load_dwordx8 s[44:51], s[0:1], 0x68
	s_xor_b32 s3, s3, s33
	s_sub_i32 s22, s3, s33
	s_ashr_i32 s3, s2, 31
	s_waitcnt lgkmcnt(0)
	s_mul_i32 s33, s12, s3
	s_mul_hi_u32 s43, s12, s2
	s_add_i32 s33, s43, s33
	s_mul_i32 s13, s13, s2
	s_add_i32 s33, s33, s13
	s_ashr_i32 s13, s22, 31
	s_mul_i32 s43, s10, s13
	s_mul_hi_u32 s62, s10, s22
	s_add_i32 s43, s62, s43
	s_mul_i32 s11, s11, s22
	s_mul_i32 s12, s12, s2
	s_add_i32 s43, s43, s11
	s_add_u32 s11, s52, s12
	s_mul_i32 s10, s10, s22
	s_addc_u32 s12, s53, s33
	s_add_u32 s33, s11, s10
	s_mul_i32 s10, s46, s13
	s_mul_hi_u32 s11, s46, s22
	s_addc_u32 s43, s12, s43
	s_add_i32 s10, s11, s10
	s_mul_i32 s11, s47, s22
	s_ashr_i32 s12, s23, 31
	s_add_i32 s47, s10, s11
	s_mul_i32 s10, s44, s12
	s_mul_hi_u32 s11, s44, s23
	s_add_i32 s10, s11, s10
	s_mul_i32 s11, s45, s23
	s_add_i32 s45, s10, s11
	s_mul_i32 s3, s60, s3
	s_mul_hi_u32 s10, s60, s2
	s_add_i32 s3, s10, s3
	s_mul_i32 s10, s61, s2
	s_add_i32 s3, s3, s10
	s_mul_i32 s10, s30, s13
	s_mul_hi_u32 s11, s30, s22
	s_mul_i32 s12, s28, s12
	s_mul_hi_u32 s13, s28, s23
	s_mul_i32 s2, s60, s2
	s_add_i32 s10, s11, s10
	s_mul_i32 s11, s31, s22
	s_add_i32 s12, s13, s12
	;; [unrolled: 2-line block ×3, first 2 shown]
	s_add_i32 s13, s12, s13
	s_lshl_b64 s[2:3], s[2:3], 2
	s_mul_i32 s46, s46, s22
	s_mul_i32 s10, s30, s22
	s_add_u32 s22, s34, s2
	s_mul_i32 s44, s44, s23
	s_mul_i32 s12, s28, s23
	s_addc_u32 s23, s35, s3
	s_lshl_b64 s[2:3], s[10:11], 2
	s_add_u32 s10, s22, s2
	s_addc_u32 s11, s23, s3
	s_lshl_b64 s[2:3], s[12:13], 2
	s_add_u32 s2, s10, s2
	s_addc_u32 s3, s11, s3
	s_cmp_gt_i32 s24, 0
	s_cselect_b64 s[10:11], -1, 0
	s_cmp_gt_i32 s41, 0
	s_cselect_b64 s[12:13], -1, 0
	;; [unrolled: 2-line block ×3, first 2 shown]
	s_abs_i32 s60, s26
	v_cvt_f32_u32_e32 v1, s60
	s_load_dword s0, s[0:1], 0xec
	v_cmp_neq_f64_e64 s[30:31], s[56:57], 1.0
	v_cmp_neq_f64_e64 s[34:35], s[58:59], 0
	v_rcp_iflag_f32_e32 v2, v1
	s_or_b64 s[30:31], s[30:31], s[34:35]
	v_cvt_i32_f64_e32 v4, s[58:59]
	s_waitcnt lgkmcnt(0)
	s_and_b32 s58, s0, 0xffff
	v_mul_f32_e32 v2, 0x4f7ffffe, v2
	v_cvt_u32_f32_e32 v2, v2
	s_ashr_i32 s59, s26, 31
	s_sub_i32 s0, 0, s60
	s_mov_b64 s[28:29], 0
	v_mul_lo_u32 v3, s0, v2
	s_add_u32 s0, s44, s46
	s_addc_u32 s1, s45, s47
	v_mul_hi_u32 v3, v2, v3
	s_add_u32 s34, s54, s0
	v_cvt_i32_f64_e32 v1, s[56:57]
	v_add_u32_e32 v5, v2, v3
	v_mov_b32_e32 v6, 0
	s_addc_u32 s35, s55, s1
	s_branch .LBB11_3
.LBB11_2:                               ;   in Loop: Header=BB11_3 Depth=1
	v_add_u32_e32 v0, s58, v0
	v_cmp_le_i32_e32 vcc, s25, v0
	s_or_b64 s[28:29], vcc, s[28:29]
	s_andn2_b64 exec, exec, s[28:29]
	s_cbranch_execz .LBB11_18
.LBB11_3:                               ; =>This Loop Header: Depth=1
                                        ;     Child Loop BB11_6 Depth 2
                                        ;       Child Loop BB11_9 Depth 3
                                        ;         Child Loop BB11_12 Depth 4
	v_sub_u32_e32 v3, 0, v0
	v_max_i32_e32 v3, v0, v3
	v_mul_hi_u32 v7, v3, v5
	v_mul_lo_u32 v8, v7, s60
	v_sub_u32_e32 v3, v3, v8
	v_add_u32_e32 v8, 1, v7
	v_cmp_le_u32_e32 vcc, s60, v3
	v_ashrrev_i32_e32 v2, 31, v0
	v_xor_b32_e32 v2, s59, v2
	v_cndmask_b32_e32 v7, v7, v8, vcc
	v_subrev_u32_e32 v8, s60, v3
	v_cndmask_b32_e32 v3, v3, v8, vcc
	v_add_u32_e32 v8, 1, v7
	v_cmp_le_u32_e32 vcc, s60, v3
	s_mov_b32 s61, 0
	s_nop 0
	v_cndmask_b32_e32 v3, v7, v8, vcc
	v_xor_b32_e32 v3, v3, v2
	v_sub_u32_e32 v9, v3, v2
	v_mul_lo_u32 v2, v9, s26
	v_sub_u32_e32 v8, v0, v2
	s_andn2_b64 vcc, exec, s[10:11]
	v_mov_b32_e32 v7, 0
	s_cbranch_vccnz .LBB11_14
; %bb.4:                                ;   in Loop: Header=BB11_3 Depth=1
	v_mul_lo_u32 v2, v9, s27
	v_subrev_u32_e32 v10, s39, v2
	v_mul_lo_u32 v2, v8, s36
	v_subrev_u32_e32 v11, s40, v2
	v_mov_b32_e32 v7, 0
	s_mov_b64 s[44:45], s[34:35]
	s_branch .LBB11_6
.LBB11_5:                               ;   in Loop: Header=BB11_6 Depth=2
	s_add_i32 s61, s61, 1
	s_add_u32 s44, s44, s18
	s_addc_u32 s45, s45, s19
	s_cmp_eq_u32 s61, s24
	s_cbranch_scc1 .LBB11_14
.LBB11_6:                               ;   Parent Loop BB11_3 Depth=1
                                        ; =>  This Loop Header: Depth=2
                                        ;       Child Loop BB11_9 Depth 3
                                        ;         Child Loop BB11_12 Depth 4
	s_andn2_b64 vcc, exec, s[12:13]
	s_cbranch_vccnz .LBB11_5
; %bb.7:                                ;   in Loop: Header=BB11_6 Depth=2
	s_mul_i32 s0, s9, s61
	s_mul_hi_u32 s1, s8, s61
	s_add_i32 s1, s1, s0
	s_mul_i32 s0, s8, s61
	s_add_u32 s46, s33, s0
	s_addc_u32 s47, s43, s1
	s_mov_b32 s62, 0
	s_mov_b64 s[52:53], s[44:45]
	s_branch .LBB11_9
.LBB11_8:                               ;   in Loop: Header=BB11_9 Depth=3
	s_add_i32 s62, s62, 1
	s_add_u32 s52, s52, s16
	s_addc_u32 s53, s53, s17
	s_cmp_eq_u32 s62, s41
	s_cbranch_scc1 .LBB11_5
.LBB11_9:                               ;   Parent Loop BB11_3 Depth=1
                                        ;     Parent Loop BB11_6 Depth=2
                                        ; =>    This Loop Header: Depth=3
                                        ;         Child Loop BB11_12 Depth 4
	s_andn2_b64 vcc, exec, s[22:23]
	s_cbranch_vccnz .LBB11_8
; %bb.10:                               ;   in Loop: Header=BB11_9 Depth=3
	s_mul_i32 s0, s62, s37
	v_add_u32_e32 v13, s0, v10
	v_cmp_gt_i32_e32 vcc, 0, v13
	v_cmp_le_i32_e64 s[0:1], s20, v13
	v_mov_b64_e32 v[2:3], s[46:47]
	s_or_b64 s[54:55], vcc, s[0:1]
	v_mad_u64_u32 v[2:3], s[0:1], s6, v13, v[2:3]
	v_mov_b32_e32 v12, v3
	v_mad_u64_u32 v[12:13], s[0:1], s7, v13, v[12:13]
	v_mov_b32_e32 v3, v12
	v_mov_b32_e32 v12, v11
	s_mov_b64 s[56:57], s[52:53]
	s_mov_b32 s63, s42
	s_branch .LBB11_12
.LBB11_11:                              ;   in Loop: Header=BB11_12 Depth=4
	s_or_b64 exec, exec, s[0:1]
	s_add_i32 s63, s63, -1
	s_add_u32 s56, s56, s14
	s_addc_u32 s57, s57, s15
	s_cmp_eq_u32 s63, 0
	v_add_u32_e32 v12, s38, v12
	s_cbranch_scc1 .LBB11_8
.LBB11_12:                              ;   Parent Loop BB11_3 Depth=1
                                        ;     Parent Loop BB11_6 Depth=2
                                        ;       Parent Loop BB11_9 Depth=3
                                        ; =>      This Inner Loop Header: Depth=4
	v_cmp_gt_i32_e32 vcc, 0, v12
	v_cmp_le_i32_e64 s[0:1], s21, v12
	s_or_b64 s[0:1], vcc, s[0:1]
	s_or_b64 s[0:1], s[54:55], s[0:1]
	s_xor_b64 s[64:65], s[0:1], -1
	s_and_saveexec_b64 s[0:1], s[64:65]
	s_cbranch_execz .LBB11_11
; %bb.13:                               ;   in Loop: Header=BB11_12 Depth=4
	v_mad_u64_u32 v[14:15], s[64:65], s4, v12, v[2:3]
	v_mov_b32_e32 v16, v15
	v_mad_u64_u32 v[16:17], s[64:65], s5, v12, v[16:17]
	v_mov_b32_e32 v15, v16
	global_load_sbyte v13, v[14:15], off
	s_nop 0
	global_load_sbyte v14, v6, s[56:57]
	s_waitcnt vmcnt(0)
	v_mad_i32_i24 v7, v14, v13, v7
	s_branch .LBB11_11
.LBB11_14:                              ;   in Loop: Header=BB11_3 Depth=1
	v_ashrrev_i32_e32 v2, 31, v9
	v_mul_lo_u32 v10, s51, v9
	v_mul_lo_u32 v11, s50, v2
	v_mad_u64_u32 v[2:3], s[0:1], s50, v9, 0
	v_add3_u32 v3, v3, v11, v10
	v_ashrrev_i32_e32 v9, 31, v8
	v_mad_u64_u32 v[2:3], s[0:1], s48, v8, v[2:3]
	v_mul_lo_u32 v8, s49, v8
	v_mul_lo_u32 v9, s48, v9
	v_add3_u32 v3, v8, v3, v9
	s_mov_b64 s[0:1], -1
	s_and_b64 vcc, exec, s[30:31]
	s_cbranch_vccz .LBB11_16
; %bb.15:                               ;   in Loop: Header=BB11_3 Depth=1
	v_lshl_add_u64 v[8:9], v[2:3], 2, s[2:3]
	global_load_dword v11, v[8:9], off
	v_mul_lo_u32 v10, v7, v1
	s_waitcnt vmcnt(0)
	v_mad_u64_u32 v[10:11], s[0:1], v11, v4, v[10:11]
	global_store_dword v[8:9], v10, off
	s_mov_b64 s[0:1], 0
.LBB11_16:                              ;   in Loop: Header=BB11_3 Depth=1
	s_andn2_b64 vcc, exec, s[0:1]
	s_cbranch_vccnz .LBB11_2
; %bb.17:                               ;   in Loop: Header=BB11_3 Depth=1
	v_lshl_add_u64 v[2:3], v[2:3], 2, s[2:3]
	global_store_dword v[2:3], v7, off
	s_branch .LBB11_2
.LBB11_18:
	s_endpgm
	.section	.rodata,"a",@progbits
	.p2align	6, 0x0
	.amdhsa_kernel naive_conv_ab_nonpacked_fwd_nchw_int8_t_int32_t_int32_t_0
		.amdhsa_group_segment_fixed_size 0
		.amdhsa_private_segment_fixed_size 0
		.amdhsa_kernarg_size 480
		.amdhsa_user_sgpr_count 2
		.amdhsa_user_sgpr_dispatch_ptr 0
		.amdhsa_user_sgpr_queue_ptr 0
		.amdhsa_user_sgpr_kernarg_segment_ptr 1
		.amdhsa_user_sgpr_dispatch_id 0
		.amdhsa_user_sgpr_kernarg_preload_length 0
		.amdhsa_user_sgpr_kernarg_preload_offset 0
		.amdhsa_user_sgpr_private_segment_size 0
		.amdhsa_uses_dynamic_stack 0
		.amdhsa_enable_private_segment 0
		.amdhsa_system_sgpr_workgroup_id_x 1
		.amdhsa_system_sgpr_workgroup_id_y 0
		.amdhsa_system_sgpr_workgroup_id_z 0
		.amdhsa_system_sgpr_workgroup_info 0
		.amdhsa_system_vgpr_workitem_id 0
		.amdhsa_next_free_vgpr 18
		.amdhsa_next_free_sgpr 68
		.amdhsa_accum_offset 20
		.amdhsa_reserve_vcc 1
		.amdhsa_float_round_mode_32 0
		.amdhsa_float_round_mode_16_64 0
		.amdhsa_float_denorm_mode_32 3
		.amdhsa_float_denorm_mode_16_64 3
		.amdhsa_dx10_clamp 1
		.amdhsa_ieee_mode 1
		.amdhsa_fp16_overflow 0
		.amdhsa_tg_split 0
		.amdhsa_exception_fp_ieee_invalid_op 0
		.amdhsa_exception_fp_denorm_src 0
		.amdhsa_exception_fp_ieee_div_zero 0
		.amdhsa_exception_fp_ieee_overflow 0
		.amdhsa_exception_fp_ieee_underflow 0
		.amdhsa_exception_fp_ieee_inexact 0
		.amdhsa_exception_int_div_zero 0
	.end_amdhsa_kernel
	.text
.Lfunc_end11:
	.size	naive_conv_ab_nonpacked_fwd_nchw_int8_t_int32_t_int32_t_0, .Lfunc_end11-naive_conv_ab_nonpacked_fwd_nchw_int8_t_int32_t_int32_t_0
                                        ; -- End function
	.section	.AMDGPU.csdata,"",@progbits
; Kernel info:
; codeLenInByte = 1412
; NumSgprs: 74
; NumVgprs: 18
; NumAgprs: 0
; TotalNumVgprs: 18
; ScratchSize: 0
; MemoryBound: 0
; FloatMode: 240
; IeeeMode: 1
; LDSByteSize: 0 bytes/workgroup (compile time only)
; SGPRBlocks: 9
; VGPRBlocks: 2
; NumSGPRsForWavesPerEU: 74
; NumVGPRsForWavesPerEU: 18
; AccumOffset: 20
; Occupancy: 8
; WaveLimiterHint : 0
; COMPUTE_PGM_RSRC2:SCRATCH_EN: 0
; COMPUTE_PGM_RSRC2:USER_SGPR: 2
; COMPUTE_PGM_RSRC2:TRAP_HANDLER: 0
; COMPUTE_PGM_RSRC2:TGID_X_EN: 1
; COMPUTE_PGM_RSRC2:TGID_Y_EN: 0
; COMPUTE_PGM_RSRC2:TGID_Z_EN: 0
; COMPUTE_PGM_RSRC2:TIDIG_COMP_CNT: 0
; COMPUTE_PGM_RSRC3_GFX90A:ACCUM_OFFSET: 4
; COMPUTE_PGM_RSRC3_GFX90A:TG_SPLIT: 0
	.text
	.protected	naive_conv_ab_packed_fwd_nchw_int8_t_int32_t_float_0 ; -- Begin function naive_conv_ab_packed_fwd_nchw_int8_t_int32_t_float_0
	.globl	naive_conv_ab_packed_fwd_nchw_int8_t_int32_t_float_0
	.p2align	8
	.type	naive_conv_ab_packed_fwd_nchw_int8_t_int32_t_float_0,@function
naive_conv_ab_packed_fwd_nchw_int8_t_int32_t_float_0: ; @naive_conv_ab_packed_fwd_nchw_int8_t_int32_t_float_0
; %bb.0:
	s_load_dwordx16 s[4:19], s[0:1], 0xa0
	s_abs_i32 s3, s2
	s_waitcnt lgkmcnt(0)
	s_abs_i32 s20, s7
	v_cvt_f32_u32_e32 v1, s20
	s_sub_i32 s21, 0, s20
	s_mul_i32 s29, s7, s6
	s_mul_i32 s33, s10, s9
	v_rcp_iflag_f32_e32 v1, v1
	v_cmp_gt_i32_e32 vcc, s33, v0
	v_mul_f32_e32 v1, 0x4f7ffffe, v1
	v_cvt_u32_f32_e32 v1, v1
	s_nop 0
	v_readfirstlane_b32 s22, v1
	s_mul_i32 s21, s21, s22
	s_mul_hi_u32 s21, s22, s21
	s_add_i32 s22, s22, s21
	s_mul_hi_u32 s21, s3, s22
	s_mul_i32 s22, s21, s20
	s_sub_i32 s22, s3, s22
	s_add_i32 s23, s21, 1
	s_sub_i32 s24, s22, s20
	s_cmp_ge_u32 s22, s20
	s_cselect_b32 s21, s23, s21
	s_cselect_b32 s22, s24, s22
	s_add_i32 s23, s21, 1
	s_cmp_ge_u32 s22, s20
	s_cselect_b32 s30, s23, s21
	s_abs_i32 s28, s6
	s_abs_i32 s6, s29
	v_cvt_f32_u32_e32 v1, s28
	v_cvt_f32_u32_e32 v2, s6
	v_rcp_iflag_f32_e32 v1, v1
	v_rcp_iflag_f32_e32 v2, v2
	v_mul_f32_e32 v1, 0x4f7ffffe, v1
	v_mul_f32_e32 v2, 0x4f7ffffe, v2
	v_cvt_u32_f32_e32 v1, v1
	v_cvt_u32_f32_e32 v2, v2
	v_readfirstlane_b32 s34, v1
	v_readfirstlane_b32 s31, v2
	s_and_saveexec_b64 s[20:21], vcc
	s_cbranch_execz .LBB12_16
; %bb.1:
	s_ashr_i32 s35, s2, 31
	s_ashr_i32 s36, s7, 31
	s_xor_b32 s36, s35, s36
	s_sub_i32 s38, 0, s28
	s_xor_b32 s30, s30, s36
	s_mul_i32 s38, s38, s34
	s_sub_i32 s30, s30, s36
	s_mul_hi_u32 s38, s34, s38
	s_abs_i32 s37, s30
	s_add_i32 s34, s34, s38
	s_mul_hi_u32 s34, s37, s34
	s_sub_i32 s38, 0, s6
	s_ashr_i32 s36, s30, 31
	s_mul_i32 s38, s38, s31
	s_mul_i32 s30, s30, s7
	s_mul_i32 s34, s34, s28
	s_mul_hi_u32 s38, s31, s38
	s_sub_i32 s30, s2, s30
	s_sub_i32 s2, s37, s34
	s_ashr_i32 s29, s29, 31
	s_add_i32 s31, s31, s38
	s_sub_i32 s34, s2, s28
	s_cmp_ge_u32 s2, s28
	s_cselect_b32 s2, s34, s2
	s_sub_i32 s34, s2, s28
	s_cmp_ge_u32 s2, s28
	s_cselect_b32 s2, s34, s2
	s_mul_hi_u32 s31, s3, s31
	s_xor_b32 s2, s2, s36
	s_sub_i32 s28, s2, s36
	s_xor_b32 s2, s35, s29
	s_mul_i32 s29, s31, s6
	s_sub_i32 s3, s3, s29
	s_add_i32 s29, s31, 1
	s_sub_i32 s34, s3, s6
	s_cmp_ge_u32 s3, s6
	s_cselect_b32 s29, s29, s31
	s_cselect_b32 s3, s34, s3
	s_add_i32 s31, s29, 1
	s_cmp_ge_u32 s3, s6
	s_cselect_b32 s3, s31, s29
	s_xor_b32 s3, s3, s2
	s_mul_i32 s38, s19, s7
	s_mul_i32 s19, s19, s8
	s_sub_i32 s6, s3, s2
	s_mul_hi_i32 s2, s28, s19
	s_mul_i32 s3, s28, s19
	s_ashr_i32 s19, s4, 31
	s_ashr_i32 s43, s5, 31
	s_ashr_i32 s36, s8, 31
	s_mul_i32 s31, s6, s8
	s_load_dwordx8 s[20:27], s[0:1], 0x0
	s_mul_hi_i32 s29, s6, s8
	s_add_u32 s3, s31, s3
	s_mov_b32 s42, s4
	s_addc_u32 s2, s29, s2
	s_mul_hi_i32 s29, s5, s4
	s_mul_i32 s4, s5, s4
	s_mov_b32 s44, s5
	s_mul_i32 s2, s4, s2
	s_mul_hi_u32 s5, s4, s3
	s_add_i32 s2, s5, s2
	s_mul_i32 s29, s29, s3
	s_add_i32 s5, s2, s29
	s_mul_i32 s4, s4, s3
	s_waitcnt lgkmcnt(0)
	s_add_u32 s2, s20, s4
	s_addc_u32 s3, s21, s5
	s_mul_hi_i32 s4, s6, s7
	s_mul_i32 s6, s6, s7
	s_ashr_i32 s45, s18, 31
	s_ashr_i32 s5, s30, 31
	s_add_u32 s37, s6, s30
	s_addc_u32 s39, s4, s5
	s_mul_hi_i32 s4, s28, s38
	s_mul_i32 s28, s28, s38
	s_ashr_i32 s46, s10, 31
	s_add_u32 s6, s37, s28
	s_addc_u32 s4, s39, s4
	s_mul_hi_i32 s5, s10, s9
	s_mul_i32 s4, s33, s4
	s_mul_hi_u32 s7, s33, s6
	s_add_i32 s7, s7, s4
	s_mul_i32 s9, s5, s6
	s_load_dwordx2 s[4:5], s[0:1], 0x20
	s_load_dword s38, s[0:1], 0xec
	s_add_i32 s7, s7, s9
	s_mul_i32 s6, s33, s6
	s_lshl_b64 s[6:7], s[6:7], 2
	s_waitcnt lgkmcnt(0)
	s_add_u32 s4, s4, s6
	s_addc_u32 s5, s5, s7
	s_cmp_gt_i32 s8, 0
	s_cselect_b64 s[6:7], -1, 0
	s_cmp_gt_i32 s17, 0
	s_cselect_b64 s[20:21], -1, 0
	;; [unrolled: 2-line block ×3, first 2 shown]
	s_abs_i32 s9, s10
	v_cvt_f32_u32_e32 v1, s9
	v_cmp_neq_f64_e64 s[0:1], s[24:25], 1.0
	v_cmp_neq_f64_e64 s[34:35], s[26:27], 0
	s_or_b64 s[34:35], s[0:1], s[34:35]
	v_rcp_iflag_f32_e32 v2, v1
	s_sub_i32 s0, 0, s9
	s_mul_i32 s49, s18, s17
	s_mov_b32 s47, s17
	v_mul_f32_e32 v2, 0x4f7ffffe, v2
	v_cvt_u32_f32_e32 v2, v2
	s_mul_hi_u32 s1, s49, s37
	s_mul_hi_i32 s17, s18, s17
	v_cvt_i32_f64_e32 v1, s[24:25]
	v_mul_lo_u32 v3, s0, v2
	s_mul_i32 s0, s49, s39
	s_add_i32 s0, s1, s0
	s_mul_i32 s1, s17, s37
	s_add_i32 s0, s0, s1
	s_mul_i32 s1, s49, s37
	s_mul_i32 s24, s1, s36
	s_mul_hi_u32 s25, s1, s8
	s_add_i32 s24, s25, s24
	s_mul_i32 s0, s0, s8
	s_and_b32 s48, s38, 0xffff
	s_add_i32 s24, s24, s0
	s_mul_i32 s1, s1, s8
	v_mul_hi_u32 v3, v2, v3
	s_add_u32 s22, s22, s1
	s_mov_b64 s[30:31], 0
	v_cvt_i32_f64_e32 v10, s[26:27]
	v_add_u32_e32 v11, v2, v3
	v_mov_b32_e32 v3, 0
	s_addc_u32 s23, s23, s24
	s_branch .LBB12_3
.LBB12_2:                               ;   in Loop: Header=BB12_3 Depth=1
	v_cvt_f32_i32_e32 v2, v4
	v_add_u32_e32 v0, s48, v0
	v_cmp_le_i32_e32 vcc, s33, v0
	s_or_b64 s[30:31], vcc, s[30:31]
	global_store_dword v[6:7], v2, off
	s_andn2_b64 exec, exec, s[30:31]
	s_cbranch_execz .LBB12_16
.LBB12_3:                               ; =>This Loop Header: Depth=1
                                        ;     Child Loop BB12_6 Depth 2
                                        ;       Child Loop BB12_9 Depth 3
                                        ;         Child Loop BB12_12 Depth 4
	v_sub_u32_e32 v4, 0, v0
	v_max_i32_e32 v4, v0, v4
	v_mul_hi_u32 v5, v4, v11
	v_mul_lo_u32 v6, v5, s9
	v_sub_u32_e32 v4, v4, v6
	v_add_u32_e32 v6, 1, v5
	v_cmp_le_u32_e32 vcc, s9, v4
	v_ashrrev_i32_e32 v2, 31, v0
	v_xor_b32_e32 v2, s46, v2
	v_cndmask_b32_e32 v5, v5, v6, vcc
	v_subrev_u32_e32 v6, s9, v4
	v_cndmask_b32_e32 v4, v4, v6, vcc
	v_add_u32_e32 v6, 1, v5
	v_cmp_le_u32_e32 vcc, s9, v4
	s_mov_b32 s50, 0
	s_nop 0
	v_cndmask_b32_e32 v4, v5, v6, vcc
	v_xor_b32_e32 v4, v4, v2
	v_sub_u32_e32 v5, v4, v2
	v_mul_lo_u32 v2, v5, s10
	v_sub_u32_e32 v6, v0, v2
	s_andn2_b64 vcc, exec, s[6:7]
	v_mov_b32_e32 v4, v3
	s_cbranch_vccnz .LBB12_14
; %bb.4:                                ;   in Loop: Header=BB12_3 Depth=1
	v_mul_lo_u32 v2, v5, s11
	v_subrev_u32_e32 v7, s15, v2
	v_mul_lo_u32 v2, v6, s12
	v_subrev_u32_e32 v12, s16, v2
	v_mov_b32_e32 v4, 0
	s_mov_b64 s[24:25], s[22:23]
	s_branch .LBB12_6
.LBB12_5:                               ;   in Loop: Header=BB12_6 Depth=2
	s_add_i32 s50, s50, 1
	s_add_u32 s24, s24, s49
	s_addc_u32 s25, s25, s17
	s_cmp_eq_u32 s50, s8
	s_cbranch_scc1 .LBB12_14
.LBB12_6:                               ;   Parent Loop BB12_3 Depth=1
                                        ; =>  This Loop Header: Depth=2
                                        ;       Child Loop BB12_9 Depth 3
                                        ;         Child Loop BB12_12 Depth 4
	s_andn2_b64 vcc, exec, s[20:21]
	s_cbranch_vccnz .LBB12_5
; %bb.7:                                ;   in Loop: Header=BB12_6 Depth=2
	s_mul_i32 s0, s50, s19
	s_mul_hi_u32 s1, s50, s42
	s_add_i32 s27, s1, s0
	s_mul_i32 s26, s50, s42
	s_mov_b32 s51, 0
	s_mov_b64 s[36:37], s[24:25]
	s_branch .LBB12_9
.LBB12_8:                               ;   in Loop: Header=BB12_9 Depth=3
	s_add_i32 s51, s51, 1
	s_add_u32 s36, s36, s18
	s_addc_u32 s37, s37, s45
	s_cmp_eq_u32 s51, s47
	s_cbranch_scc1 .LBB12_5
.LBB12_9:                               ;   Parent Loop BB12_3 Depth=1
                                        ;     Parent Loop BB12_6 Depth=2
                                        ; =>    This Loop Header: Depth=3
                                        ;         Child Loop BB12_12 Depth 4
	s_andn2_b64 vcc, exec, s[28:29]
	s_cbranch_vccnz .LBB12_8
; %bb.10:                               ;   in Loop: Header=BB12_9 Depth=3
	s_mul_i32 s0, s51, s13
	v_add_u32_e32 v2, s0, v7
	v_cmp_gt_i32_e32 vcc, 0, v2
	v_cmp_le_i32_e64 s[0:1], s42, v2
	v_lshl_add_u64 v[8:9], s[26:27], 0, v[2:3]
	v_mov_b64_e32 v[14:15], s[2:3]
	s_or_b64 s[38:39], vcc, s[0:1]
	v_mul_lo_u32 v2, v8, s43
	v_mul_lo_u32 v13, v9, s44
	v_mad_u64_u32 v[8:9], s[0:1], v8, s44, v[14:15]
	v_add3_u32 v9, v13, v9, v2
	v_mov_b32_e32 v2, v12
	s_mov_b64 s[40:41], s[36:37]
	s_mov_b32 s52, s18
	s_branch .LBB12_12
.LBB12_11:                              ;   in Loop: Header=BB12_12 Depth=4
	s_or_b64 exec, exec, s[0:1]
	s_add_i32 s52, s52, -1
	s_add_u32 s40, s40, 1
	s_addc_u32 s41, s41, 0
	s_cmp_eq_u32 s52, 0
	v_add_u32_e32 v2, s14, v2
	s_cbranch_scc1 .LBB12_8
.LBB12_12:                              ;   Parent Loop BB12_3 Depth=1
                                        ;     Parent Loop BB12_6 Depth=2
                                        ;       Parent Loop BB12_9 Depth=3
                                        ; =>      This Inner Loop Header: Depth=4
	v_cmp_gt_i32_e32 vcc, 0, v2
	v_cmp_le_i32_e64 s[0:1], s44, v2
	s_or_b64 s[0:1], vcc, s[0:1]
	s_or_b64 s[0:1], s[38:39], s[0:1]
	s_xor_b64 s[54:55], s[0:1], -1
	s_and_saveexec_b64 s[0:1], s[54:55]
	s_cbranch_execz .LBB12_11
; %bb.13:                               ;   in Loop: Header=BB12_12 Depth=4
	v_lshl_add_u64 v[14:15], v[8:9], 0, v[2:3]
	global_load_sbyte v13, v[14:15], off
	s_nop 0
	global_load_sbyte v14, v3, s[40:41]
	s_waitcnt vmcnt(0)
	v_mad_i32_i24 v4, v14, v13, v4
	s_branch .LBB12_11
.LBB12_14:                              ;   in Loop: Header=BB12_3 Depth=1
	v_mad_i64_i32 v[8:9], s[0:1], v5, s10, 0
	v_ashrrev_i32_e32 v7, 31, v6
	v_lshl_add_u64 v[8:9], v[8:9], 2, s[4:5]
	s_andn2_b64 vcc, exec, s[34:35]
	v_lshl_add_u64 v[6:7], v[6:7], 2, v[8:9]
	s_cbranch_vccnz .LBB12_2
; %bb.15:                               ;   in Loop: Header=BB12_3 Depth=1
	global_load_dword v2, v[6:7], off
	s_waitcnt vmcnt(0)
	v_cvt_i32_f32_e32 v5, v2
	v_mul_lo_u32 v2, v4, v1
	v_mad_u64_u32 v[4:5], s[0:1], v5, v10, v[2:3]
	s_branch .LBB12_2
.LBB12_16:
	s_endpgm
	.section	.rodata,"a",@progbits
	.p2align	6, 0x0
	.amdhsa_kernel naive_conv_ab_packed_fwd_nchw_int8_t_int32_t_float_0
		.amdhsa_group_segment_fixed_size 0
		.amdhsa_private_segment_fixed_size 0
		.amdhsa_kernarg_size 480
		.amdhsa_user_sgpr_count 2
		.amdhsa_user_sgpr_dispatch_ptr 0
		.amdhsa_user_sgpr_queue_ptr 0
		.amdhsa_user_sgpr_kernarg_segment_ptr 1
		.amdhsa_user_sgpr_dispatch_id 0
		.amdhsa_user_sgpr_kernarg_preload_length 0
		.amdhsa_user_sgpr_kernarg_preload_offset 0
		.amdhsa_user_sgpr_private_segment_size 0
		.amdhsa_uses_dynamic_stack 0
		.amdhsa_enable_private_segment 0
		.amdhsa_system_sgpr_workgroup_id_x 1
		.amdhsa_system_sgpr_workgroup_id_y 0
		.amdhsa_system_sgpr_workgroup_id_z 0
		.amdhsa_system_sgpr_workgroup_info 0
		.amdhsa_system_vgpr_workitem_id 0
		.amdhsa_next_free_vgpr 16
		.amdhsa_next_free_sgpr 56
		.amdhsa_accum_offset 16
		.amdhsa_reserve_vcc 1
		.amdhsa_float_round_mode_32 0
		.amdhsa_float_round_mode_16_64 0
		.amdhsa_float_denorm_mode_32 3
		.amdhsa_float_denorm_mode_16_64 3
		.amdhsa_dx10_clamp 1
		.amdhsa_ieee_mode 1
		.amdhsa_fp16_overflow 0
		.amdhsa_tg_split 0
		.amdhsa_exception_fp_ieee_invalid_op 0
		.amdhsa_exception_fp_denorm_src 0
		.amdhsa_exception_fp_ieee_div_zero 0
		.amdhsa_exception_fp_ieee_overflow 0
		.amdhsa_exception_fp_ieee_underflow 0
		.amdhsa_exception_fp_ieee_inexact 0
		.amdhsa_exception_int_div_zero 0
	.end_amdhsa_kernel
	.text
.Lfunc_end12:
	.size	naive_conv_ab_packed_fwd_nchw_int8_t_int32_t_float_0, .Lfunc_end12-naive_conv_ab_packed_fwd_nchw_int8_t_int32_t_float_0
                                        ; -- End function
	.section	.AMDGPU.csdata,"",@progbits
; Kernel info:
; codeLenInByte = 1276
; NumSgprs: 62
; NumVgprs: 16
; NumAgprs: 0
; TotalNumVgprs: 16
; ScratchSize: 0
; MemoryBound: 0
; FloatMode: 240
; IeeeMode: 1
; LDSByteSize: 0 bytes/workgroup (compile time only)
; SGPRBlocks: 7
; VGPRBlocks: 1
; NumSGPRsForWavesPerEU: 62
; NumVGPRsForWavesPerEU: 16
; AccumOffset: 16
; Occupancy: 8
; WaveLimiterHint : 0
; COMPUTE_PGM_RSRC2:SCRATCH_EN: 0
; COMPUTE_PGM_RSRC2:USER_SGPR: 2
; COMPUTE_PGM_RSRC2:TRAP_HANDLER: 0
; COMPUTE_PGM_RSRC2:TGID_X_EN: 1
; COMPUTE_PGM_RSRC2:TGID_Y_EN: 0
; COMPUTE_PGM_RSRC2:TGID_Z_EN: 0
; COMPUTE_PGM_RSRC2:TIDIG_COMP_CNT: 0
; COMPUTE_PGM_RSRC3_GFX90A:ACCUM_OFFSET: 3
; COMPUTE_PGM_RSRC3_GFX90A:TG_SPLIT: 0
	.text
	.protected	naive_conv_ab_nonpacked_fwd_nchw_int8_t_int32_t_float_0 ; -- Begin function naive_conv_ab_nonpacked_fwd_nchw_int8_t_int32_t_float_0
	.globl	naive_conv_ab_nonpacked_fwd_nchw_int8_t_int32_t_float_0
	.p2align	8
	.type	naive_conv_ab_nonpacked_fwd_nchw_int8_t_int32_t_float_0,@function
naive_conv_ab_nonpacked_fwd_nchw_int8_t_int32_t_float_0: ; @naive_conv_ab_nonpacked_fwd_nchw_int8_t_int32_t_float_0
; %bb.0:
	s_load_dwordx8 s[20:27], s[0:1], 0xa0
	s_abs_i32 s3, s2
	s_waitcnt lgkmcnt(0)
	s_abs_i32 s5, s23
	v_cvt_f32_u32_e32 v1, s5
	s_sub_i32 s6, 0, s5
	s_mul_i32 s4, s23, s22
	s_mul_i32 s25, s26, s25
	v_rcp_iflag_f32_e32 v1, v1
	v_cmp_gt_i32_e32 vcc, s25, v0
	v_mul_f32_e32 v1, 0x4f7ffffe, v1
	v_cvt_u32_f32_e32 v1, v1
	s_nop 0
	v_readfirstlane_b32 s7, v1
	s_mul_i32 s6, s6, s7
	s_mul_hi_u32 s6, s7, s6
	s_add_i32 s7, s7, s6
	s_mul_hi_u32 s6, s3, s7
	s_mul_i32 s7, s6, s5
	s_sub_i32 s7, s3, s7
	s_add_i32 s8, s6, 1
	s_sub_i32 s9, s7, s5
	s_cmp_ge_u32 s7, s5
	s_cselect_b32 s6, s8, s6
	s_cselect_b32 s7, s9, s7
	s_add_i32 s8, s6, 1
	s_cmp_ge_u32 s7, s5
	s_cselect_b32 s5, s8, s6
	s_abs_i32 s33, s22
	s_abs_i32 s22, s4
	v_cvt_f32_u32_e32 v1, s33
	v_cvt_f32_u32_e32 v2, s22
	v_rcp_iflag_f32_e32 v1, v1
	v_rcp_iflag_f32_e32 v2, v2
	v_mul_f32_e32 v1, 0x4f7ffffe, v1
	v_mul_f32_e32 v2, 0x4f7ffffe, v2
	v_cvt_u32_f32_e32 v1, v1
	v_cvt_u32_f32_e32 v2, v2
	v_readfirstlane_b32 s7, v1
	v_readfirstlane_b32 s6, v2
	s_and_saveexec_b64 s[8:9], vcc
	s_cbranch_execz .LBB13_16
; %bb.1:
	s_load_dwordx8 s[52:59], s[0:1], 0x0
	s_load_dwordx2 s[34:35], s[0:1], 0x20
	s_load_dwordx8 s[36:43], s[0:1], 0xc0
	s_waitcnt lgkmcnt(0)
	s_ashr_i32 s43, s2, 31
	s_ashr_i32 s8, s23, 31
	s_xor_b32 s8, s43, s8
	s_xor_b32 s5, s5, s8
	s_sub_i32 s62, s5, s8
	s_sub_i32 s5, 0, s33
	s_mul_i32 s5, s5, s7
	s_mul_hi_u32 s5, s7, s5
	s_abs_i32 s64, s62
	s_add_i32 s7, s7, s5
	s_mul_hi_u32 s65, s64, s7
	s_ashr_i32 s66, s4, 31
	s_sub_i32 s4, 0, s22
	s_ashr_i32 s63, s62, 31
	s_mul_i32 s4, s4, s6
	s_mul_i32 s62, s62, s23
	;; [unrolled: 1-line block ×3, first 2 shown]
	s_mul_hi_u32 s4, s6, s4
	s_sub_i32 s23, s2, s62
	s_sub_i32 s2, s64, s65
	s_add_i32 s6, s6, s4
	s_sub_i32 s62, s2, s33
	s_cmp_ge_u32 s2, s33
	s_cselect_b32 s2, s62, s2
	s_sub_i32 s62, s2, s33
	s_mul_hi_u32 s67, s3, s6
	s_cmp_ge_u32 s2, s33
	s_cselect_b32 s2, s62, s2
	s_xor_b32 s33, s43, s66
	s_mul_i32 s43, s67, s22
	s_xor_b32 s2, s2, s63
	s_sub_i32 s3, s3, s43
	s_sub_i32 s2, s2, s63
	s_add_i32 s43, s67, 1
	s_sub_i32 s62, s3, s22
	s_cmp_ge_u32 s3, s22
	s_cselect_b32 s43, s43, s67
	s_cselect_b32 s3, s62, s3
	s_add_i32 s62, s43, 1
	s_cmp_ge_u32 s3, s22
	s_cselect_b32 s3, s62, s43
	s_load_dwordx16 s[4:19], s[0:1], 0x28
	s_load_dwordx2 s[60:61], s[0:1], 0x98
	s_load_dwordx4 s[28:31], s[0:1], 0x88
	s_load_dwordx8 s[44:51], s[0:1], 0x68
	s_xor_b32 s3, s3, s33
	s_sub_i32 s22, s3, s33
	s_ashr_i32 s3, s2, 31
	s_waitcnt lgkmcnt(0)
	s_mul_i32 s33, s12, s3
	s_mul_hi_u32 s43, s12, s2
	s_add_i32 s33, s43, s33
	s_mul_i32 s13, s13, s2
	s_add_i32 s33, s33, s13
	s_ashr_i32 s13, s22, 31
	s_mul_i32 s43, s10, s13
	s_mul_hi_u32 s62, s10, s22
	s_add_i32 s43, s62, s43
	s_mul_i32 s11, s11, s22
	s_mul_i32 s12, s12, s2
	s_add_i32 s43, s43, s11
	s_add_u32 s11, s52, s12
	s_mul_i32 s10, s10, s22
	s_addc_u32 s12, s53, s33
	s_add_u32 s33, s11, s10
	s_mul_i32 s10, s46, s13
	s_mul_hi_u32 s11, s46, s22
	s_addc_u32 s43, s12, s43
	s_add_i32 s10, s11, s10
	s_mul_i32 s11, s47, s22
	s_ashr_i32 s12, s23, 31
	s_add_i32 s47, s10, s11
	s_mul_i32 s10, s44, s12
	s_mul_hi_u32 s11, s44, s23
	s_add_i32 s10, s11, s10
	s_mul_i32 s11, s45, s23
	s_add_i32 s45, s10, s11
	s_mul_i32 s3, s60, s3
	s_mul_hi_u32 s10, s60, s2
	s_add_i32 s3, s10, s3
	s_mul_i32 s10, s61, s2
	s_add_i32 s3, s3, s10
	s_mul_i32 s10, s30, s13
	s_mul_hi_u32 s11, s30, s22
	s_mul_i32 s12, s28, s12
	s_mul_hi_u32 s13, s28, s23
	s_mul_i32 s2, s60, s2
	s_add_i32 s10, s11, s10
	s_mul_i32 s11, s31, s22
	s_add_i32 s12, s13, s12
	;; [unrolled: 2-line block ×3, first 2 shown]
	s_add_i32 s13, s12, s13
	s_lshl_b64 s[2:3], s[2:3], 2
	s_mul_i32 s46, s46, s22
	s_mul_i32 s10, s30, s22
	s_add_u32 s22, s34, s2
	s_mul_i32 s44, s44, s23
	s_mul_i32 s12, s28, s23
	s_addc_u32 s23, s35, s3
	s_lshl_b64 s[2:3], s[10:11], 2
	s_add_u32 s10, s22, s2
	s_addc_u32 s11, s23, s3
	s_lshl_b64 s[2:3], s[12:13], 2
	s_add_u32 s2, s10, s2
	s_addc_u32 s3, s11, s3
	s_cmp_gt_i32 s24, 0
	s_cselect_b64 s[10:11], -1, 0
	s_cmp_gt_i32 s41, 0
	s_cselect_b64 s[12:13], -1, 0
	;; [unrolled: 2-line block ×3, first 2 shown]
	s_abs_i32 s60, s26
	v_cvt_f32_u32_e32 v1, s60
	s_load_dword s0, s[0:1], 0xec
	v_cmp_neq_f64_e64 s[30:31], s[56:57], 1.0
	v_cmp_neq_f64_e64 s[34:35], s[58:59], 0
	v_rcp_iflag_f32_e32 v2, v1
	s_or_b64 s[30:31], s[30:31], s[34:35]
	v_cvt_i32_f64_e32 v6, s[58:59]
	s_waitcnt lgkmcnt(0)
	s_and_b32 s58, s0, 0xffff
	v_mul_f32_e32 v2, 0x4f7ffffe, v2
	v_cvt_u32_f32_e32 v2, v2
	s_ashr_i32 s59, s26, 31
	s_sub_i32 s0, 0, s60
	s_mov_b64 s[28:29], 0
	v_mul_lo_u32 v3, s0, v2
	s_add_u32 s0, s44, s46
	s_addc_u32 s1, s45, s47
	v_mul_hi_u32 v3, v2, v3
	s_add_u32 s34, s54, s0
	v_cvt_i32_f64_e32 v1, s[56:57]
	v_add_u32_e32 v7, v2, v3
	v_mov_b32_e32 v8, 0
	s_addc_u32 s35, s55, s1
	s_branch .LBB13_3
.LBB13_2:                               ;   in Loop: Header=BB13_3 Depth=1
	v_cvt_f32_i32_e32 v2, v2
	v_add_u32_e32 v0, s58, v0
	v_cmp_le_i32_e32 vcc, s25, v0
	s_or_b64 s[28:29], vcc, s[28:29]
	global_store_dword v[4:5], v2, off
	s_andn2_b64 exec, exec, s[28:29]
	s_cbranch_execz .LBB13_16
.LBB13_3:                               ; =>This Loop Header: Depth=1
                                        ;     Child Loop BB13_6 Depth 2
                                        ;       Child Loop BB13_9 Depth 3
                                        ;         Child Loop BB13_12 Depth 4
	v_sub_u32_e32 v3, 0, v0
	v_max_i32_e32 v3, v0, v3
	v_mul_hi_u32 v4, v3, v7
	v_mul_lo_u32 v5, v4, s60
	v_sub_u32_e32 v3, v3, v5
	v_add_u32_e32 v5, 1, v4
	v_cmp_le_u32_e32 vcc, s60, v3
	v_ashrrev_i32_e32 v2, 31, v0
	v_xor_b32_e32 v2, s59, v2
	v_cndmask_b32_e32 v4, v4, v5, vcc
	v_subrev_u32_e32 v5, s60, v3
	v_cndmask_b32_e32 v3, v3, v5, vcc
	v_add_u32_e32 v5, 1, v4
	v_cmp_le_u32_e32 vcc, s60, v3
	s_mov_b32 s61, 0
	s_nop 0
	v_cndmask_b32_e32 v3, v4, v5, vcc
	v_xor_b32_e32 v3, v3, v2
	v_sub_u32_e32 v9, v3, v2
	v_mul_lo_u32 v2, v9, s26
	v_sub_u32_e32 v3, v0, v2
	s_andn2_b64 vcc, exec, s[10:11]
	v_mov_b32_e32 v2, 0
	s_cbranch_vccnz .LBB13_14
; %bb.4:                                ;   in Loop: Header=BB13_3 Depth=1
	v_mul_lo_u32 v2, v9, s27
	v_subrev_u32_e32 v10, s39, v2
	v_mul_lo_u32 v2, v3, s36
	v_subrev_u32_e32 v11, s40, v2
	v_mov_b32_e32 v2, 0
	s_mov_b64 s[44:45], s[34:35]
	s_branch .LBB13_6
.LBB13_5:                               ;   in Loop: Header=BB13_6 Depth=2
	s_add_i32 s61, s61, 1
	s_add_u32 s44, s44, s18
	s_addc_u32 s45, s45, s19
	s_cmp_eq_u32 s61, s24
	s_cbranch_scc1 .LBB13_14
.LBB13_6:                               ;   Parent Loop BB13_3 Depth=1
                                        ; =>  This Loop Header: Depth=2
                                        ;       Child Loop BB13_9 Depth 3
                                        ;         Child Loop BB13_12 Depth 4
	s_andn2_b64 vcc, exec, s[12:13]
	s_cbranch_vccnz .LBB13_5
; %bb.7:                                ;   in Loop: Header=BB13_6 Depth=2
	s_mul_i32 s0, s9, s61
	s_mul_hi_u32 s1, s8, s61
	s_add_i32 s1, s1, s0
	s_mul_i32 s0, s8, s61
	s_add_u32 s46, s33, s0
	s_addc_u32 s47, s43, s1
	s_mov_b32 s62, 0
	s_mov_b64 s[52:53], s[44:45]
	s_branch .LBB13_9
.LBB13_8:                               ;   in Loop: Header=BB13_9 Depth=3
	s_add_i32 s62, s62, 1
	s_add_u32 s52, s52, s16
	s_addc_u32 s53, s53, s17
	s_cmp_eq_u32 s62, s41
	s_cbranch_scc1 .LBB13_5
.LBB13_9:                               ;   Parent Loop BB13_3 Depth=1
                                        ;     Parent Loop BB13_6 Depth=2
                                        ; =>    This Loop Header: Depth=3
                                        ;         Child Loop BB13_12 Depth 4
	s_andn2_b64 vcc, exec, s[22:23]
	s_cbranch_vccnz .LBB13_8
; %bb.10:                               ;   in Loop: Header=BB13_9 Depth=3
	s_mul_i32 s0, s62, s37
	v_add_u32_e32 v13, s0, v10
	v_cmp_gt_i32_e32 vcc, 0, v13
	v_cmp_le_i32_e64 s[0:1], s20, v13
	v_mov_b64_e32 v[4:5], s[46:47]
	s_or_b64 s[54:55], vcc, s[0:1]
	v_mad_u64_u32 v[4:5], s[0:1], s6, v13, v[4:5]
	v_mov_b32_e32 v12, v5
	v_mad_u64_u32 v[12:13], s[0:1], s7, v13, v[12:13]
	v_mov_b32_e32 v5, v12
	v_mov_b32_e32 v12, v11
	s_mov_b64 s[56:57], s[52:53]
	s_mov_b32 s63, s42
	s_branch .LBB13_12
.LBB13_11:                              ;   in Loop: Header=BB13_12 Depth=4
	s_or_b64 exec, exec, s[0:1]
	s_add_i32 s63, s63, -1
	s_add_u32 s56, s56, s14
	s_addc_u32 s57, s57, s15
	s_cmp_eq_u32 s63, 0
	v_add_u32_e32 v12, s38, v12
	s_cbranch_scc1 .LBB13_8
.LBB13_12:                              ;   Parent Loop BB13_3 Depth=1
                                        ;     Parent Loop BB13_6 Depth=2
                                        ;       Parent Loop BB13_9 Depth=3
                                        ; =>      This Inner Loop Header: Depth=4
	v_cmp_gt_i32_e32 vcc, 0, v12
	v_cmp_le_i32_e64 s[0:1], s21, v12
	s_or_b64 s[0:1], vcc, s[0:1]
	s_or_b64 s[0:1], s[54:55], s[0:1]
	s_xor_b64 s[64:65], s[0:1], -1
	s_and_saveexec_b64 s[0:1], s[64:65]
	s_cbranch_execz .LBB13_11
; %bb.13:                               ;   in Loop: Header=BB13_12 Depth=4
	v_mad_u64_u32 v[14:15], s[64:65], s4, v12, v[4:5]
	v_mov_b32_e32 v16, v15
	v_mad_u64_u32 v[16:17], s[64:65], s5, v12, v[16:17]
	v_mov_b32_e32 v15, v16
	global_load_sbyte v13, v[14:15], off
	s_nop 0
	global_load_sbyte v14, v8, s[56:57]
	s_waitcnt vmcnt(0)
	v_mad_i32_i24 v2, v14, v13, v2
	s_branch .LBB13_11
.LBB13_14:                              ;   in Loop: Header=BB13_3 Depth=1
	v_ashrrev_i32_e32 v4, 31, v9
	v_mul_lo_u32 v10, s51, v9
	v_mul_lo_u32 v11, s50, v4
	v_mad_u64_u32 v[4:5], s[0:1], s50, v9, 0
	v_ashrrev_i32_e32 v9, 31, v3
	v_add3_u32 v5, v5, v11, v10
	v_mul_lo_u32 v12, s49, v3
	v_mul_lo_u32 v9, s48, v9
	v_mad_u64_u32 v[10:11], s[0:1], s48, v3, 0
	v_add3_u32 v11, v11, v9, v12
	v_lshl_add_u64 v[10:11], v[10:11], 2, s[2:3]
	s_andn2_b64 vcc, exec, s[30:31]
	v_lshl_add_u64 v[4:5], v[4:5], 2, v[10:11]
	s_cbranch_vccnz .LBB13_2
; %bb.15:                               ;   in Loop: Header=BB13_3 Depth=1
	global_load_dword v3, v[4:5], off
	v_mul_lo_u32 v2, v2, v1
	s_waitcnt vmcnt(0)
	v_cvt_i32_f32_e32 v3, v3
	v_mad_u64_u32 v[2:3], s[0:1], v3, v6, v[2:3]
	s_branch .LBB13_2
.LBB13_16:
	s_endpgm
	.section	.rodata,"a",@progbits
	.p2align	6, 0x0
	.amdhsa_kernel naive_conv_ab_nonpacked_fwd_nchw_int8_t_int32_t_float_0
		.amdhsa_group_segment_fixed_size 0
		.amdhsa_private_segment_fixed_size 0
		.amdhsa_kernarg_size 480
		.amdhsa_user_sgpr_count 2
		.amdhsa_user_sgpr_dispatch_ptr 0
		.amdhsa_user_sgpr_queue_ptr 0
		.amdhsa_user_sgpr_kernarg_segment_ptr 1
		.amdhsa_user_sgpr_dispatch_id 0
		.amdhsa_user_sgpr_kernarg_preload_length 0
		.amdhsa_user_sgpr_kernarg_preload_offset 0
		.amdhsa_user_sgpr_private_segment_size 0
		.amdhsa_uses_dynamic_stack 0
		.amdhsa_enable_private_segment 0
		.amdhsa_system_sgpr_workgroup_id_x 1
		.amdhsa_system_sgpr_workgroup_id_y 0
		.amdhsa_system_sgpr_workgroup_id_z 0
		.amdhsa_system_sgpr_workgroup_info 0
		.amdhsa_system_vgpr_workitem_id 0
		.amdhsa_next_free_vgpr 18
		.amdhsa_next_free_sgpr 68
		.amdhsa_accum_offset 20
		.amdhsa_reserve_vcc 1
		.amdhsa_float_round_mode_32 0
		.amdhsa_float_round_mode_16_64 0
		.amdhsa_float_denorm_mode_32 3
		.amdhsa_float_denorm_mode_16_64 3
		.amdhsa_dx10_clamp 1
		.amdhsa_ieee_mode 1
		.amdhsa_fp16_overflow 0
		.amdhsa_tg_split 0
		.amdhsa_exception_fp_ieee_invalid_op 0
		.amdhsa_exception_fp_denorm_src 0
		.amdhsa_exception_fp_ieee_div_zero 0
		.amdhsa_exception_fp_ieee_overflow 0
		.amdhsa_exception_fp_ieee_underflow 0
		.amdhsa_exception_fp_ieee_inexact 0
		.amdhsa_exception_int_div_zero 0
	.end_amdhsa_kernel
	.text
.Lfunc_end13:
	.size	naive_conv_ab_nonpacked_fwd_nchw_int8_t_int32_t_float_0, .Lfunc_end13-naive_conv_ab_nonpacked_fwd_nchw_int8_t_int32_t_float_0
                                        ; -- End function
	.section	.AMDGPU.csdata,"",@progbits
; Kernel info:
; codeLenInByte = 1396
; NumSgprs: 74
; NumVgprs: 18
; NumAgprs: 0
; TotalNumVgprs: 18
; ScratchSize: 0
; MemoryBound: 0
; FloatMode: 240
; IeeeMode: 1
; LDSByteSize: 0 bytes/workgroup (compile time only)
; SGPRBlocks: 9
; VGPRBlocks: 2
; NumSGPRsForWavesPerEU: 74
; NumVGPRsForWavesPerEU: 18
; AccumOffset: 20
; Occupancy: 8
; WaveLimiterHint : 0
; COMPUTE_PGM_RSRC2:SCRATCH_EN: 0
; COMPUTE_PGM_RSRC2:USER_SGPR: 2
; COMPUTE_PGM_RSRC2:TRAP_HANDLER: 0
; COMPUTE_PGM_RSRC2:TGID_X_EN: 1
; COMPUTE_PGM_RSRC2:TGID_Y_EN: 0
; COMPUTE_PGM_RSRC2:TGID_Z_EN: 0
; COMPUTE_PGM_RSRC2:TIDIG_COMP_CNT: 0
; COMPUTE_PGM_RSRC3_GFX90A:ACCUM_OFFSET: 4
; COMPUTE_PGM_RSRC3_GFX90A:TG_SPLIT: 0
	.text
	.protected	naive_conv_ab_packed_fwd_nhwc_float_double_float_0 ; -- Begin function naive_conv_ab_packed_fwd_nhwc_float_double_float_0
	.globl	naive_conv_ab_packed_fwd_nhwc_float_double_float_0
	.p2align	8
	.type	naive_conv_ab_packed_fwd_nhwc_float_double_float_0,@function
naive_conv_ab_packed_fwd_nhwc_float_double_float_0: ; @naive_conv_ab_packed_fwd_nhwc_float_double_float_0
; %bb.0:
	s_load_dwordx16 s[4:19], s[0:1], 0xa0
	s_abs_i32 s20, s2
	s_waitcnt lgkmcnt(0)
	s_abs_i32 s3, s9
	v_cvt_f32_u32_e32 v1, s3
	s_sub_i32 s21, 0, s3
	v_rcp_iflag_f32_e32 v1, v1
	s_nop 0
	v_mul_f32_e32 v1, 0x4f7ffffe, v1
	v_cvt_u32_f32_e32 v1, v1
	s_nop 0
	v_readfirstlane_b32 s22, v1
	s_mul_i32 s21, s21, s22
	s_mul_hi_u32 s21, s22, s21
	s_add_i32 s22, s22, s21
	s_mul_hi_u32 s21, s20, s22
	s_mul_i32 s22, s21, s3
	s_sub_i32 s20, s20, s22
	s_add_i32 s23, s21, 1
	s_sub_i32 s22, s20, s3
	s_cmp_ge_u32 s20, s3
	s_cselect_b32 s21, s23, s21
	s_cselect_b32 s20, s22, s20
	s_add_i32 s22, s21, 1
	s_cmp_ge_u32 s20, s3
	s_cselect_b32 s28, s22, s21
	s_abs_i32 s3, s6
	v_cvt_f32_u32_e32 v1, s3
	s_mul_i32 s6, s19, s7
	s_mul_i32 s33, s6, s10
	v_cmp_gt_i32_e32 vcc, s33, v0
	v_rcp_iflag_f32_e32 v1, v1
	s_nop 0
	v_mul_f32_e32 v1, 0x4f7ffffe, v1
	v_cvt_u32_f32_e32 v1, v1
	s_nop 0
	v_readfirstlane_b32 s29, v1
	s_and_saveexec_b64 s[20:21], vcc
	s_cbranch_execz .LBB14_18
; %bb.1:
	s_xor_b32 s30, s2, s9
	s_ashr_i32 s30, s30, 31
	s_sub_i32 s34, 0, s3
	s_xor_b32 s28, s28, s30
	s_mul_i32 s34, s34, s29
	s_sub_i32 s28, s28, s30
	s_mul_hi_u32 s34, s29, s34
	s_abs_i32 s31, s28
	s_add_i32 s29, s29, s34
	s_mul_hi_u32 s29, s31, s29
	s_ashr_i32 s30, s28, 31
	s_mul_i32 s28, s28, s9
	s_mul_i32 s29, s29, s3
	s_sub_i32 s34, s2, s28
	s_sub_i32 s2, s31, s29
	;; [unrolled: 1-line block ×3, first 2 shown]
	s_cmp_ge_u32 s2, s3
	s_cselect_b32 s2, s28, s2
	s_sub_i32 s28, s2, s3
	s_cmp_ge_u32 s2, s3
	s_cselect_b32 s2, s28, s2
	s_xor_b32 s2, s2, s30
	s_mul_i32 s19, s19, s8
	s_sub_i32 s40, s2, s30
	s_ashr_i32 s41, s40, 31
	s_ashr_i32 s52, s5, 31
	;; [unrolled: 1-line block ×3, first 2 shown]
	s_mul_hi_i32 s2, s40, s9
	s_mul_i32 s3, s40, s9
	s_ashr_i32 s55, s6, 31
	s_ashr_i32 s9, s34, 31
	s_add_u32 s28, s3, s34
	s_addc_u32 s2, s2, s9
	s_mul_hi_i32 s3, s6, s10
	s_mul_i32 s2, s33, s2
	s_mul_hi_u32 s9, s33, s28
	s_add_i32 s9, s9, s2
	s_mul_i32 s10, s3, s28
	s_load_dwordx2 s[2:3], s[0:1], 0x20
	s_load_dword s38, s[0:1], 0xec
	s_add_i32 s29, s9, s10
	s_mul_i32 s28, s33, s28
	s_lshl_b64 s[28:29], s[28:29], 2
	s_waitcnt lgkmcnt(0)
	s_add_u32 s2, s2, s28
	s_addc_u32 s3, s3, s29
	s_cmp_lt_i32 s17, 1
	s_mul_i32 s34, s34, s11
	s_cselect_b64 s[10:11], -1, 0
	s_sub_i32 s15, s34, s15
	s_cmp_gt_i32 s18, 0
	s_cselect_b64 s[28:29], -1, 0
	s_cmp_gt_i32 s8, 0
	s_cselect_b64 s[30:31], -1, 0
	s_abs_i32 s58, s6
	v_cvt_f32_u32_e32 v1, s58
	s_abs_i32 s59, s7
	v_cvt_f32_u32_e32 v2, s59
	s_load_dwordx8 s[20:27], s[0:1], 0x0
	v_rcp_iflag_f32_e32 v1, v1
	s_mov_b32 s53, s5
	v_rcp_iflag_f32_e32 v2, v2
	s_ashr_i32 s9, s8, 31
	v_mul_f32_e32 v1, 0x4f7ffffe, v1
	v_cvt_u32_f32_e32 v1, v1
	v_mul_f32_e32 v2, 0x4f7ffffe, v2
	s_waitcnt lgkmcnt(0)
	v_cmp_neq_f64_e64 s[0:1], s[24:25], 1.0
	v_cmp_neq_f64_e64 s[36:37], s[26:27], 0
	v_cvt_u32_f32_e32 v2, v2
	s_or_b64 s[36:37], s[0:1], s[36:37]
	s_sub_i32 s0, 0, s58
	v_mul_lo_u32 v3, s0, v1
	v_mul_hi_u32 v3, v1, v3
	s_sub_i32 s0, 0, s59
	v_add_u32_e32 v1, v1, v3
	v_mul_lo_u32 v3, s0, v2
	s_mul_hi_i32 s0, s5, s4
	s_mul_i32 s5, s5, s4
	s_and_b32 s60, s38, 0xffff
	s_lshl_b64 s[38:39], s[8:9], 2
	s_mul_i32 s1, s5, s41
	s_mul_hi_u32 s9, s5, s40
	s_add_i32 s1, s9, s1
	s_mul_i32 s0, s0, s40
	s_add_i32 s1, s1, s0
	s_mul_i32 s0, s5, s40
	s_ashr_i32 s42, s17, 31
	s_lshl_b64 s[40:41], s[0:1], 2
	s_mul_i32 s0, s18, s8
	s_mul_i32 s1, s0, s42
	s_mul_hi_u32 s5, s0, s17
	s_add_i32 s5, s5, s1
	s_mul_hi_i32 s1, s18, s8
	s_mul_i32 s9, s1, s17
	v_mul_hi_u32 v3, v2, v3
	s_add_i32 s43, s5, s9
	s_mul_i32 s42, s0, s17
	s_ashr_i32 s56, s7, 31
	s_mov_b32 s57, s7
	s_mov_b64 s[34:35], 0
	v_add_u32_e32 v20, v2, v3
	s_lshl_b64 s[42:43], s[42:43], 2
	s_lshl_b64 s[44:45], s[0:1], 2
	v_mov_b32_e32 v3, 0
	s_branch .LBB14_3
.LBB14_2:                               ;   in Loop: Header=BB14_3 Depth=1
	v_add_u32_e32 v0, s60, v0
	v_cmp_le_i32_e32 vcc, s33, v0
	v_cvt_f32_f64_e32 v2, v[8:9]
	s_or_b64 s[34:35], vcc, s[34:35]
	global_store_dword v[4:5], v2, off
	s_andn2_b64 exec, exec, s[34:35]
	s_cbranch_execz .LBB14_18
.LBB14_3:                               ; =>This Loop Header: Depth=1
                                        ;     Child Loop BB14_8 Depth 2
                                        ;       Child Loop BB14_11 Depth 3
                                        ;         Child Loop BB14_14 Depth 4
	v_sub_u32_e32 v4, 0, v0
	v_max_i32_e32 v4, v0, v4
	v_mul_hi_u32 v5, v4, v1
	v_mul_lo_u32 v6, v5, s58
	v_sub_u32_e32 v4, v4, v6
	v_add_u32_e32 v6, 1, v5
	v_cmp_le_u32_e32 vcc, s58, v4
	v_ashrrev_i32_e32 v2, 31, v0
	v_xor_b32_e32 v2, s55, v2
	v_cndmask_b32_e32 v5, v5, v6, vcc
	v_subrev_u32_e32 v6, s58, v4
	v_cndmask_b32_e32 v4, v4, v6, vcc
	v_add_u32_e32 v6, 1, v5
	v_cmp_le_u32_e32 vcc, s58, v4
	s_nop 1
	v_cndmask_b32_e32 v4, v5, v6, vcc
	v_xor_b32_e32 v4, v4, v2
	v_sub_u32_e32 v21, v4, v2
	v_mul_lo_u32 v2, v21, s6
	v_sub_u32_e32 v12, v0, v2
	v_sub_u32_e32 v4, 0, v12
	v_max_i32_e32 v4, v12, v4
	v_mul_hi_u32 v5, v4, v20
	v_mul_lo_u32 v6, v5, s59
	v_sub_u32_e32 v4, v4, v6
	v_add_u32_e32 v6, 1, v5
	v_cmp_le_u32_e32 vcc, s59, v4
	v_ashrrev_i32_e32 v13, 31, v12
	v_xor_b32_e32 v2, s56, v13
	v_cndmask_b32_e32 v5, v5, v6, vcc
	v_subrev_u32_e32 v6, s59, v4
	v_cndmask_b32_e32 v4, v4, v6, vcc
	v_add_u32_e32 v6, 1, v5
	v_cmp_le_u32_e32 vcc, s59, v4
	s_nop 1
	v_cndmask_b32_e32 v4, v5, v6, vcc
	v_xor_b32_e32 v4, v4, v2
	v_sub_u32_e32 v14, v4, v2
	v_mul_lo_u32 v2, v14, s7
	v_sub_u32_e32 v4, v12, v2
	s_andn2_b64 vcc, exec, s[10:11]
	v_ashrrev_i32_e32 v5, 31, v4
	s_cbranch_vccnz .LBB14_5
; %bb.4:                                ;   in Loop: Header=BB14_3 Depth=1
	v_mad_i64_i32 v[6:7], s[0:1], v14, s57, 0
	s_mov_b64 s[0:1], 0
	s_nop 0
	v_mov_b64_e32 v[8:9], s[0:1]
	s_cbranch_execz .LBB14_6
	s_branch .LBB14_16
.LBB14_5:                               ;   in Loop: Header=BB14_3 Depth=1
                                        ; implicit-def: $sgpr0_sgpr1
                                        ; implicit-def: $vgpr6_vgpr7
	v_mov_b64_e32 v[8:9], s[0:1]
.LBB14_6:                               ;   in Loop: Header=BB14_3 Depth=1
	v_ashrrev_i32_e32 v15, 31, v14
	v_mov_b64_e32 v[8:9], s[20:21]
	v_mad_u64_u32 v[10:11], s[0:1], s38, v14, v[8:9]
	v_mul_lo_u32 v8, s39, v14
	v_mul_lo_u32 v9, s38, v15
	v_add3_u32 v11, v8, v11, v9
	v_mad_i64_i32 v[8:9], s[0:1], v14, s57, v[12:13]
	v_ashrrev_i32_e32 v12, 31, v2
	v_sub_co_u32_e32 v2, vcc, v8, v2
	v_mul_lo_u32 v6, v21, s12
	s_nop 0
	v_subb_co_u32_e32 v8, vcc, v9, v12, vcc
	v_subrev_u32_e32 v22, s16, v6
	v_mad_i64_i32 v[6:7], s[0:1], v14, s57, 0
	v_mul_lo_u32 v14, s42, v8
	v_mov_b64_e32 v[8:9], s[22:23]
	v_mul_lo_u32 v15, s43, v2
	v_mad_u64_u32 v[12:13], s[0:1], s42, v2, v[8:9]
	v_add3_u32 v13, v15, v13, v14
	s_mov_b32 s5, 0
	v_mov_b64_e32 v[8:9], 0
	s_mov_b32 s9, s15
	s_branch .LBB14_8
.LBB14_7:                               ;   in Loop: Header=BB14_8 Depth=2
	s_add_i32 s5, s5, 1
	s_add_i32 s9, s9, s13
	s_cmp_eq_u32 s5, s17
	v_lshl_add_u64 v[12:13], v[12:13], 0, s[44:45]
	s_cbranch_scc1 .LBB14_16
.LBB14_8:                               ;   Parent Loop BB14_3 Depth=1
                                        ; =>  This Loop Header: Depth=2
                                        ;       Child Loop BB14_11 Depth 3
                                        ;         Child Loop BB14_14 Depth 4
	s_andn2_b64 vcc, exec, s[28:29]
	s_cbranch_vccnz .LBB14_7
; %bb.9:                                ;   in Loop: Header=BB14_8 Depth=2
	s_mul_i32 s0, s52, s9
	s_mul_hi_u32 s1, s53, s9
	s_add_i32 s47, s1, s0
	s_mul_i32 s0, s5, s13
	s_add_i32 s48, s0, s15
	s_cmp_lt_i32 s48, 0
	s_cselect_b64 s[0:1], -1, 0
	s_cmp_ge_i32 s48, s4
	s_cselect_b64 s[48:49], -1, 0
	s_mul_i32 s46, s53, s9
	s_mov_b32 s61, 0
	s_or_b64 s[48:49], s[0:1], s[48:49]
	v_mov_b64_e32 v[14:15], v[12:13]
	v_mov_b32_e32 v2, v22
	s_branch .LBB14_11
.LBB14_10:                              ;   in Loop: Header=BB14_11 Depth=3
	s_add_i32 s61, s61, 1
	v_add_u32_e32 v2, s14, v2
	s_cmp_eq_u32 s61, s18
	v_lshl_add_u64 v[14:15], v[14:15], 0, s[38:39]
	s_cbranch_scc1 .LBB14_7
.LBB14_11:                              ;   Parent Loop BB14_3 Depth=1
                                        ;     Parent Loop BB14_8 Depth=2
                                        ; =>    This Loop Header: Depth=3
                                        ;         Child Loop BB14_14 Depth 4
	s_andn2_b64 vcc, exec, s[30:31]
	s_cbranch_vccnz .LBB14_10
; %bb.12:                               ;   in Loop: Header=BB14_11 Depth=3
	v_lshl_add_u64 v[16:17], s[46:47], 0, v[2:3]
	v_lshl_add_u64 v[16:17], v[16:17], 2, s[40:41]
	v_mul_lo_u32 v18, s19, v17
	v_mul_lo_u32 v19, s54, v16
	v_mad_u64_u32 v[16:17], s[0:1], s19, v16, v[10:11]
	s_mul_i32 s0, s61, s14
	v_add3_u32 v17, v19, v17, v18
	v_add_u32_e32 v18, s0, v22
	v_cmp_gt_i32_e32 vcc, 0, v18
	v_cmp_le_i32_e64 s[0:1], s53, v18
	s_or_b64 s[0:1], vcc, s[0:1]
	s_or_b64 s[0:1], s[48:49], s[0:1]
	s_xor_b64 s[0:1], s[0:1], -1
	v_mov_b64_e32 v[18:19], v[14:15]
	s_mov_b32 s62, s8
	s_branch .LBB14_14
.LBB14_13:                              ;   in Loop: Header=BB14_14 Depth=4
	s_or_b64 exec, exec, s[50:51]
	s_add_i32 s62, s62, -1
	v_lshl_add_u64 v[16:17], v[16:17], 0, 4
	s_cmp_eq_u32 s62, 0
	v_lshl_add_u64 v[18:19], v[18:19], 0, 4
	s_cbranch_scc1 .LBB14_10
.LBB14_14:                              ;   Parent Loop BB14_3 Depth=1
                                        ;     Parent Loop BB14_8 Depth=2
                                        ;       Parent Loop BB14_11 Depth=3
                                        ; =>      This Inner Loop Header: Depth=4
	s_and_saveexec_b64 s[50:51], s[0:1]
	s_cbranch_execz .LBB14_13
; %bb.15:                               ;   in Loop: Header=BB14_14 Depth=4
	global_load_dword v23, v[16:17], off
	global_load_dword v26, v[18:19], off
	s_waitcnt vmcnt(1)
	v_cvt_f64_f32_e32 v[24:25], v23
	s_waitcnt vmcnt(0)
	v_cvt_f64_f32_e32 v[26:27], v26
	v_fmac_f64_e32 v[8:9], v[24:25], v[26:27]
	s_branch .LBB14_13
.LBB14_16:                              ;   in Loop: Header=BB14_3 Depth=1
	v_mad_i64_i32 v[10:11], s[0:1], v21, s6, 0
	v_lshl_add_u64 v[10:11], v[10:11], 2, s[2:3]
	v_lshl_add_u64 v[6:7], v[6:7], 2, v[10:11]
	s_andn2_b64 vcc, exec, s[36:37]
	v_lshl_add_u64 v[4:5], v[4:5], 2, v[6:7]
	s_cbranch_vccnz .LBB14_2
; %bb.17:                               ;   in Loop: Header=BB14_3 Depth=1
	global_load_dword v2, v[4:5], off
	s_waitcnt vmcnt(0)
	v_cvt_f64_f32_e32 v[6:7], v2
	v_mul_f64 v[6:7], v[6:7], s[26:27]
	v_fmac_f64_e32 v[6:7], s[24:25], v[8:9]
	v_mov_b64_e32 v[8:9], v[6:7]
	s_branch .LBB14_2
.LBB14_18:
	s_endpgm
	.section	.rodata,"a",@progbits
	.p2align	6, 0x0
	.amdhsa_kernel naive_conv_ab_packed_fwd_nhwc_float_double_float_0
		.amdhsa_group_segment_fixed_size 0
		.amdhsa_private_segment_fixed_size 0
		.amdhsa_kernarg_size 480
		.amdhsa_user_sgpr_count 2
		.amdhsa_user_sgpr_dispatch_ptr 0
		.amdhsa_user_sgpr_queue_ptr 0
		.amdhsa_user_sgpr_kernarg_segment_ptr 1
		.amdhsa_user_sgpr_dispatch_id 0
		.amdhsa_user_sgpr_kernarg_preload_length 0
		.amdhsa_user_sgpr_kernarg_preload_offset 0
		.amdhsa_user_sgpr_private_segment_size 0
		.amdhsa_uses_dynamic_stack 0
		.amdhsa_enable_private_segment 0
		.amdhsa_system_sgpr_workgroup_id_x 1
		.amdhsa_system_sgpr_workgroup_id_y 0
		.amdhsa_system_sgpr_workgroup_id_z 0
		.amdhsa_system_sgpr_workgroup_info 0
		.amdhsa_system_vgpr_workitem_id 0
		.amdhsa_next_free_vgpr 28
		.amdhsa_next_free_sgpr 63
		.amdhsa_accum_offset 28
		.amdhsa_reserve_vcc 1
		.amdhsa_float_round_mode_32 0
		.amdhsa_float_round_mode_16_64 0
		.amdhsa_float_denorm_mode_32 3
		.amdhsa_float_denorm_mode_16_64 3
		.amdhsa_dx10_clamp 1
		.amdhsa_ieee_mode 1
		.amdhsa_fp16_overflow 0
		.amdhsa_tg_split 0
		.amdhsa_exception_fp_ieee_invalid_op 0
		.amdhsa_exception_fp_denorm_src 0
		.amdhsa_exception_fp_ieee_div_zero 0
		.amdhsa_exception_fp_ieee_overflow 0
		.amdhsa_exception_fp_ieee_underflow 0
		.amdhsa_exception_fp_ieee_inexact 0
		.amdhsa_exception_int_div_zero 0
	.end_amdhsa_kernel
	.text
.Lfunc_end14:
	.size	naive_conv_ab_packed_fwd_nhwc_float_double_float_0, .Lfunc_end14-naive_conv_ab_packed_fwd_nhwc_float_double_float_0
                                        ; -- End function
	.section	.AMDGPU.csdata,"",@progbits
; Kernel info:
; codeLenInByte = 1412
; NumSgprs: 69
; NumVgprs: 28
; NumAgprs: 0
; TotalNumVgprs: 28
; ScratchSize: 0
; MemoryBound: 0
; FloatMode: 240
; IeeeMode: 1
; LDSByteSize: 0 bytes/workgroup (compile time only)
; SGPRBlocks: 8
; VGPRBlocks: 3
; NumSGPRsForWavesPerEU: 69
; NumVGPRsForWavesPerEU: 28
; AccumOffset: 28
; Occupancy: 8
; WaveLimiterHint : 0
; COMPUTE_PGM_RSRC2:SCRATCH_EN: 0
; COMPUTE_PGM_RSRC2:USER_SGPR: 2
; COMPUTE_PGM_RSRC2:TRAP_HANDLER: 0
; COMPUTE_PGM_RSRC2:TGID_X_EN: 1
; COMPUTE_PGM_RSRC2:TGID_Y_EN: 0
; COMPUTE_PGM_RSRC2:TGID_Z_EN: 0
; COMPUTE_PGM_RSRC2:TIDIG_COMP_CNT: 0
; COMPUTE_PGM_RSRC3_GFX90A:ACCUM_OFFSET: 6
; COMPUTE_PGM_RSRC3_GFX90A:TG_SPLIT: 0
	.text
	.protected	naive_conv_ab_nonpacked_fwd_nhwc_float_double_float_0 ; -- Begin function naive_conv_ab_nonpacked_fwd_nhwc_float_double_float_0
	.globl	naive_conv_ab_nonpacked_fwd_nhwc_float_double_float_0
	.p2align	8
	.type	naive_conv_ab_nonpacked_fwd_nhwc_float_double_float_0,@function
naive_conv_ab_nonpacked_fwd_nhwc_float_double_float_0: ; @naive_conv_ab_nonpacked_fwd_nhwc_float_double_float_0
; %bb.0:
	s_load_dwordx16 s[4:19], s[0:1], 0xa0
	s_abs_i32 s20, s2
	s_waitcnt lgkmcnt(0)
	s_abs_i32 s3, s9
	v_cvt_f32_u32_e32 v1, s3
	s_sub_i32 s21, 0, s3
	v_rcp_iflag_f32_e32 v1, v1
	s_nop 0
	v_mul_f32_e32 v1, 0x4f7ffffe, v1
	v_cvt_u32_f32_e32 v1, v1
	s_nop 0
	v_readfirstlane_b32 s22, v1
	s_mul_i32 s21, s21, s22
	s_mul_hi_u32 s21, s22, s21
	s_add_i32 s22, s22, s21
	s_mul_hi_u32 s21, s20, s22
	s_mul_i32 s22, s21, s3
	s_sub_i32 s20, s20, s22
	s_add_i32 s23, s21, 1
	s_sub_i32 s22, s20, s3
	s_cmp_ge_u32 s20, s3
	s_cselect_b32 s21, s23, s21
	s_cselect_b32 s20, s22, s20
	s_add_i32 s22, s21, 1
	s_cmp_ge_u32 s20, s3
	s_cselect_b32 s28, s22, s21
	s_abs_i32 s3, s6
	v_cvt_f32_u32_e32 v1, s3
	s_mul_i32 s6, s19, s7
	s_mul_i32 s19, s6, s10
	v_cmp_gt_i32_e32 vcc, s19, v0
	v_rcp_iflag_f32_e32 v1, v1
	s_nop 0
	v_mul_f32_e32 v1, 0x4f7ffffe, v1
	v_cvt_u32_f32_e32 v1, v1
	s_nop 0
	v_readfirstlane_b32 s10, v1
	s_and_saveexec_b64 s[20:21], vcc
	s_cbranch_execz .LBB15_18
; %bb.1:
	s_xor_b32 s29, s2, s9
	s_ashr_i32 s29, s29, 31
	s_xor_b32 s28, s28, s29
	s_sub_i32 s33, s28, s29
	s_sub_i32 s28, 0, s3
	s_mul_i32 s28, s28, s10
	s_mul_hi_u32 s28, s10, s28
	s_abs_i32 s63, s33
	s_add_i32 s10, s10, s28
	s_mul_hi_u32 s10, s63, s10
	s_ashr_i32 s62, s33, 31
	s_mul_i32 s33, s33, s9
	s_mul_i32 s10, s10, s3
	s_sub_i32 s9, s2, s33
	s_sub_i32 s2, s63, s10
	s_sub_i32 s10, s2, s3
	s_cmp_ge_u32 s2, s3
	s_cselect_b32 s2, s10, s2
	s_sub_i32 s10, s2, s3
	s_cmp_ge_u32 s2, s3
	s_cselect_b32 s2, s10, s2
	s_load_dwordx8 s[20:27], s[0:1], 0x0
	s_load_dwordx2 s[34:35], s[0:1], 0x20
	s_load_dwordx16 s[36:51], s[0:1], 0x28
	s_load_dwordx2 s[60:61], s[0:1], 0x98
	s_load_dwordx4 s[28:31], s[0:1], 0x88
	s_load_dwordx8 s[52:59], s[0:1], 0x68
	s_xor_b32 s2, s2, s62
	s_sub_i32 s62, s2, s62
	s_ashr_i32 s63, s62, 31
	s_waitcnt lgkmcnt(0)
	s_mul_i32 s2, s60, s63
	s_mul_hi_u32 s3, s60, s62
	s_ashr_i32 s10, s9, 31
	s_add_i32 s2, s3, s2
	s_mul_i32 s3, s61, s62
	s_mul_i32 s10, s30, s10
	s_mul_hi_u32 s33, s30, s9
	s_add_i32 s3, s2, s3
	s_mul_i32 s2, s60, s62
	s_add_i32 s10, s33, s10
	s_mul_i32 s31, s31, s9
	s_add_i32 s31, s10, s31
	s_lshl_b64 s[2:3], s[2:3], 2
	s_mul_i32 s30, s30, s9
	s_add_u32 s10, s34, s2
	s_addc_u32 s33, s35, s3
	s_lshl_b64 s[2:3], s[30:31], 2
	s_add_u32 s2, s10, s2
	s_addc_u32 s3, s33, s3
	s_cmp_lt_i32 s17, 1
	s_mul_i32 s9, s9, s11
	s_cselect_b64 s[10:11], -1, 0
	s_sub_i32 s9, s9, s15
	s_cmp_gt_i32 s18, 0
	s_cselect_b64 s[30:31], -1, 0
	s_cmp_gt_i32 s8, 0
	s_cselect_b64 s[34:35], -1, 0
	s_abs_i32 s66, s6
	v_cvt_f32_u32_e32 v1, s66
	s_abs_i32 s68, s7
	v_cvt_f32_u32_e32 v2, s68
	s_load_dword s15, s[0:1], 0xec
	v_rcp_iflag_f32_e32 v1, v1
	v_cmp_neq_f64_e64 s[0:1], s[24:25], 1.0
	v_rcp_iflag_f32_e32 v2, v2
	v_cmp_neq_f64_e64 s[60:61], s[26:27], 0
	v_mul_f32_e32 v1, 0x4f7ffffe, v1
	v_cvt_u32_f32_e32 v1, v1
	v_mul_f32_e32 v2, 0x4f7ffffe, v2
	v_cvt_u32_f32_e32 v2, v2
	s_or_b64 s[60:61], s[0:1], s[60:61]
	s_sub_i32 s64, 0, s66
	s_mul_i32 s0, s44, s63
	s_mul_hi_u32 s1, s44, s62
	s_add_i32 s0, s1, s0
	s_mul_i32 s1, s45, s62
	v_mul_lo_u32 v3, s64, v1
	s_sub_i32 s65, 0, s68
	s_add_i32 s1, s0, s1
	s_mul_i32 s0, s44, s62
	v_mul_hi_u32 v3, v1, v3
	s_waitcnt lgkmcnt(0)
	s_and_b32 s15, s15, 0xffff
	s_ashr_i32 s33, s6, 31
	s_ashr_i32 s67, s7, 31
	s_lshl_b64 s[52:53], s[52:53], 2
	s_lshl_b64 s[0:1], s[0:1], 2
	;; [unrolled: 1-line block ×6, first 2 shown]
	v_add_u32_e32 v5, v1, v3
	v_mul_lo_u32 v1, s65, v2
	s_add_u32 s20, s20, s0
	v_mul_hi_u32 v1, v2, v1
	s_addc_u32 s21, s21, s1
	s_lshl_b64 s[38:39], s[38:39], 2
	s_lshl_b64 s[42:43], s[42:43], 2
	;; [unrolled: 1-line block ×4, first 2 shown]
	s_mov_b64 s[54:55], 0
	v_add_u32_e32 v20, v2, v1
	s_branch .LBB15_3
.LBB15_2:                               ;   in Loop: Header=BB15_3 Depth=1
	v_add_u32_e32 v0, s15, v0
	v_cmp_le_i32_e32 vcc, s19, v0
	v_cvt_f32_f64_e32 v1, v[6:7]
	s_or_b64 s[54:55], vcc, s[54:55]
	global_store_dword v[2:3], v1, off
	s_andn2_b64 exec, exec, s[54:55]
	s_cbranch_execz .LBB15_18
.LBB15_3:                               ; =>This Loop Header: Depth=1
                                        ;     Child Loop BB15_8 Depth 2
                                        ;       Child Loop BB15_11 Depth 3
                                        ;         Child Loop BB15_14 Depth 4
	v_sub_u32_e32 v2, 0, v0
	v_max_i32_e32 v2, v0, v2
	v_mul_hi_u32 v3, v2, v5
	v_mul_lo_u32 v4, v3, s66
	v_sub_u32_e32 v2, v2, v4
	v_add_u32_e32 v4, 1, v3
	v_cmp_le_u32_e32 vcc, s66, v2
	v_ashrrev_i32_e32 v1, 31, v0
	v_xor_b32_e32 v1, s33, v1
	v_cndmask_b32_e32 v3, v3, v4, vcc
	v_subrev_u32_e32 v4, s66, v2
	v_cndmask_b32_e32 v2, v2, v4, vcc
	v_add_u32_e32 v4, 1, v3
	v_cmp_le_u32_e32 vcc, s66, v2
	s_nop 1
	v_cndmask_b32_e32 v2, v3, v4, vcc
	v_xor_b32_e32 v2, v2, v1
	v_sub_u32_e32 v21, v2, v1
	v_mul_lo_u32 v1, v21, s6
	v_sub_u32_e32 v8, v0, v1
	v_sub_u32_e32 v2, 0, v8
	v_max_i32_e32 v2, v8, v2
	v_mul_hi_u32 v3, v2, v20
	v_mul_lo_u32 v4, v3, s68
	v_sub_u32_e32 v2, v2, v4
	v_add_u32_e32 v4, 1, v3
	v_cmp_le_u32_e32 vcc, s68, v2
	v_ashrrev_i32_e32 v9, 31, v8
	v_xor_b32_e32 v1, s67, v9
	v_cndmask_b32_e32 v3, v3, v4, vcc
	v_subrev_u32_e32 v4, s68, v2
	v_cndmask_b32_e32 v2, v2, v4, vcc
	v_add_u32_e32 v4, 1, v3
	v_cmp_le_u32_e32 vcc, s68, v2
	s_nop 1
	v_cndmask_b32_e32 v2, v3, v4, vcc
	v_xor_b32_e32 v2, v2, v1
	v_sub_u32_e32 v4, v2, v1
	v_mul_lo_u32 v10, v4, s7
	v_sub_u32_e32 v2, v8, v10
	s_andn2_b64 vcc, exec, s[10:11]
	v_ashrrev_i32_e32 v3, 31, v4
	v_ashrrev_i32_e32 v1, 31, v2
	s_cbranch_vccnz .LBB15_5
; %bb.4:                                ;   in Loop: Header=BB15_3 Depth=1
	s_mov_b64 s[0:1], 0
	v_mov_b64_e32 v[6:7], s[0:1]
	s_cbranch_execz .LBB15_6
	s_branch .LBB15_16
.LBB15_5:                               ;   in Loop: Header=BB15_3 Depth=1
                                        ; implicit-def: $sgpr0_sgpr1
	v_mov_b64_e32 v[6:7], s[0:1]
.LBB15_6:                               ;   in Loop: Header=BB15_3 Depth=1
	v_mul_lo_u32 v6, v21, s12
	v_subrev_u32_e32 v22, s16, v6
	v_ashrrev_i32_e32 v6, 31, v10
	v_sub_co_u32_e32 v8, vcc, v8, v10
	v_mul_lo_u32 v10, s45, v4
	s_nop 0
	v_subb_co_u32_e32 v9, vcc, v9, v6, vcc
	v_mul_lo_u32 v11, s44, v3
	v_mad_u64_u32 v[6:7], s[0:1], s44, v4, 0
	v_add3_u32 v7, v7, v11, v10
	v_mad_u64_u32 v[6:7], s[0:1], s52, v8, v[6:7]
	v_mul_lo_u32 v9, s52, v9
	v_mul_lo_u32 v8, s53, v8
	v_add3_u32 v7, v8, v7, v9
	v_lshl_add_u64 v[8:9], s[22:23], 0, v[6:7]
	v_mov_b64_e32 v[6:7], s[20:21]
	v_mad_u64_u32 v[10:11], s[0:1], s38, v4, v[6:7]
	v_mul_lo_u32 v6, s39, v4
	v_mul_lo_u32 v7, s38, v3
	v_add3_u32 v11, v6, v11, v7
	s_mov_b32 s69, 0
	v_mov_b64_e32 v[6:7], 0
	s_mov_b32 s70, s9
	s_branch .LBB15_8
.LBB15_7:                               ;   in Loop: Header=BB15_8 Depth=2
	s_add_i32 s69, s69, 1
	s_add_i32 s70, s70, s13
	s_cmp_eq_u32 s69, s17
	v_lshl_add_u64 v[8:9], v[8:9], 0, s[50:51]
	s_cbranch_scc1 .LBB15_16
.LBB15_8:                               ;   Parent Loop BB15_3 Depth=1
                                        ; =>  This Loop Header: Depth=2
                                        ;       Child Loop BB15_11 Depth 3
                                        ;         Child Loop BB15_14 Depth 4
	s_andn2_b64 vcc, exec, s[30:31]
	s_cbranch_vccnz .LBB15_7
; %bb.9:                                ;   in Loop: Header=BB15_8 Depth=2
	s_mul_i32 s0, s69, s13
	s_add_i32 s62, s0, s9
	s_cmp_lt_i32 s62, 0
	s_cselect_b64 s[0:1], -1, 0
	s_cmp_ge_i32 s62, s4
	s_cselect_b64 s[62:63], -1, 0
	v_mov_b32_e32 v12, s70
	s_or_b64 s[62:63], s[0:1], s[62:63]
	v_mad_u64_u32 v[12:13], s[0:1], s42, v12, v[10:11]
	s_mul_i32 s0, s43, s70
	s_mov_b32 s71, 0
	v_add_u32_e32 v13, s0, v13
	v_mov_b32_e32 v23, v22
	v_mov_b64_e32 v[14:15], v[8:9]
	s_branch .LBB15_11
.LBB15_10:                              ;   in Loop: Header=BB15_11 Depth=3
	s_add_i32 s71, s71, 1
	v_lshl_add_u64 v[14:15], v[14:15], 0, s[48:49]
	s_cmp_eq_u32 s71, s18
	v_add_u32_e32 v23, s14, v23
	s_cbranch_scc1 .LBB15_7
.LBB15_11:                              ;   Parent Loop BB15_3 Depth=1
                                        ;     Parent Loop BB15_8 Depth=2
                                        ; =>    This Loop Header: Depth=3
                                        ;         Child Loop BB15_14 Depth 4
	s_andn2_b64 vcc, exec, s[34:35]
	s_cbranch_vccnz .LBB15_10
; %bb.12:                               ;   in Loop: Header=BB15_11 Depth=3
	v_mad_u64_u32 v[16:17], s[0:1], s40, v23, v[12:13]
	v_mov_b32_e32 v18, v17
	v_mad_u64_u32 v[18:19], s[0:1], s41, v23, v[18:19]
	s_mul_i32 s0, s71, s14
	v_mov_b32_e32 v17, v18
	v_add_u32_e32 v18, s0, v22
	v_cmp_gt_i32_e32 vcc, 0, v18
	v_cmp_le_i32_e64 s[0:1], s5, v18
	s_or_b64 s[0:1], vcc, s[0:1]
	s_or_b64 s[0:1], s[62:63], s[0:1]
	s_xor_b64 s[0:1], s[0:1], -1
	v_mov_b64_e32 v[18:19], v[14:15]
	s_mov_b32 s72, s8
	s_branch .LBB15_14
.LBB15_13:                              ;   in Loop: Header=BB15_14 Depth=4
	s_or_b64 exec, exec, s[64:65]
	s_add_i32 s72, s72, -1
	v_lshl_add_u64 v[18:19], v[18:19], 0, s[46:47]
	s_cmp_eq_u32 s72, 0
	v_lshl_add_u64 v[16:17], v[16:17], 0, s[36:37]
	s_cbranch_scc1 .LBB15_10
.LBB15_14:                              ;   Parent Loop BB15_3 Depth=1
                                        ;     Parent Loop BB15_8 Depth=2
                                        ;       Parent Loop BB15_11 Depth=3
                                        ; =>      This Inner Loop Header: Depth=4
	s_and_saveexec_b64 s[64:65], s[0:1]
	s_cbranch_execz .LBB15_13
; %bb.15:                               ;   in Loop: Header=BB15_14 Depth=4
	global_load_dword v24, v[16:17], off
	global_load_dword v26, v[18:19], off
	s_waitcnt vmcnt(1)
	v_cvt_f64_f32_e32 v[24:25], v24
	s_waitcnt vmcnt(0)
	v_cvt_f64_f32_e32 v[26:27], v26
	v_fmac_f64_e32 v[6:7], v[24:25], v[26:27]
	s_branch .LBB15_13
.LBB15_16:                              ;   in Loop: Header=BB15_3 Depth=1
	v_ashrrev_i32_e32 v8, 31, v21
	v_mul_lo_u32 v10, s29, v21
	v_mul_lo_u32 v11, s28, v8
	v_mad_u64_u32 v[8:9], s[0:1], s28, v21, 0
	v_add3_u32 v9, v9, v11, v10
	v_mul_lo_u32 v3, v3, s58
	v_mul_lo_u32 v12, v4, s59
	v_mad_u64_u32 v[10:11], s[0:1], v4, s58, 0
	v_add3_u32 v11, v11, v12, v3
	v_mul_lo_u32 v1, v1, s56
	v_mul_lo_u32 v4, v2, s57
	v_mad_u64_u32 v[2:3], s[0:1], v2, s56, 0
	v_lshl_add_u64 v[8:9], v[8:9], 2, s[2:3]
	v_add3_u32 v3, v3, v4, v1
	v_lshl_add_u64 v[8:9], v[10:11], 2, v[8:9]
	s_andn2_b64 vcc, exec, s[60:61]
	v_lshl_add_u64 v[2:3], v[2:3], 2, v[8:9]
	s_cbranch_vccnz .LBB15_2
; %bb.17:                               ;   in Loop: Header=BB15_3 Depth=1
	global_load_dword v1, v[2:3], off
	s_waitcnt vmcnt(0)
	v_cvt_f64_f32_e32 v[8:9], v1
	v_mul_f64 v[8:9], v[8:9], s[26:27]
	v_fmac_f64_e32 v[8:9], s[24:25], v[6:7]
	v_mov_b64_e32 v[6:7], v[8:9]
	s_branch .LBB15_2
.LBB15_18:
	s_endpgm
	.section	.rodata,"a",@progbits
	.p2align	6, 0x0
	.amdhsa_kernel naive_conv_ab_nonpacked_fwd_nhwc_float_double_float_0
		.amdhsa_group_segment_fixed_size 0
		.amdhsa_private_segment_fixed_size 0
		.amdhsa_kernarg_size 480
		.amdhsa_user_sgpr_count 2
		.amdhsa_user_sgpr_dispatch_ptr 0
		.amdhsa_user_sgpr_queue_ptr 0
		.amdhsa_user_sgpr_kernarg_segment_ptr 1
		.amdhsa_user_sgpr_dispatch_id 0
		.amdhsa_user_sgpr_kernarg_preload_length 0
		.amdhsa_user_sgpr_kernarg_preload_offset 0
		.amdhsa_user_sgpr_private_segment_size 0
		.amdhsa_uses_dynamic_stack 0
		.amdhsa_enable_private_segment 0
		.amdhsa_system_sgpr_workgroup_id_x 1
		.amdhsa_system_sgpr_workgroup_id_y 0
		.amdhsa_system_sgpr_workgroup_id_z 0
		.amdhsa_system_sgpr_workgroup_info 0
		.amdhsa_system_vgpr_workitem_id 0
		.amdhsa_next_free_vgpr 28
		.amdhsa_next_free_sgpr 73
		.amdhsa_accum_offset 28
		.amdhsa_reserve_vcc 1
		.amdhsa_float_round_mode_32 0
		.amdhsa_float_round_mode_16_64 0
		.amdhsa_float_denorm_mode_32 3
		.amdhsa_float_denorm_mode_16_64 3
		.amdhsa_dx10_clamp 1
		.amdhsa_ieee_mode 1
		.amdhsa_fp16_overflow 0
		.amdhsa_tg_split 0
		.amdhsa_exception_fp_ieee_invalid_op 0
		.amdhsa_exception_fp_denorm_src 0
		.amdhsa_exception_fp_ieee_div_zero 0
		.amdhsa_exception_fp_ieee_overflow 0
		.amdhsa_exception_fp_ieee_underflow 0
		.amdhsa_exception_fp_ieee_inexact 0
		.amdhsa_exception_int_div_zero 0
	.end_amdhsa_kernel
	.text
.Lfunc_end15:
	.size	naive_conv_ab_nonpacked_fwd_nhwc_float_double_float_0, .Lfunc_end15-naive_conv_ab_nonpacked_fwd_nhwc_float_double_float_0
                                        ; -- End function
	.section	.AMDGPU.csdata,"",@progbits
; Kernel info:
; codeLenInByte = 1500
; NumSgprs: 79
; NumVgprs: 28
; NumAgprs: 0
; TotalNumVgprs: 28
; ScratchSize: 0
; MemoryBound: 0
; FloatMode: 240
; IeeeMode: 1
; LDSByteSize: 0 bytes/workgroup (compile time only)
; SGPRBlocks: 9
; VGPRBlocks: 3
; NumSGPRsForWavesPerEU: 79
; NumVGPRsForWavesPerEU: 28
; AccumOffset: 28
; Occupancy: 8
; WaveLimiterHint : 0
; COMPUTE_PGM_RSRC2:SCRATCH_EN: 0
; COMPUTE_PGM_RSRC2:USER_SGPR: 2
; COMPUTE_PGM_RSRC2:TRAP_HANDLER: 0
; COMPUTE_PGM_RSRC2:TGID_X_EN: 1
; COMPUTE_PGM_RSRC2:TGID_Y_EN: 0
; COMPUTE_PGM_RSRC2:TGID_Z_EN: 0
; COMPUTE_PGM_RSRC2:TIDIG_COMP_CNT: 0
; COMPUTE_PGM_RSRC3_GFX90A:ACCUM_OFFSET: 6
; COMPUTE_PGM_RSRC3_GFX90A:TG_SPLIT: 0
	.text
	.protected	naive_conv_ab_packed_fwd_nhwc_float_double_float_1 ; -- Begin function naive_conv_ab_packed_fwd_nhwc_float_double_float_1
	.globl	naive_conv_ab_packed_fwd_nhwc_float_double_float_1
	.p2align	8
	.type	naive_conv_ab_packed_fwd_nhwc_float_double_float_1,@function
naive_conv_ab_packed_fwd_nhwc_float_double_float_1: ; @naive_conv_ab_packed_fwd_nhwc_float_double_float_1
; %bb.0:
	s_load_dwordx16 s[4:19], s[0:1], 0xa0
	s_abs_i32 s20, s2
	s_waitcnt lgkmcnt(0)
	s_abs_i32 s3, s9
	v_cvt_f32_u32_e32 v1, s3
	s_sub_i32 s21, 0, s3
	v_rcp_iflag_f32_e32 v1, v1
	s_nop 0
	v_mul_f32_e32 v1, 0x4f7ffffe, v1
	v_cvt_u32_f32_e32 v1, v1
	s_nop 0
	v_readfirstlane_b32 s22, v1
	s_mul_i32 s21, s21, s22
	s_mul_hi_u32 s21, s22, s21
	s_add_i32 s22, s22, s21
	s_mul_hi_u32 s21, s20, s22
	s_mul_i32 s22, s21, s3
	s_sub_i32 s20, s20, s22
	s_add_i32 s23, s21, 1
	s_sub_i32 s22, s20, s3
	s_cmp_ge_u32 s20, s3
	s_cselect_b32 s21, s23, s21
	s_cselect_b32 s20, s22, s20
	s_add_i32 s22, s21, 1
	s_cmp_ge_u32 s20, s3
	s_cselect_b32 s28, s22, s21
	s_abs_i32 s3, s6
	v_cvt_f32_u32_e32 v1, s3
	s_mul_i32 s6, s19, s7
	s_mul_i32 s33, s6, s10
	v_cmp_gt_i32_e32 vcc, s33, v0
	v_rcp_iflag_f32_e32 v1, v1
	s_nop 0
	v_mul_f32_e32 v1, 0x4f7ffffe, v1
	v_cvt_u32_f32_e32 v1, v1
	s_nop 0
	v_readfirstlane_b32 s29, v1
	s_and_saveexec_b64 s[20:21], vcc
	s_cbranch_execz .LBB16_18
; %bb.1:
	s_xor_b32 s30, s2, s9
	s_ashr_i32 s30, s30, 31
	s_sub_i32 s34, 0, s3
	s_xor_b32 s28, s28, s30
	s_mul_i32 s34, s34, s29
	s_sub_i32 s28, s28, s30
	s_mul_hi_u32 s34, s29, s34
	s_abs_i32 s31, s28
	s_add_i32 s29, s29, s34
	s_mul_hi_u32 s29, s31, s29
	s_ashr_i32 s30, s28, 31
	s_mul_i32 s28, s28, s9
	s_mul_i32 s29, s29, s3
	s_sub_i32 s34, s2, s28
	s_sub_i32 s2, s31, s29
	;; [unrolled: 1-line block ×3, first 2 shown]
	s_cmp_ge_u32 s2, s3
	s_cselect_b32 s2, s28, s2
	s_sub_i32 s28, s2, s3
	s_cmp_ge_u32 s2, s3
	s_cselect_b32 s2, s28, s2
	s_xor_b32 s2, s2, s30
	s_mul_i32 s19, s19, s8
	s_sub_i32 s40, s2, s30
	s_ashr_i32 s41, s40, 31
	s_ashr_i32 s52, s5, 31
	;; [unrolled: 1-line block ×3, first 2 shown]
	s_mul_hi_i32 s2, s40, s9
	s_mul_i32 s3, s40, s9
	s_ashr_i32 s55, s6, 31
	s_ashr_i32 s9, s34, 31
	s_add_u32 s28, s3, s34
	s_addc_u32 s2, s2, s9
	s_mul_hi_i32 s3, s6, s10
	s_mul_i32 s2, s33, s2
	s_mul_hi_u32 s9, s33, s28
	s_add_i32 s9, s9, s2
	s_mul_i32 s10, s3, s28
	s_load_dwordx2 s[2:3], s[0:1], 0x20
	s_load_dword s38, s[0:1], 0xec
	s_add_i32 s29, s9, s10
	s_mul_i32 s28, s33, s28
	s_lshl_b64 s[28:29], s[28:29], 2
	s_waitcnt lgkmcnt(0)
	s_add_u32 s2, s2, s28
	s_addc_u32 s3, s3, s29
	s_cmp_lt_i32 s17, 1
	s_mul_i32 s34, s34, s11
	s_cselect_b64 s[10:11], -1, 0
	s_sub_i32 s15, s34, s15
	s_cmp_gt_i32 s18, 0
	s_cselect_b64 s[28:29], -1, 0
	s_cmp_gt_i32 s8, 0
	s_cselect_b64 s[30:31], -1, 0
	s_abs_i32 s58, s6
	v_cvt_f32_u32_e32 v1, s58
	s_abs_i32 s59, s7
	v_cvt_f32_u32_e32 v2, s59
	s_load_dwordx8 s[20:27], s[0:1], 0x0
	v_rcp_iflag_f32_e32 v1, v1
	s_mov_b32 s53, s5
	v_rcp_iflag_f32_e32 v2, v2
	s_ashr_i32 s9, s8, 31
	v_mul_f32_e32 v1, 0x4f7ffffe, v1
	v_cvt_u32_f32_e32 v1, v1
	v_mul_f32_e32 v2, 0x4f7ffffe, v2
	s_waitcnt lgkmcnt(0)
	v_cmp_neq_f64_e64 s[0:1], s[24:25], 1.0
	v_cmp_neq_f64_e64 s[36:37], s[26:27], 0
	v_cvt_u32_f32_e32 v2, v2
	s_or_b64 s[36:37], s[0:1], s[36:37]
	s_sub_i32 s0, 0, s58
	v_mul_lo_u32 v3, s0, v1
	v_mul_hi_u32 v3, v1, v3
	s_sub_i32 s0, 0, s59
	v_add_u32_e32 v1, v1, v3
	v_mul_lo_u32 v3, s0, v2
	s_mul_hi_i32 s0, s5, s4
	s_mul_i32 s5, s5, s4
	s_and_b32 s60, s38, 0xffff
	s_lshl_b64 s[38:39], s[8:9], 2
	s_mul_i32 s1, s5, s41
	s_mul_hi_u32 s9, s5, s40
	s_add_i32 s1, s9, s1
	s_mul_i32 s0, s0, s40
	s_add_i32 s1, s1, s0
	s_mul_i32 s0, s5, s40
	s_ashr_i32 s42, s17, 31
	s_lshl_b64 s[40:41], s[0:1], 2
	s_mul_i32 s0, s18, s8
	s_mul_i32 s1, s0, s42
	s_mul_hi_u32 s5, s0, s17
	s_add_i32 s5, s5, s1
	s_mul_hi_i32 s1, s18, s8
	s_mul_i32 s9, s1, s17
	v_mul_hi_u32 v3, v2, v3
	s_add_i32 s43, s5, s9
	s_mul_i32 s42, s0, s17
	s_ashr_i32 s56, s7, 31
	s_mov_b32 s57, s7
	s_mov_b64 s[34:35], 0
	v_add_u32_e32 v20, v2, v3
	s_lshl_b64 s[42:43], s[42:43], 2
	s_lshl_b64 s[44:45], s[0:1], 2
	v_mov_b32_e32 v3, 0
	s_branch .LBB16_3
.LBB16_2:                               ;   in Loop: Header=BB16_3 Depth=1
	v_add_u32_e32 v0, s60, v0
	v_cmp_le_i32_e32 vcc, s33, v0
	v_cvt_f32_f64_e32 v2, v[8:9]
	s_or_b64 s[34:35], vcc, s[34:35]
	global_store_dword v[4:5], v2, off
	s_andn2_b64 exec, exec, s[34:35]
	s_cbranch_execz .LBB16_18
.LBB16_3:                               ; =>This Loop Header: Depth=1
                                        ;     Child Loop BB16_8 Depth 2
                                        ;       Child Loop BB16_11 Depth 3
                                        ;         Child Loop BB16_14 Depth 4
	v_sub_u32_e32 v4, 0, v0
	v_max_i32_e32 v4, v0, v4
	v_mul_hi_u32 v5, v4, v1
	v_mul_lo_u32 v6, v5, s58
	v_sub_u32_e32 v4, v4, v6
	v_add_u32_e32 v6, 1, v5
	v_cmp_le_u32_e32 vcc, s58, v4
	v_ashrrev_i32_e32 v2, 31, v0
	v_xor_b32_e32 v2, s55, v2
	v_cndmask_b32_e32 v5, v5, v6, vcc
	v_subrev_u32_e32 v6, s58, v4
	v_cndmask_b32_e32 v4, v4, v6, vcc
	v_add_u32_e32 v6, 1, v5
	v_cmp_le_u32_e32 vcc, s58, v4
	s_nop 1
	v_cndmask_b32_e32 v4, v5, v6, vcc
	v_xor_b32_e32 v4, v4, v2
	v_sub_u32_e32 v21, v4, v2
	v_mul_lo_u32 v2, v21, s6
	v_sub_u32_e32 v12, v0, v2
	v_sub_u32_e32 v4, 0, v12
	v_max_i32_e32 v4, v12, v4
	v_mul_hi_u32 v5, v4, v20
	v_mul_lo_u32 v6, v5, s59
	v_sub_u32_e32 v4, v4, v6
	v_add_u32_e32 v6, 1, v5
	v_cmp_le_u32_e32 vcc, s59, v4
	v_ashrrev_i32_e32 v13, 31, v12
	v_xor_b32_e32 v2, s56, v13
	v_cndmask_b32_e32 v5, v5, v6, vcc
	v_subrev_u32_e32 v6, s59, v4
	v_cndmask_b32_e32 v4, v4, v6, vcc
	v_add_u32_e32 v6, 1, v5
	v_cmp_le_u32_e32 vcc, s59, v4
	s_nop 1
	v_cndmask_b32_e32 v4, v5, v6, vcc
	v_xor_b32_e32 v4, v4, v2
	v_sub_u32_e32 v14, v4, v2
	v_mul_lo_u32 v2, v14, s7
	v_sub_u32_e32 v4, v12, v2
	s_andn2_b64 vcc, exec, s[10:11]
	v_ashrrev_i32_e32 v5, 31, v4
	s_cbranch_vccnz .LBB16_5
; %bb.4:                                ;   in Loop: Header=BB16_3 Depth=1
	v_mad_i64_i32 v[6:7], s[0:1], v14, s57, 0
	s_mov_b64 s[0:1], 0
	s_nop 0
	v_mov_b64_e32 v[8:9], s[0:1]
	s_cbranch_execz .LBB16_6
	s_branch .LBB16_16
.LBB16_5:                               ;   in Loop: Header=BB16_3 Depth=1
                                        ; implicit-def: $sgpr0_sgpr1
                                        ; implicit-def: $vgpr6_vgpr7
	v_mov_b64_e32 v[8:9], s[0:1]
.LBB16_6:                               ;   in Loop: Header=BB16_3 Depth=1
	v_ashrrev_i32_e32 v15, 31, v14
	v_mov_b64_e32 v[8:9], s[20:21]
	v_mad_u64_u32 v[10:11], s[0:1], s38, v14, v[8:9]
	v_mul_lo_u32 v8, s39, v14
	v_mul_lo_u32 v9, s38, v15
	v_add3_u32 v11, v8, v11, v9
	v_mad_i64_i32 v[8:9], s[0:1], v14, s57, v[12:13]
	v_ashrrev_i32_e32 v12, 31, v2
	v_sub_co_u32_e32 v2, vcc, v8, v2
	v_mul_lo_u32 v6, v21, s12
	s_nop 0
	v_subb_co_u32_e32 v8, vcc, v9, v12, vcc
	v_subrev_u32_e32 v22, s16, v6
	v_mad_i64_i32 v[6:7], s[0:1], v14, s57, 0
	v_mul_lo_u32 v14, s42, v8
	v_mov_b64_e32 v[8:9], s[22:23]
	v_mul_lo_u32 v15, s43, v2
	v_mad_u64_u32 v[12:13], s[0:1], s42, v2, v[8:9]
	v_add3_u32 v13, v15, v13, v14
	s_mov_b32 s5, 0
	v_mov_b64_e32 v[8:9], 0
	s_mov_b32 s9, s15
	s_branch .LBB16_8
.LBB16_7:                               ;   in Loop: Header=BB16_8 Depth=2
	s_add_i32 s5, s5, 1
	s_add_i32 s9, s9, s13
	s_cmp_eq_u32 s5, s17
	v_lshl_add_u64 v[12:13], v[12:13], 0, s[44:45]
	s_cbranch_scc1 .LBB16_16
.LBB16_8:                               ;   Parent Loop BB16_3 Depth=1
                                        ; =>  This Loop Header: Depth=2
                                        ;       Child Loop BB16_11 Depth 3
                                        ;         Child Loop BB16_14 Depth 4
	s_andn2_b64 vcc, exec, s[28:29]
	s_cbranch_vccnz .LBB16_7
; %bb.9:                                ;   in Loop: Header=BB16_8 Depth=2
	s_mul_i32 s0, s52, s9
	s_mul_hi_u32 s1, s53, s9
	s_add_i32 s47, s1, s0
	s_mul_i32 s0, s5, s13
	s_add_i32 s48, s0, s15
	s_cmp_lt_i32 s48, 0
	s_cselect_b64 s[0:1], -1, 0
	s_cmp_ge_i32 s48, s4
	s_cselect_b64 s[48:49], -1, 0
	s_mul_i32 s46, s53, s9
	s_mov_b32 s61, 0
	s_or_b64 s[48:49], s[0:1], s[48:49]
	v_mov_b64_e32 v[14:15], v[12:13]
	v_mov_b32_e32 v2, v22
	s_branch .LBB16_11
.LBB16_10:                              ;   in Loop: Header=BB16_11 Depth=3
	s_add_i32 s61, s61, 1
	v_add_u32_e32 v2, s14, v2
	s_cmp_eq_u32 s61, s18
	v_lshl_add_u64 v[14:15], v[14:15], 0, s[38:39]
	s_cbranch_scc1 .LBB16_7
.LBB16_11:                              ;   Parent Loop BB16_3 Depth=1
                                        ;     Parent Loop BB16_8 Depth=2
                                        ; =>    This Loop Header: Depth=3
                                        ;         Child Loop BB16_14 Depth 4
	s_andn2_b64 vcc, exec, s[30:31]
	s_cbranch_vccnz .LBB16_10
; %bb.12:                               ;   in Loop: Header=BB16_11 Depth=3
	v_lshl_add_u64 v[16:17], s[46:47], 0, v[2:3]
	v_lshl_add_u64 v[16:17], v[16:17], 2, s[40:41]
	v_mul_lo_u32 v18, s19, v17
	v_mul_lo_u32 v19, s54, v16
	v_mad_u64_u32 v[16:17], s[0:1], s19, v16, v[10:11]
	s_mul_i32 s0, s61, s14
	v_add3_u32 v17, v19, v17, v18
	v_add_u32_e32 v18, s0, v22
	v_cmp_gt_i32_e32 vcc, 0, v18
	v_cmp_le_i32_e64 s[0:1], s53, v18
	s_or_b64 s[0:1], vcc, s[0:1]
	s_or_b64 s[0:1], s[48:49], s[0:1]
	s_xor_b64 s[0:1], s[0:1], -1
	v_mov_b64_e32 v[18:19], v[14:15]
	s_mov_b32 s62, s8
	s_branch .LBB16_14
.LBB16_13:                              ;   in Loop: Header=BB16_14 Depth=4
	s_or_b64 exec, exec, s[50:51]
	s_add_i32 s62, s62, -1
	v_lshl_add_u64 v[16:17], v[16:17], 0, 4
	s_cmp_eq_u32 s62, 0
	v_lshl_add_u64 v[18:19], v[18:19], 0, 4
	s_cbranch_scc1 .LBB16_10
.LBB16_14:                              ;   Parent Loop BB16_3 Depth=1
                                        ;     Parent Loop BB16_8 Depth=2
                                        ;       Parent Loop BB16_11 Depth=3
                                        ; =>      This Inner Loop Header: Depth=4
	s_and_saveexec_b64 s[50:51], s[0:1]
	s_cbranch_execz .LBB16_13
; %bb.15:                               ;   in Loop: Header=BB16_14 Depth=4
	global_load_dword v23, v[16:17], off
	global_load_dword v24, v[18:19], off
	s_waitcnt vmcnt(1)
	v_and_b32_e32 v23, 0xffffe000, v23
	s_waitcnt vmcnt(0)
	v_and_b32_e32 v24, 0xffffe000, v24
	v_cvt_f64_f32_e32 v[24:25], v24
	v_cvt_f64_f32_e32 v[26:27], v23
	v_fmac_f64_e32 v[8:9], v[26:27], v[24:25]
	s_branch .LBB16_13
.LBB16_16:                              ;   in Loop: Header=BB16_3 Depth=1
	v_mad_i64_i32 v[10:11], s[0:1], v21, s6, 0
	v_lshl_add_u64 v[10:11], v[10:11], 2, s[2:3]
	v_lshl_add_u64 v[6:7], v[6:7], 2, v[10:11]
	s_andn2_b64 vcc, exec, s[36:37]
	v_lshl_add_u64 v[4:5], v[4:5], 2, v[6:7]
	s_cbranch_vccnz .LBB16_2
; %bb.17:                               ;   in Loop: Header=BB16_3 Depth=1
	global_load_dword v2, v[4:5], off
	s_waitcnt vmcnt(0)
	v_cvt_f64_f32_e32 v[6:7], v2
	v_mul_f64 v[6:7], v[6:7], s[26:27]
	v_fmac_f64_e32 v[6:7], s[24:25], v[8:9]
	v_mov_b64_e32 v[8:9], v[6:7]
	s_branch .LBB16_2
.LBB16_18:
	s_endpgm
	.section	.rodata,"a",@progbits
	.p2align	6, 0x0
	.amdhsa_kernel naive_conv_ab_packed_fwd_nhwc_float_double_float_1
		.amdhsa_group_segment_fixed_size 0
		.amdhsa_private_segment_fixed_size 0
		.amdhsa_kernarg_size 480
		.amdhsa_user_sgpr_count 2
		.amdhsa_user_sgpr_dispatch_ptr 0
		.amdhsa_user_sgpr_queue_ptr 0
		.amdhsa_user_sgpr_kernarg_segment_ptr 1
		.amdhsa_user_sgpr_dispatch_id 0
		.amdhsa_user_sgpr_kernarg_preload_length 0
		.amdhsa_user_sgpr_kernarg_preload_offset 0
		.amdhsa_user_sgpr_private_segment_size 0
		.amdhsa_uses_dynamic_stack 0
		.amdhsa_enable_private_segment 0
		.amdhsa_system_sgpr_workgroup_id_x 1
		.amdhsa_system_sgpr_workgroup_id_y 0
		.amdhsa_system_sgpr_workgroup_id_z 0
		.amdhsa_system_sgpr_workgroup_info 0
		.amdhsa_system_vgpr_workitem_id 0
		.amdhsa_next_free_vgpr 28
		.amdhsa_next_free_sgpr 63
		.amdhsa_accum_offset 28
		.amdhsa_reserve_vcc 1
		.amdhsa_float_round_mode_32 0
		.amdhsa_float_round_mode_16_64 0
		.amdhsa_float_denorm_mode_32 3
		.amdhsa_float_denorm_mode_16_64 3
		.amdhsa_dx10_clamp 1
		.amdhsa_ieee_mode 1
		.amdhsa_fp16_overflow 0
		.amdhsa_tg_split 0
		.amdhsa_exception_fp_ieee_invalid_op 0
		.amdhsa_exception_fp_denorm_src 0
		.amdhsa_exception_fp_ieee_div_zero 0
		.amdhsa_exception_fp_ieee_overflow 0
		.amdhsa_exception_fp_ieee_underflow 0
		.amdhsa_exception_fp_ieee_inexact 0
		.amdhsa_exception_int_div_zero 0
	.end_amdhsa_kernel
	.text
.Lfunc_end16:
	.size	naive_conv_ab_packed_fwd_nhwc_float_double_float_1, .Lfunc_end16-naive_conv_ab_packed_fwd_nhwc_float_double_float_1
                                        ; -- End function
	.section	.AMDGPU.csdata,"",@progbits
; Kernel info:
; codeLenInByte = 1428
; NumSgprs: 69
; NumVgprs: 28
; NumAgprs: 0
; TotalNumVgprs: 28
; ScratchSize: 0
; MemoryBound: 0
; FloatMode: 240
; IeeeMode: 1
; LDSByteSize: 0 bytes/workgroup (compile time only)
; SGPRBlocks: 8
; VGPRBlocks: 3
; NumSGPRsForWavesPerEU: 69
; NumVGPRsForWavesPerEU: 28
; AccumOffset: 28
; Occupancy: 8
; WaveLimiterHint : 0
; COMPUTE_PGM_RSRC2:SCRATCH_EN: 0
; COMPUTE_PGM_RSRC2:USER_SGPR: 2
; COMPUTE_PGM_RSRC2:TRAP_HANDLER: 0
; COMPUTE_PGM_RSRC2:TGID_X_EN: 1
; COMPUTE_PGM_RSRC2:TGID_Y_EN: 0
; COMPUTE_PGM_RSRC2:TGID_Z_EN: 0
; COMPUTE_PGM_RSRC2:TIDIG_COMP_CNT: 0
; COMPUTE_PGM_RSRC3_GFX90A:ACCUM_OFFSET: 6
; COMPUTE_PGM_RSRC3_GFX90A:TG_SPLIT: 0
	.text
	.protected	naive_conv_ab_nonpacked_fwd_nhwc_float_double_float_1 ; -- Begin function naive_conv_ab_nonpacked_fwd_nhwc_float_double_float_1
	.globl	naive_conv_ab_nonpacked_fwd_nhwc_float_double_float_1
	.p2align	8
	.type	naive_conv_ab_nonpacked_fwd_nhwc_float_double_float_1,@function
naive_conv_ab_nonpacked_fwd_nhwc_float_double_float_1: ; @naive_conv_ab_nonpacked_fwd_nhwc_float_double_float_1
; %bb.0:
	s_load_dwordx16 s[4:19], s[0:1], 0xa0
	s_abs_i32 s20, s2
	s_waitcnt lgkmcnt(0)
	s_abs_i32 s3, s9
	v_cvt_f32_u32_e32 v1, s3
	s_sub_i32 s21, 0, s3
	v_rcp_iflag_f32_e32 v1, v1
	s_nop 0
	v_mul_f32_e32 v1, 0x4f7ffffe, v1
	v_cvt_u32_f32_e32 v1, v1
	s_nop 0
	v_readfirstlane_b32 s22, v1
	s_mul_i32 s21, s21, s22
	s_mul_hi_u32 s21, s22, s21
	s_add_i32 s22, s22, s21
	s_mul_hi_u32 s21, s20, s22
	s_mul_i32 s22, s21, s3
	s_sub_i32 s20, s20, s22
	s_add_i32 s23, s21, 1
	s_sub_i32 s22, s20, s3
	s_cmp_ge_u32 s20, s3
	s_cselect_b32 s21, s23, s21
	s_cselect_b32 s20, s22, s20
	s_add_i32 s22, s21, 1
	s_cmp_ge_u32 s20, s3
	s_cselect_b32 s28, s22, s21
	s_abs_i32 s3, s6
	v_cvt_f32_u32_e32 v1, s3
	s_mul_i32 s6, s19, s7
	s_mul_i32 s19, s6, s10
	v_cmp_gt_i32_e32 vcc, s19, v0
	v_rcp_iflag_f32_e32 v1, v1
	s_nop 0
	v_mul_f32_e32 v1, 0x4f7ffffe, v1
	v_cvt_u32_f32_e32 v1, v1
	s_nop 0
	v_readfirstlane_b32 s10, v1
	s_and_saveexec_b64 s[20:21], vcc
	s_cbranch_execz .LBB17_18
; %bb.1:
	s_xor_b32 s29, s2, s9
	s_ashr_i32 s29, s29, 31
	s_xor_b32 s28, s28, s29
	s_sub_i32 s33, s28, s29
	s_sub_i32 s28, 0, s3
	s_mul_i32 s28, s28, s10
	s_mul_hi_u32 s28, s10, s28
	s_abs_i32 s63, s33
	s_add_i32 s10, s10, s28
	s_mul_hi_u32 s10, s63, s10
	s_ashr_i32 s62, s33, 31
	s_mul_i32 s33, s33, s9
	s_mul_i32 s10, s10, s3
	s_sub_i32 s9, s2, s33
	s_sub_i32 s2, s63, s10
	;; [unrolled: 1-line block ×3, first 2 shown]
	s_cmp_ge_u32 s2, s3
	s_cselect_b32 s2, s10, s2
	s_sub_i32 s10, s2, s3
	s_cmp_ge_u32 s2, s3
	s_cselect_b32 s2, s10, s2
	s_load_dwordx8 s[20:27], s[0:1], 0x0
	s_load_dwordx2 s[34:35], s[0:1], 0x20
	s_load_dwordx16 s[36:51], s[0:1], 0x28
	s_load_dwordx2 s[60:61], s[0:1], 0x98
	s_load_dwordx4 s[28:31], s[0:1], 0x88
	s_load_dwordx8 s[52:59], s[0:1], 0x68
	s_xor_b32 s2, s2, s62
	s_sub_i32 s62, s2, s62
	s_ashr_i32 s63, s62, 31
	s_waitcnt lgkmcnt(0)
	s_mul_i32 s2, s60, s63
	s_mul_hi_u32 s3, s60, s62
	s_ashr_i32 s10, s9, 31
	s_add_i32 s2, s3, s2
	s_mul_i32 s3, s61, s62
	s_mul_i32 s10, s30, s10
	s_mul_hi_u32 s33, s30, s9
	s_add_i32 s3, s2, s3
	s_mul_i32 s2, s60, s62
	s_add_i32 s10, s33, s10
	s_mul_i32 s31, s31, s9
	s_add_i32 s31, s10, s31
	s_lshl_b64 s[2:3], s[2:3], 2
	s_mul_i32 s30, s30, s9
	s_add_u32 s10, s34, s2
	s_addc_u32 s33, s35, s3
	s_lshl_b64 s[2:3], s[30:31], 2
	s_add_u32 s2, s10, s2
	s_addc_u32 s3, s33, s3
	s_cmp_lt_i32 s17, 1
	s_mul_i32 s9, s9, s11
	s_cselect_b64 s[10:11], -1, 0
	s_sub_i32 s9, s9, s15
	s_cmp_gt_i32 s18, 0
	s_cselect_b64 s[30:31], -1, 0
	s_cmp_gt_i32 s8, 0
	s_cselect_b64 s[34:35], -1, 0
	s_abs_i32 s66, s6
	v_cvt_f32_u32_e32 v1, s66
	s_abs_i32 s68, s7
	v_cvt_f32_u32_e32 v2, s68
	s_load_dword s15, s[0:1], 0xec
	v_rcp_iflag_f32_e32 v1, v1
	v_cmp_neq_f64_e64 s[0:1], s[24:25], 1.0
	v_rcp_iflag_f32_e32 v2, v2
	v_cmp_neq_f64_e64 s[60:61], s[26:27], 0
	v_mul_f32_e32 v1, 0x4f7ffffe, v1
	v_cvt_u32_f32_e32 v1, v1
	v_mul_f32_e32 v2, 0x4f7ffffe, v2
	v_cvt_u32_f32_e32 v2, v2
	s_or_b64 s[60:61], s[0:1], s[60:61]
	s_sub_i32 s64, 0, s66
	s_mul_i32 s0, s44, s63
	s_mul_hi_u32 s1, s44, s62
	s_add_i32 s0, s1, s0
	s_mul_i32 s1, s45, s62
	v_mul_lo_u32 v3, s64, v1
	s_sub_i32 s65, 0, s68
	s_add_i32 s1, s0, s1
	s_mul_i32 s0, s44, s62
	v_mul_hi_u32 v3, v1, v3
	s_waitcnt lgkmcnt(0)
	s_and_b32 s15, s15, 0xffff
	s_ashr_i32 s33, s6, 31
	s_ashr_i32 s67, s7, 31
	s_lshl_b64 s[52:53], s[52:53], 2
	s_lshl_b64 s[0:1], s[0:1], 2
	;; [unrolled: 1-line block ×6, first 2 shown]
	v_add_u32_e32 v5, v1, v3
	v_mul_lo_u32 v1, s65, v2
	s_add_u32 s20, s20, s0
	v_mul_hi_u32 v1, v2, v1
	s_addc_u32 s21, s21, s1
	s_lshl_b64 s[38:39], s[38:39], 2
	s_lshl_b64 s[42:43], s[42:43], 2
	;; [unrolled: 1-line block ×4, first 2 shown]
	s_mov_b64 s[54:55], 0
	v_add_u32_e32 v20, v2, v1
	s_branch .LBB17_3
.LBB17_2:                               ;   in Loop: Header=BB17_3 Depth=1
	v_add_u32_e32 v0, s15, v0
	v_cmp_le_i32_e32 vcc, s19, v0
	v_cvt_f32_f64_e32 v1, v[6:7]
	s_or_b64 s[54:55], vcc, s[54:55]
	global_store_dword v[2:3], v1, off
	s_andn2_b64 exec, exec, s[54:55]
	s_cbranch_execz .LBB17_18
.LBB17_3:                               ; =>This Loop Header: Depth=1
                                        ;     Child Loop BB17_8 Depth 2
                                        ;       Child Loop BB17_11 Depth 3
                                        ;         Child Loop BB17_14 Depth 4
	v_sub_u32_e32 v2, 0, v0
	v_max_i32_e32 v2, v0, v2
	v_mul_hi_u32 v3, v2, v5
	v_mul_lo_u32 v4, v3, s66
	v_sub_u32_e32 v2, v2, v4
	v_add_u32_e32 v4, 1, v3
	v_cmp_le_u32_e32 vcc, s66, v2
	v_ashrrev_i32_e32 v1, 31, v0
	v_xor_b32_e32 v1, s33, v1
	v_cndmask_b32_e32 v3, v3, v4, vcc
	v_subrev_u32_e32 v4, s66, v2
	v_cndmask_b32_e32 v2, v2, v4, vcc
	v_add_u32_e32 v4, 1, v3
	v_cmp_le_u32_e32 vcc, s66, v2
	s_nop 1
	v_cndmask_b32_e32 v2, v3, v4, vcc
	v_xor_b32_e32 v2, v2, v1
	v_sub_u32_e32 v21, v2, v1
	v_mul_lo_u32 v1, v21, s6
	v_sub_u32_e32 v8, v0, v1
	v_sub_u32_e32 v2, 0, v8
	v_max_i32_e32 v2, v8, v2
	v_mul_hi_u32 v3, v2, v20
	v_mul_lo_u32 v4, v3, s68
	v_sub_u32_e32 v2, v2, v4
	v_add_u32_e32 v4, 1, v3
	v_cmp_le_u32_e32 vcc, s68, v2
	v_ashrrev_i32_e32 v9, 31, v8
	v_xor_b32_e32 v1, s67, v9
	v_cndmask_b32_e32 v3, v3, v4, vcc
	v_subrev_u32_e32 v4, s68, v2
	v_cndmask_b32_e32 v2, v2, v4, vcc
	v_add_u32_e32 v4, 1, v3
	v_cmp_le_u32_e32 vcc, s68, v2
	s_nop 1
	v_cndmask_b32_e32 v2, v3, v4, vcc
	v_xor_b32_e32 v2, v2, v1
	v_sub_u32_e32 v4, v2, v1
	v_mul_lo_u32 v10, v4, s7
	v_sub_u32_e32 v2, v8, v10
	s_andn2_b64 vcc, exec, s[10:11]
	v_ashrrev_i32_e32 v3, 31, v4
	v_ashrrev_i32_e32 v1, 31, v2
	s_cbranch_vccnz .LBB17_5
; %bb.4:                                ;   in Loop: Header=BB17_3 Depth=1
	s_mov_b64 s[0:1], 0
	v_mov_b64_e32 v[6:7], s[0:1]
	s_cbranch_execz .LBB17_6
	s_branch .LBB17_16
.LBB17_5:                               ;   in Loop: Header=BB17_3 Depth=1
                                        ; implicit-def: $sgpr0_sgpr1
	v_mov_b64_e32 v[6:7], s[0:1]
.LBB17_6:                               ;   in Loop: Header=BB17_3 Depth=1
	v_mul_lo_u32 v6, v21, s12
	v_subrev_u32_e32 v22, s16, v6
	v_ashrrev_i32_e32 v6, 31, v10
	v_sub_co_u32_e32 v8, vcc, v8, v10
	v_mul_lo_u32 v10, s45, v4
	s_nop 0
	v_subb_co_u32_e32 v9, vcc, v9, v6, vcc
	v_mul_lo_u32 v11, s44, v3
	v_mad_u64_u32 v[6:7], s[0:1], s44, v4, 0
	v_add3_u32 v7, v7, v11, v10
	v_mad_u64_u32 v[6:7], s[0:1], s52, v8, v[6:7]
	v_mul_lo_u32 v9, s52, v9
	v_mul_lo_u32 v8, s53, v8
	v_add3_u32 v7, v8, v7, v9
	v_lshl_add_u64 v[8:9], s[22:23], 0, v[6:7]
	v_mov_b64_e32 v[6:7], s[20:21]
	v_mad_u64_u32 v[10:11], s[0:1], s38, v4, v[6:7]
	v_mul_lo_u32 v6, s39, v4
	v_mul_lo_u32 v7, s38, v3
	v_add3_u32 v11, v6, v11, v7
	s_mov_b32 s69, 0
	v_mov_b64_e32 v[6:7], 0
	s_mov_b32 s70, s9
	s_branch .LBB17_8
.LBB17_7:                               ;   in Loop: Header=BB17_8 Depth=2
	s_add_i32 s69, s69, 1
	s_add_i32 s70, s70, s13
	s_cmp_eq_u32 s69, s17
	v_lshl_add_u64 v[8:9], v[8:9], 0, s[50:51]
	s_cbranch_scc1 .LBB17_16
.LBB17_8:                               ;   Parent Loop BB17_3 Depth=1
                                        ; =>  This Loop Header: Depth=2
                                        ;       Child Loop BB17_11 Depth 3
                                        ;         Child Loop BB17_14 Depth 4
	s_andn2_b64 vcc, exec, s[30:31]
	s_cbranch_vccnz .LBB17_7
; %bb.9:                                ;   in Loop: Header=BB17_8 Depth=2
	s_mul_i32 s0, s69, s13
	s_add_i32 s62, s0, s9
	s_cmp_lt_i32 s62, 0
	s_cselect_b64 s[0:1], -1, 0
	s_cmp_ge_i32 s62, s4
	s_cselect_b64 s[62:63], -1, 0
	v_mov_b32_e32 v12, s70
	s_or_b64 s[62:63], s[0:1], s[62:63]
	v_mad_u64_u32 v[12:13], s[0:1], s42, v12, v[10:11]
	s_mul_i32 s0, s43, s70
	s_mov_b32 s71, 0
	v_add_u32_e32 v13, s0, v13
	v_mov_b32_e32 v23, v22
	v_mov_b64_e32 v[14:15], v[8:9]
	s_branch .LBB17_11
.LBB17_10:                              ;   in Loop: Header=BB17_11 Depth=3
	s_add_i32 s71, s71, 1
	v_lshl_add_u64 v[14:15], v[14:15], 0, s[48:49]
	s_cmp_eq_u32 s71, s18
	v_add_u32_e32 v23, s14, v23
	s_cbranch_scc1 .LBB17_7
.LBB17_11:                              ;   Parent Loop BB17_3 Depth=1
                                        ;     Parent Loop BB17_8 Depth=2
                                        ; =>    This Loop Header: Depth=3
                                        ;         Child Loop BB17_14 Depth 4
	s_andn2_b64 vcc, exec, s[34:35]
	s_cbranch_vccnz .LBB17_10
; %bb.12:                               ;   in Loop: Header=BB17_11 Depth=3
	v_mad_u64_u32 v[16:17], s[0:1], s40, v23, v[12:13]
	v_mov_b32_e32 v18, v17
	v_mad_u64_u32 v[18:19], s[0:1], s41, v23, v[18:19]
	s_mul_i32 s0, s71, s14
	v_mov_b32_e32 v17, v18
	v_add_u32_e32 v18, s0, v22
	v_cmp_gt_i32_e32 vcc, 0, v18
	v_cmp_le_i32_e64 s[0:1], s5, v18
	s_or_b64 s[0:1], vcc, s[0:1]
	s_or_b64 s[0:1], s[62:63], s[0:1]
	s_xor_b64 s[0:1], s[0:1], -1
	v_mov_b64_e32 v[18:19], v[14:15]
	s_mov_b32 s72, s8
	s_branch .LBB17_14
.LBB17_13:                              ;   in Loop: Header=BB17_14 Depth=4
	s_or_b64 exec, exec, s[64:65]
	s_add_i32 s72, s72, -1
	v_lshl_add_u64 v[18:19], v[18:19], 0, s[46:47]
	s_cmp_eq_u32 s72, 0
	v_lshl_add_u64 v[16:17], v[16:17], 0, s[36:37]
	s_cbranch_scc1 .LBB17_10
.LBB17_14:                              ;   Parent Loop BB17_3 Depth=1
                                        ;     Parent Loop BB17_8 Depth=2
                                        ;       Parent Loop BB17_11 Depth=3
                                        ; =>      This Inner Loop Header: Depth=4
	s_and_saveexec_b64 s[64:65], s[0:1]
	s_cbranch_execz .LBB17_13
; %bb.15:                               ;   in Loop: Header=BB17_14 Depth=4
	global_load_dword v24, v[16:17], off
	global_load_dword v25, v[18:19], off
	s_waitcnt vmcnt(1)
	v_and_b32_e32 v26, 0xffffe000, v24
	s_waitcnt vmcnt(0)
	v_and_b32_e32 v24, 0xffffe000, v25
	v_cvt_f64_f32_e32 v[24:25], v24
	v_cvt_f64_f32_e32 v[26:27], v26
	v_fmac_f64_e32 v[6:7], v[26:27], v[24:25]
	s_branch .LBB17_13
.LBB17_16:                              ;   in Loop: Header=BB17_3 Depth=1
	v_ashrrev_i32_e32 v8, 31, v21
	v_mul_lo_u32 v10, s29, v21
	v_mul_lo_u32 v11, s28, v8
	v_mad_u64_u32 v[8:9], s[0:1], s28, v21, 0
	v_add3_u32 v9, v9, v11, v10
	v_mul_lo_u32 v3, v3, s58
	v_mul_lo_u32 v12, v4, s59
	v_mad_u64_u32 v[10:11], s[0:1], v4, s58, 0
	v_add3_u32 v11, v11, v12, v3
	v_mul_lo_u32 v1, v1, s56
	v_mul_lo_u32 v4, v2, s57
	v_mad_u64_u32 v[2:3], s[0:1], v2, s56, 0
	v_lshl_add_u64 v[8:9], v[8:9], 2, s[2:3]
	v_add3_u32 v3, v3, v4, v1
	v_lshl_add_u64 v[8:9], v[10:11], 2, v[8:9]
	s_andn2_b64 vcc, exec, s[60:61]
	v_lshl_add_u64 v[2:3], v[2:3], 2, v[8:9]
	s_cbranch_vccnz .LBB17_2
; %bb.17:                               ;   in Loop: Header=BB17_3 Depth=1
	global_load_dword v1, v[2:3], off
	s_waitcnt vmcnt(0)
	v_cvt_f64_f32_e32 v[8:9], v1
	v_mul_f64 v[8:9], v[8:9], s[26:27]
	v_fmac_f64_e32 v[8:9], s[24:25], v[6:7]
	v_mov_b64_e32 v[6:7], v[8:9]
	s_branch .LBB17_2
.LBB17_18:
	s_endpgm
	.section	.rodata,"a",@progbits
	.p2align	6, 0x0
	.amdhsa_kernel naive_conv_ab_nonpacked_fwd_nhwc_float_double_float_1
		.amdhsa_group_segment_fixed_size 0
		.amdhsa_private_segment_fixed_size 0
		.amdhsa_kernarg_size 480
		.amdhsa_user_sgpr_count 2
		.amdhsa_user_sgpr_dispatch_ptr 0
		.amdhsa_user_sgpr_queue_ptr 0
		.amdhsa_user_sgpr_kernarg_segment_ptr 1
		.amdhsa_user_sgpr_dispatch_id 0
		.amdhsa_user_sgpr_kernarg_preload_length 0
		.amdhsa_user_sgpr_kernarg_preload_offset 0
		.amdhsa_user_sgpr_private_segment_size 0
		.amdhsa_uses_dynamic_stack 0
		.amdhsa_enable_private_segment 0
		.amdhsa_system_sgpr_workgroup_id_x 1
		.amdhsa_system_sgpr_workgroup_id_y 0
		.amdhsa_system_sgpr_workgroup_id_z 0
		.amdhsa_system_sgpr_workgroup_info 0
		.amdhsa_system_vgpr_workitem_id 0
		.amdhsa_next_free_vgpr 28
		.amdhsa_next_free_sgpr 73
		.amdhsa_accum_offset 28
		.amdhsa_reserve_vcc 1
		.amdhsa_float_round_mode_32 0
		.amdhsa_float_round_mode_16_64 0
		.amdhsa_float_denorm_mode_32 3
		.amdhsa_float_denorm_mode_16_64 3
		.amdhsa_dx10_clamp 1
		.amdhsa_ieee_mode 1
		.amdhsa_fp16_overflow 0
		.amdhsa_tg_split 0
		.amdhsa_exception_fp_ieee_invalid_op 0
		.amdhsa_exception_fp_denorm_src 0
		.amdhsa_exception_fp_ieee_div_zero 0
		.amdhsa_exception_fp_ieee_overflow 0
		.amdhsa_exception_fp_ieee_underflow 0
		.amdhsa_exception_fp_ieee_inexact 0
		.amdhsa_exception_int_div_zero 0
	.end_amdhsa_kernel
	.text
.Lfunc_end17:
	.size	naive_conv_ab_nonpacked_fwd_nhwc_float_double_float_1, .Lfunc_end17-naive_conv_ab_nonpacked_fwd_nhwc_float_double_float_1
                                        ; -- End function
	.section	.AMDGPU.csdata,"",@progbits
; Kernel info:
; codeLenInByte = 1516
; NumSgprs: 79
; NumVgprs: 28
; NumAgprs: 0
; TotalNumVgprs: 28
; ScratchSize: 0
; MemoryBound: 0
; FloatMode: 240
; IeeeMode: 1
; LDSByteSize: 0 bytes/workgroup (compile time only)
; SGPRBlocks: 9
; VGPRBlocks: 3
; NumSGPRsForWavesPerEU: 79
; NumVGPRsForWavesPerEU: 28
; AccumOffset: 28
; Occupancy: 8
; WaveLimiterHint : 0
; COMPUTE_PGM_RSRC2:SCRATCH_EN: 0
; COMPUTE_PGM_RSRC2:USER_SGPR: 2
; COMPUTE_PGM_RSRC2:TRAP_HANDLER: 0
; COMPUTE_PGM_RSRC2:TGID_X_EN: 1
; COMPUTE_PGM_RSRC2:TGID_Y_EN: 0
; COMPUTE_PGM_RSRC2:TGID_Z_EN: 0
; COMPUTE_PGM_RSRC2:TIDIG_COMP_CNT: 0
; COMPUTE_PGM_RSRC3_GFX90A:ACCUM_OFFSET: 6
; COMPUTE_PGM_RSRC3_GFX90A:TG_SPLIT: 0
	.text
	.protected	naive_conv_ab_packed_fwd_nhwc_half_double_half_0 ; -- Begin function naive_conv_ab_packed_fwd_nhwc_half_double_half_0
	.globl	naive_conv_ab_packed_fwd_nhwc_half_double_half_0
	.p2align	8
	.type	naive_conv_ab_packed_fwd_nhwc_half_double_half_0,@function
naive_conv_ab_packed_fwd_nhwc_half_double_half_0: ; @naive_conv_ab_packed_fwd_nhwc_half_double_half_0
; %bb.0:
	s_load_dwordx16 s[4:19], s[0:1], 0xa0
	s_abs_i32 s20, s2
	s_waitcnt lgkmcnt(0)
	s_abs_i32 s3, s9
	v_cvt_f32_u32_e32 v1, s3
	s_sub_i32 s21, 0, s3
	v_rcp_iflag_f32_e32 v1, v1
	s_nop 0
	v_mul_f32_e32 v1, 0x4f7ffffe, v1
	v_cvt_u32_f32_e32 v1, v1
	s_nop 0
	v_readfirstlane_b32 s22, v1
	s_mul_i32 s21, s21, s22
	s_mul_hi_u32 s21, s22, s21
	s_add_i32 s22, s22, s21
	s_mul_hi_u32 s21, s20, s22
	s_mul_i32 s22, s21, s3
	s_sub_i32 s20, s20, s22
	s_add_i32 s23, s21, 1
	s_sub_i32 s22, s20, s3
	s_cmp_ge_u32 s20, s3
	s_cselect_b32 s21, s23, s21
	s_cselect_b32 s20, s22, s20
	s_add_i32 s22, s21, 1
	s_cmp_ge_u32 s20, s3
	s_cselect_b32 s28, s22, s21
	s_abs_i32 s3, s6
	v_cvt_f32_u32_e32 v1, s3
	s_mul_i32 s6, s19, s7
	s_mul_i32 s33, s6, s10
	v_cmp_gt_i32_e32 vcc, s33, v0
	v_rcp_iflag_f32_e32 v1, v1
	s_nop 0
	v_mul_f32_e32 v1, 0x4f7ffffe, v1
	v_cvt_u32_f32_e32 v1, v1
	s_nop 0
	v_readfirstlane_b32 s29, v1
	s_and_saveexec_b64 s[20:21], vcc
	s_cbranch_execz .LBB18_20
; %bb.1:
	s_xor_b32 s30, s2, s9
	s_ashr_i32 s30, s30, 31
	s_sub_i32 s34, 0, s3
	s_xor_b32 s28, s28, s30
	s_mul_i32 s34, s34, s29
	s_sub_i32 s28, s28, s30
	s_mul_hi_u32 s34, s29, s34
	s_abs_i32 s31, s28
	s_add_i32 s29, s29, s34
	s_mul_hi_u32 s29, s31, s29
	s_ashr_i32 s30, s28, 31
	s_mul_i32 s28, s28, s9
	s_mul_i32 s29, s29, s3
	s_sub_i32 s34, s2, s28
	s_sub_i32 s2, s31, s29
	;; [unrolled: 1-line block ×3, first 2 shown]
	s_cmp_ge_u32 s2, s3
	s_cselect_b32 s2, s28, s2
	s_sub_i32 s28, s2, s3
	s_cmp_ge_u32 s2, s3
	s_cselect_b32 s2, s28, s2
	s_xor_b32 s2, s2, s30
	s_mul_i32 s19, s19, s8
	s_sub_i32 s40, s2, s30
	s_ashr_i32 s41, s40, 31
	s_ashr_i32 s52, s5, 31
	;; [unrolled: 1-line block ×3, first 2 shown]
	s_mul_hi_i32 s2, s40, s9
	s_mul_i32 s3, s40, s9
	s_ashr_i32 s55, s6, 31
	s_ashr_i32 s9, s34, 31
	s_add_u32 s28, s3, s34
	s_addc_u32 s2, s2, s9
	s_mul_hi_i32 s3, s6, s10
	s_mul_i32 s2, s33, s2
	s_mul_hi_u32 s9, s33, s28
	s_add_i32 s9, s9, s2
	s_mul_i32 s10, s3, s28
	s_load_dwordx2 s[2:3], s[0:1], 0x20
	s_load_dword s38, s[0:1], 0xec
	s_add_i32 s29, s9, s10
	s_mul_i32 s28, s33, s28
	s_lshl_b64 s[28:29], s[28:29], 1
	s_waitcnt lgkmcnt(0)
	s_add_u32 s2, s2, s28
	s_addc_u32 s3, s3, s29
	s_cmp_lt_i32 s17, 1
	s_mul_i32 s34, s34, s11
	s_cselect_b64 s[10:11], -1, 0
	s_sub_i32 s15, s34, s15
	s_cmp_gt_i32 s18, 0
	s_cselect_b64 s[28:29], -1, 0
	s_cmp_gt_i32 s8, 0
	s_cselect_b64 s[30:31], -1, 0
	s_abs_i32 s58, s6
	v_cvt_f32_u32_e32 v1, s58
	s_abs_i32 s59, s7
	v_cvt_f32_u32_e32 v2, s59
	s_load_dwordx8 s[20:27], s[0:1], 0x0
	v_rcp_iflag_f32_e32 v1, v1
	s_mov_b32 s53, s5
	v_rcp_iflag_f32_e32 v2, v2
	s_ashr_i32 s9, s8, 31
	v_mul_f32_e32 v1, 0x4f7ffffe, v1
	v_cvt_u32_f32_e32 v1, v1
	v_mul_f32_e32 v2, 0x4f7ffffe, v2
	s_waitcnt lgkmcnt(0)
	v_cmp_neq_f64_e64 s[0:1], s[24:25], 1.0
	v_cmp_neq_f64_e64 s[36:37], s[26:27], 0
	v_cvt_u32_f32_e32 v2, v2
	s_or_b64 s[36:37], s[0:1], s[36:37]
	s_sub_i32 s0, 0, s58
	v_mul_lo_u32 v3, s0, v1
	v_mul_hi_u32 v3, v1, v3
	s_sub_i32 s0, 0, s59
	v_add_u32_e32 v1, v1, v3
	v_mul_lo_u32 v3, s0, v2
	s_mul_hi_i32 s0, s5, s4
	s_mul_i32 s5, s5, s4
	s_and_b32 s60, s38, 0xffff
	s_lshl_b64 s[38:39], s[8:9], 1
	s_mul_i32 s1, s5, s41
	s_mul_hi_u32 s9, s5, s40
	s_add_i32 s1, s9, s1
	s_mul_i32 s0, s0, s40
	s_add_i32 s1, s1, s0
	s_mul_i32 s0, s5, s40
	s_ashr_i32 s42, s17, 31
	s_lshl_b64 s[40:41], s[0:1], 1
	s_mul_i32 s0, s18, s8
	s_mul_i32 s1, s0, s42
	s_mul_hi_u32 s5, s0, s17
	s_add_i32 s5, s5, s1
	s_mul_hi_i32 s1, s18, s8
	s_mul_i32 s9, s1, s17
	v_mul_hi_u32 v3, v2, v3
	s_add_i32 s43, s5, s9
	s_mul_i32 s42, s0, s17
	s_ashr_i32 s56, s7, 31
	s_mov_b32 s57, s7
	s_mov_b64 s[34:35], 0
	v_add_u32_e32 v20, v2, v3
	s_lshl_b64 s[42:43], s[42:43], 1
	s_lshl_b64 s[44:45], s[0:1], 1
	v_mov_b32_e32 v3, 0
	s_branch .LBB18_3
.LBB18_2:                               ;   in Loop: Header=BB18_3 Depth=1
	v_add_u32_e32 v0, s60, v0
	v_cmp_le_i32_e32 vcc, s33, v0
	s_or_b64 s[34:35], vcc, s[34:35]
	s_andn2_b64 exec, exec, s[34:35]
	s_cbranch_execz .LBB18_20
.LBB18_3:                               ; =>This Loop Header: Depth=1
                                        ;     Child Loop BB18_8 Depth 2
                                        ;       Child Loop BB18_11 Depth 3
                                        ;         Child Loop BB18_14 Depth 4
	v_sub_u32_e32 v4, 0, v0
	v_max_i32_e32 v4, v0, v4
	v_mul_hi_u32 v5, v4, v1
	v_mul_lo_u32 v6, v5, s58
	v_sub_u32_e32 v4, v4, v6
	v_add_u32_e32 v6, 1, v5
	v_cmp_le_u32_e32 vcc, s58, v4
	v_ashrrev_i32_e32 v2, 31, v0
	v_xor_b32_e32 v2, s55, v2
	v_cndmask_b32_e32 v5, v5, v6, vcc
	v_subrev_u32_e32 v6, s58, v4
	v_cndmask_b32_e32 v4, v4, v6, vcc
	v_add_u32_e32 v6, 1, v5
	v_cmp_le_u32_e32 vcc, s58, v4
	s_nop 1
	v_cndmask_b32_e32 v4, v5, v6, vcc
	v_xor_b32_e32 v4, v4, v2
	v_sub_u32_e32 v21, v4, v2
	v_mul_lo_u32 v2, v21, s6
	v_sub_u32_e32 v12, v0, v2
	v_sub_u32_e32 v4, 0, v12
	v_max_i32_e32 v4, v12, v4
	v_mul_hi_u32 v5, v4, v20
	v_mul_lo_u32 v6, v5, s59
	v_sub_u32_e32 v4, v4, v6
	v_add_u32_e32 v6, 1, v5
	v_cmp_le_u32_e32 vcc, s59, v4
	v_ashrrev_i32_e32 v13, 31, v12
	v_xor_b32_e32 v2, s56, v13
	v_cndmask_b32_e32 v5, v5, v6, vcc
	v_subrev_u32_e32 v6, s59, v4
	v_cndmask_b32_e32 v4, v4, v6, vcc
	v_add_u32_e32 v6, 1, v5
	v_cmp_le_u32_e32 vcc, s59, v4
	s_nop 1
	v_cndmask_b32_e32 v4, v5, v6, vcc
	v_xor_b32_e32 v4, v4, v2
	v_sub_u32_e32 v14, v4, v2
	v_mul_lo_u32 v2, v14, s7
	v_sub_u32_e32 v4, v12, v2
	s_andn2_b64 vcc, exec, s[10:11]
	v_ashrrev_i32_e32 v5, 31, v4
	s_cbranch_vccnz .LBB18_5
; %bb.4:                                ;   in Loop: Header=BB18_3 Depth=1
	v_mad_i64_i32 v[6:7], s[0:1], v14, s57, 0
	s_mov_b64 s[0:1], 0
	s_nop 0
	v_mov_b64_e32 v[8:9], s[0:1]
	s_cbranch_execz .LBB18_6
	s_branch .LBB18_16
.LBB18_5:                               ;   in Loop: Header=BB18_3 Depth=1
                                        ; implicit-def: $sgpr0_sgpr1
                                        ; implicit-def: $vgpr6_vgpr7
	v_mov_b64_e32 v[8:9], s[0:1]
.LBB18_6:                               ;   in Loop: Header=BB18_3 Depth=1
	v_ashrrev_i32_e32 v15, 31, v14
	v_mov_b64_e32 v[8:9], s[20:21]
	v_mad_u64_u32 v[10:11], s[0:1], s38, v14, v[8:9]
	v_mul_lo_u32 v8, s39, v14
	v_mul_lo_u32 v9, s38, v15
	v_add3_u32 v11, v8, v11, v9
	v_mad_i64_i32 v[8:9], s[0:1], v14, s57, v[12:13]
	v_ashrrev_i32_e32 v12, 31, v2
	v_sub_co_u32_e32 v2, vcc, v8, v2
	v_mul_lo_u32 v6, v21, s12
	s_nop 0
	v_subb_co_u32_e32 v8, vcc, v9, v12, vcc
	v_subrev_u32_e32 v22, s16, v6
	v_mad_i64_i32 v[6:7], s[0:1], v14, s57, 0
	v_mul_lo_u32 v14, s42, v8
	v_mov_b64_e32 v[8:9], s[22:23]
	v_mul_lo_u32 v15, s43, v2
	v_mad_u64_u32 v[12:13], s[0:1], s42, v2, v[8:9]
	v_add3_u32 v13, v15, v13, v14
	s_mov_b32 s5, 0
	v_mov_b64_e32 v[8:9], 0
	s_mov_b32 s9, s15
	s_branch .LBB18_8
.LBB18_7:                               ;   in Loop: Header=BB18_8 Depth=2
	s_add_i32 s5, s5, 1
	s_add_i32 s9, s9, s13
	s_cmp_eq_u32 s5, s17
	v_lshl_add_u64 v[12:13], v[12:13], 0, s[44:45]
	s_cbranch_scc1 .LBB18_16
.LBB18_8:                               ;   Parent Loop BB18_3 Depth=1
                                        ; =>  This Loop Header: Depth=2
                                        ;       Child Loop BB18_11 Depth 3
                                        ;         Child Loop BB18_14 Depth 4
	s_andn2_b64 vcc, exec, s[28:29]
	s_cbranch_vccnz .LBB18_7
; %bb.9:                                ;   in Loop: Header=BB18_8 Depth=2
	s_mul_i32 s0, s52, s9
	s_mul_hi_u32 s1, s53, s9
	s_add_i32 s47, s1, s0
	s_mul_i32 s0, s5, s13
	s_add_i32 s48, s0, s15
	s_cmp_lt_i32 s48, 0
	s_cselect_b64 s[0:1], -1, 0
	s_cmp_ge_i32 s48, s4
	s_cselect_b64 s[48:49], -1, 0
	s_mul_i32 s46, s53, s9
	s_mov_b32 s61, 0
	s_or_b64 s[48:49], s[0:1], s[48:49]
	v_mov_b64_e32 v[14:15], v[12:13]
	v_mov_b32_e32 v2, v22
	s_branch .LBB18_11
.LBB18_10:                              ;   in Loop: Header=BB18_11 Depth=3
	s_add_i32 s61, s61, 1
	v_add_u32_e32 v2, s14, v2
	s_cmp_eq_u32 s61, s18
	v_lshl_add_u64 v[14:15], v[14:15], 0, s[38:39]
	s_cbranch_scc1 .LBB18_7
.LBB18_11:                              ;   Parent Loop BB18_3 Depth=1
                                        ;     Parent Loop BB18_8 Depth=2
                                        ; =>    This Loop Header: Depth=3
                                        ;         Child Loop BB18_14 Depth 4
	s_andn2_b64 vcc, exec, s[30:31]
	s_cbranch_vccnz .LBB18_10
; %bb.12:                               ;   in Loop: Header=BB18_11 Depth=3
	v_lshl_add_u64 v[16:17], s[46:47], 0, v[2:3]
	v_lshl_add_u64 v[16:17], v[16:17], 1, s[40:41]
	v_mul_lo_u32 v18, s19, v17
	v_mul_lo_u32 v19, s54, v16
	v_mad_u64_u32 v[16:17], s[0:1], s19, v16, v[10:11]
	s_mul_i32 s0, s61, s14
	v_add3_u32 v17, v19, v17, v18
	v_add_u32_e32 v18, s0, v22
	v_cmp_gt_i32_e32 vcc, 0, v18
	v_cmp_le_i32_e64 s[0:1], s53, v18
	s_or_b64 s[0:1], vcc, s[0:1]
	s_or_b64 s[0:1], s[48:49], s[0:1]
	s_xor_b64 s[0:1], s[0:1], -1
	v_mov_b64_e32 v[18:19], v[14:15]
	s_mov_b32 s62, s8
	s_branch .LBB18_14
.LBB18_13:                              ;   in Loop: Header=BB18_14 Depth=4
	s_or_b64 exec, exec, s[50:51]
	s_add_i32 s62, s62, -1
	v_lshl_add_u64 v[16:17], v[16:17], 0, 2
	s_cmp_eq_u32 s62, 0
	v_lshl_add_u64 v[18:19], v[18:19], 0, 2
	s_cbranch_scc1 .LBB18_10
.LBB18_14:                              ;   Parent Loop BB18_3 Depth=1
                                        ;     Parent Loop BB18_8 Depth=2
                                        ;       Parent Loop BB18_11 Depth=3
                                        ; =>      This Inner Loop Header: Depth=4
	s_and_saveexec_b64 s[50:51], s[0:1]
	s_cbranch_execz .LBB18_13
; %bb.15:                               ;   in Loop: Header=BB18_14 Depth=4
	global_load_ushort v23, v[16:17], off
	global_load_ushort v24, v[18:19], off
	s_waitcnt vmcnt(1)
	v_cvt_f32_f16_e32 v23, v23
	s_waitcnt vmcnt(0)
	v_cvt_f32_f16_e32 v26, v24
	v_cvt_f64_f32_e32 v[24:25], v23
	v_cvt_f64_f32_e32 v[26:27], v26
	v_fmac_f64_e32 v[8:9], v[24:25], v[26:27]
	s_branch .LBB18_13
.LBB18_16:                              ;   in Loop: Header=BB18_3 Depth=1
	v_mad_i64_i32 v[4:5], s[0:1], v21, s6, v[4:5]
	v_lshl_add_u64 v[4:5], v[4:5], 0, v[6:7]
	s_mov_b64 s[0:1], -1
	s_and_b64 vcc, exec, s[36:37]
	v_lshl_add_u64 v[4:5], v[4:5], 1, s[2:3]
	s_cbranch_vccz .LBB18_18
; %bb.17:                               ;   in Loop: Header=BB18_3 Depth=1
	global_load_ushort v2, v[4:5], off
	s_mov_b64 s[0:1], 0
	s_waitcnt vmcnt(0)
	v_cvt_f32_f16_e32 v2, v2
	v_cvt_f64_f32_e32 v[6:7], v2
	v_mul_f64 v[6:7], v[6:7], s[26:27]
	v_fmac_f64_e32 v[6:7], s[24:25], v[8:9]
	v_cvt_f32_f64_e32 v2, v[6:7]
	v_cvt_f16_f32_e32 v2, v2
	global_store_short v[4:5], v2, off
.LBB18_18:                              ;   in Loop: Header=BB18_3 Depth=1
	s_andn2_b64 vcc, exec, s[0:1]
	s_cbranch_vccnz .LBB18_2
; %bb.19:                               ;   in Loop: Header=BB18_3 Depth=1
	v_cvt_f32_f64_e32 v2, v[8:9]
	v_cvt_f16_f32_e32 v2, v2
	global_store_short v[4:5], v2, off
	s_branch .LBB18_2
.LBB18_20:
	s_endpgm
	.section	.rodata,"a",@progbits
	.p2align	6, 0x0
	.amdhsa_kernel naive_conv_ab_packed_fwd_nhwc_half_double_half_0
		.amdhsa_group_segment_fixed_size 0
		.amdhsa_private_segment_fixed_size 0
		.amdhsa_kernarg_size 480
		.amdhsa_user_sgpr_count 2
		.amdhsa_user_sgpr_dispatch_ptr 0
		.amdhsa_user_sgpr_queue_ptr 0
		.amdhsa_user_sgpr_kernarg_segment_ptr 1
		.amdhsa_user_sgpr_dispatch_id 0
		.amdhsa_user_sgpr_kernarg_preload_length 0
		.amdhsa_user_sgpr_kernarg_preload_offset 0
		.amdhsa_user_sgpr_private_segment_size 0
		.amdhsa_uses_dynamic_stack 0
		.amdhsa_enable_private_segment 0
		.amdhsa_system_sgpr_workgroup_id_x 1
		.amdhsa_system_sgpr_workgroup_id_y 0
		.amdhsa_system_sgpr_workgroup_id_z 0
		.amdhsa_system_sgpr_workgroup_info 0
		.amdhsa_system_vgpr_workitem_id 0
		.amdhsa_next_free_vgpr 28
		.amdhsa_next_free_sgpr 63
		.amdhsa_accum_offset 28
		.amdhsa_reserve_vcc 1
		.amdhsa_float_round_mode_32 0
		.amdhsa_float_round_mode_16_64 0
		.amdhsa_float_denorm_mode_32 3
		.amdhsa_float_denorm_mode_16_64 3
		.amdhsa_dx10_clamp 1
		.amdhsa_ieee_mode 1
		.amdhsa_fp16_overflow 0
		.amdhsa_tg_split 0
		.amdhsa_exception_fp_ieee_invalid_op 0
		.amdhsa_exception_fp_denorm_src 0
		.amdhsa_exception_fp_ieee_div_zero 0
		.amdhsa_exception_fp_ieee_overflow 0
		.amdhsa_exception_fp_ieee_underflow 0
		.amdhsa_exception_fp_ieee_inexact 0
		.amdhsa_exception_int_div_zero 0
	.end_amdhsa_kernel
	.text
.Lfunc_end18:
	.size	naive_conv_ab_packed_fwd_nhwc_half_double_half_0, .Lfunc_end18-naive_conv_ab_packed_fwd_nhwc_half_double_half_0
                                        ; -- End function
	.section	.AMDGPU.csdata,"",@progbits
; Kernel info:
; codeLenInByte = 1448
; NumSgprs: 69
; NumVgprs: 28
; NumAgprs: 0
; TotalNumVgprs: 28
; ScratchSize: 0
; MemoryBound: 0
; FloatMode: 240
; IeeeMode: 1
; LDSByteSize: 0 bytes/workgroup (compile time only)
; SGPRBlocks: 8
; VGPRBlocks: 3
; NumSGPRsForWavesPerEU: 69
; NumVGPRsForWavesPerEU: 28
; AccumOffset: 28
; Occupancy: 8
; WaveLimiterHint : 0
; COMPUTE_PGM_RSRC2:SCRATCH_EN: 0
; COMPUTE_PGM_RSRC2:USER_SGPR: 2
; COMPUTE_PGM_RSRC2:TRAP_HANDLER: 0
; COMPUTE_PGM_RSRC2:TGID_X_EN: 1
; COMPUTE_PGM_RSRC2:TGID_Y_EN: 0
; COMPUTE_PGM_RSRC2:TGID_Z_EN: 0
; COMPUTE_PGM_RSRC2:TIDIG_COMP_CNT: 0
; COMPUTE_PGM_RSRC3_GFX90A:ACCUM_OFFSET: 6
; COMPUTE_PGM_RSRC3_GFX90A:TG_SPLIT: 0
	.text
	.protected	naive_conv_ab_nonpacked_fwd_nhwc_half_double_half_0 ; -- Begin function naive_conv_ab_nonpacked_fwd_nhwc_half_double_half_0
	.globl	naive_conv_ab_nonpacked_fwd_nhwc_half_double_half_0
	.p2align	8
	.type	naive_conv_ab_nonpacked_fwd_nhwc_half_double_half_0,@function
naive_conv_ab_nonpacked_fwd_nhwc_half_double_half_0: ; @naive_conv_ab_nonpacked_fwd_nhwc_half_double_half_0
; %bb.0:
	s_load_dwordx16 s[4:19], s[0:1], 0xa0
	s_abs_i32 s20, s2
	s_waitcnt lgkmcnt(0)
	s_abs_i32 s3, s9
	v_cvt_f32_u32_e32 v1, s3
	s_sub_i32 s21, 0, s3
	v_rcp_iflag_f32_e32 v1, v1
	s_nop 0
	v_mul_f32_e32 v1, 0x4f7ffffe, v1
	v_cvt_u32_f32_e32 v1, v1
	s_nop 0
	v_readfirstlane_b32 s22, v1
	s_mul_i32 s21, s21, s22
	s_mul_hi_u32 s21, s22, s21
	s_add_i32 s22, s22, s21
	s_mul_hi_u32 s21, s20, s22
	s_mul_i32 s22, s21, s3
	s_sub_i32 s20, s20, s22
	s_add_i32 s23, s21, 1
	s_sub_i32 s22, s20, s3
	s_cmp_ge_u32 s20, s3
	s_cselect_b32 s21, s23, s21
	s_cselect_b32 s20, s22, s20
	s_add_i32 s22, s21, 1
	s_cmp_ge_u32 s20, s3
	s_cselect_b32 s28, s22, s21
	s_abs_i32 s3, s6
	v_cvt_f32_u32_e32 v1, s3
	s_mul_i32 s6, s19, s7
	s_mul_i32 s19, s6, s10
	v_cmp_gt_i32_e32 vcc, s19, v0
	v_rcp_iflag_f32_e32 v1, v1
	s_nop 0
	v_mul_f32_e32 v1, 0x4f7ffffe, v1
	v_cvt_u32_f32_e32 v1, v1
	s_nop 0
	v_readfirstlane_b32 s10, v1
	s_and_saveexec_b64 s[20:21], vcc
	s_cbranch_execz .LBB19_20
; %bb.1:
	s_xor_b32 s29, s2, s9
	s_ashr_i32 s29, s29, 31
	s_xor_b32 s28, s28, s29
	s_sub_i32 s33, s28, s29
	s_sub_i32 s28, 0, s3
	s_mul_i32 s28, s28, s10
	s_mul_hi_u32 s28, s10, s28
	s_abs_i32 s63, s33
	s_add_i32 s10, s10, s28
	s_mul_hi_u32 s10, s63, s10
	s_ashr_i32 s62, s33, 31
	s_mul_i32 s33, s33, s9
	s_mul_i32 s10, s10, s3
	s_sub_i32 s9, s2, s33
	s_sub_i32 s2, s63, s10
	s_sub_i32 s10, s2, s3
	s_cmp_ge_u32 s2, s3
	s_cselect_b32 s2, s10, s2
	s_sub_i32 s10, s2, s3
	s_cmp_ge_u32 s2, s3
	s_cselect_b32 s2, s10, s2
	s_load_dwordx8 s[20:27], s[0:1], 0x0
	s_load_dwordx2 s[34:35], s[0:1], 0x20
	s_load_dwordx16 s[36:51], s[0:1], 0x28
	s_load_dwordx2 s[60:61], s[0:1], 0x98
	s_load_dwordx4 s[28:31], s[0:1], 0x88
	s_load_dwordx8 s[52:59], s[0:1], 0x68
	s_xor_b32 s2, s2, s62
	s_sub_i32 s62, s2, s62
	s_ashr_i32 s63, s62, 31
	s_waitcnt lgkmcnt(0)
	s_mul_i32 s2, s60, s63
	s_mul_hi_u32 s3, s60, s62
	s_ashr_i32 s10, s9, 31
	s_add_i32 s2, s3, s2
	s_mul_i32 s3, s61, s62
	s_mul_i32 s10, s30, s10
	s_mul_hi_u32 s33, s30, s9
	s_add_i32 s3, s2, s3
	s_mul_i32 s2, s60, s62
	s_add_i32 s10, s33, s10
	s_mul_i32 s31, s31, s9
	s_add_i32 s31, s10, s31
	s_lshl_b64 s[2:3], s[2:3], 1
	s_mul_i32 s30, s30, s9
	s_add_u32 s10, s34, s2
	s_addc_u32 s33, s35, s3
	s_lshl_b64 s[2:3], s[30:31], 1
	s_add_u32 s2, s10, s2
	s_addc_u32 s3, s33, s3
	s_cmp_lt_i32 s17, 1
	s_mul_i32 s9, s9, s11
	s_cselect_b64 s[10:11], -1, 0
	s_sub_i32 s9, s9, s15
	s_cmp_gt_i32 s18, 0
	s_cselect_b64 s[30:31], -1, 0
	s_cmp_gt_i32 s8, 0
	s_cselect_b64 s[34:35], -1, 0
	s_abs_i32 s66, s6
	v_cvt_f32_u32_e32 v1, s66
	s_abs_i32 s68, s7
	v_cvt_f32_u32_e32 v2, s68
	s_load_dword s15, s[0:1], 0xec
	v_rcp_iflag_f32_e32 v1, v1
	v_cmp_neq_f64_e64 s[0:1], s[24:25], 1.0
	v_rcp_iflag_f32_e32 v2, v2
	v_cmp_neq_f64_e64 s[60:61], s[26:27], 0
	v_mul_f32_e32 v1, 0x4f7ffffe, v1
	v_cvt_u32_f32_e32 v1, v1
	v_mul_f32_e32 v2, 0x4f7ffffe, v2
	v_cvt_u32_f32_e32 v2, v2
	s_or_b64 s[60:61], s[0:1], s[60:61]
	s_sub_i32 s64, 0, s66
	s_mul_i32 s0, s44, s63
	s_mul_hi_u32 s1, s44, s62
	s_add_i32 s0, s1, s0
	s_mul_i32 s1, s45, s62
	v_mul_lo_u32 v3, s64, v1
	s_sub_i32 s65, 0, s68
	s_add_i32 s1, s0, s1
	s_mul_i32 s0, s44, s62
	v_mul_hi_u32 v3, v1, v3
	s_waitcnt lgkmcnt(0)
	s_and_b32 s15, s15, 0xffff
	s_ashr_i32 s33, s6, 31
	s_ashr_i32 s67, s7, 31
	s_lshl_b64 s[52:53], s[52:53], 1
	s_lshl_b64 s[0:1], s[0:1], 1
	s_lshl_b64 s[44:45], s[54:55], 1
	s_lshl_b64 s[50:51], s[50:51], 1
	s_lshl_b64 s[48:49], s[48:49], 1
	s_lshl_b64 s[46:47], s[46:47], 1
	v_add_u32_e32 v5, v1, v3
	v_mul_lo_u32 v1, s65, v2
	s_add_u32 s20, s20, s0
	v_mul_hi_u32 v1, v2, v1
	s_addc_u32 s21, s21, s1
	s_lshl_b64 s[38:39], s[38:39], 1
	s_lshl_b64 s[42:43], s[42:43], 1
	;; [unrolled: 1-line block ×4, first 2 shown]
	s_mov_b64 s[54:55], 0
	v_add_u32_e32 v20, v2, v1
	s_branch .LBB19_3
.LBB19_2:                               ;   in Loop: Header=BB19_3 Depth=1
	v_add_u32_e32 v0, s15, v0
	v_cmp_le_i32_e32 vcc, s19, v0
	s_or_b64 s[54:55], vcc, s[54:55]
	s_andn2_b64 exec, exec, s[54:55]
	s_cbranch_execz .LBB19_20
.LBB19_3:                               ; =>This Loop Header: Depth=1
                                        ;     Child Loop BB19_8 Depth 2
                                        ;       Child Loop BB19_11 Depth 3
                                        ;         Child Loop BB19_14 Depth 4
	v_sub_u32_e32 v2, 0, v0
	v_max_i32_e32 v2, v0, v2
	v_mul_hi_u32 v3, v2, v5
	v_mul_lo_u32 v4, v3, s66
	v_sub_u32_e32 v2, v2, v4
	v_add_u32_e32 v4, 1, v3
	v_cmp_le_u32_e32 vcc, s66, v2
	v_ashrrev_i32_e32 v1, 31, v0
	v_xor_b32_e32 v1, s33, v1
	v_cndmask_b32_e32 v3, v3, v4, vcc
	v_subrev_u32_e32 v4, s66, v2
	v_cndmask_b32_e32 v2, v2, v4, vcc
	v_add_u32_e32 v4, 1, v3
	v_cmp_le_u32_e32 vcc, s66, v2
	s_nop 1
	v_cndmask_b32_e32 v2, v3, v4, vcc
	v_xor_b32_e32 v2, v2, v1
	v_sub_u32_e32 v21, v2, v1
	v_mul_lo_u32 v1, v21, s6
	v_sub_u32_e32 v8, v0, v1
	v_sub_u32_e32 v2, 0, v8
	v_max_i32_e32 v2, v8, v2
	v_mul_hi_u32 v3, v2, v20
	v_mul_lo_u32 v4, v3, s68
	v_sub_u32_e32 v2, v2, v4
	v_add_u32_e32 v4, 1, v3
	v_cmp_le_u32_e32 vcc, s68, v2
	v_ashrrev_i32_e32 v9, 31, v8
	v_xor_b32_e32 v1, s67, v9
	v_cndmask_b32_e32 v3, v3, v4, vcc
	v_subrev_u32_e32 v4, s68, v2
	v_cndmask_b32_e32 v2, v2, v4, vcc
	v_add_u32_e32 v4, 1, v3
	v_cmp_le_u32_e32 vcc, s68, v2
	s_nop 1
	v_cndmask_b32_e32 v2, v3, v4, vcc
	v_xor_b32_e32 v2, v2, v1
	v_sub_u32_e32 v2, v2, v1
	v_mul_lo_u32 v10, v2, s7
	v_sub_u32_e32 v4, v8, v10
	s_andn2_b64 vcc, exec, s[10:11]
	v_ashrrev_i32_e32 v1, 31, v2
	v_ashrrev_i32_e32 v3, 31, v4
	s_cbranch_vccnz .LBB19_5
; %bb.4:                                ;   in Loop: Header=BB19_3 Depth=1
	s_mov_b64 s[0:1], 0
	v_mov_b64_e32 v[6:7], s[0:1]
	s_cbranch_execz .LBB19_6
	s_branch .LBB19_16
.LBB19_5:                               ;   in Loop: Header=BB19_3 Depth=1
                                        ; implicit-def: $sgpr0_sgpr1
	v_mov_b64_e32 v[6:7], s[0:1]
.LBB19_6:                               ;   in Loop: Header=BB19_3 Depth=1
	v_mul_lo_u32 v6, v21, s12
	v_subrev_u32_e32 v22, s16, v6
	v_ashrrev_i32_e32 v6, 31, v10
	v_sub_co_u32_e32 v8, vcc, v8, v10
	v_mul_lo_u32 v10, s45, v2
	s_nop 0
	v_subb_co_u32_e32 v9, vcc, v9, v6, vcc
	v_mul_lo_u32 v11, s44, v1
	v_mad_u64_u32 v[6:7], s[0:1], s44, v2, 0
	v_add3_u32 v7, v7, v11, v10
	v_mad_u64_u32 v[6:7], s[0:1], s52, v8, v[6:7]
	v_mul_lo_u32 v9, s52, v9
	v_mul_lo_u32 v8, s53, v8
	v_add3_u32 v7, v8, v7, v9
	v_lshl_add_u64 v[8:9], s[22:23], 0, v[6:7]
	v_mov_b64_e32 v[6:7], s[20:21]
	v_mad_u64_u32 v[10:11], s[0:1], s38, v2, v[6:7]
	v_mul_lo_u32 v6, s39, v2
	v_mul_lo_u32 v7, s38, v1
	v_add3_u32 v11, v6, v11, v7
	s_mov_b32 s69, 0
	v_mov_b64_e32 v[6:7], 0
	s_mov_b32 s70, s9
	s_branch .LBB19_8
.LBB19_7:                               ;   in Loop: Header=BB19_8 Depth=2
	s_add_i32 s69, s69, 1
	s_add_i32 s70, s70, s13
	s_cmp_eq_u32 s69, s17
	v_lshl_add_u64 v[8:9], v[8:9], 0, s[50:51]
	s_cbranch_scc1 .LBB19_16
.LBB19_8:                               ;   Parent Loop BB19_3 Depth=1
                                        ; =>  This Loop Header: Depth=2
                                        ;       Child Loop BB19_11 Depth 3
                                        ;         Child Loop BB19_14 Depth 4
	s_andn2_b64 vcc, exec, s[30:31]
	s_cbranch_vccnz .LBB19_7
; %bb.9:                                ;   in Loop: Header=BB19_8 Depth=2
	s_mul_i32 s0, s69, s13
	s_add_i32 s62, s0, s9
	s_cmp_lt_i32 s62, 0
	s_cselect_b64 s[0:1], -1, 0
	s_cmp_ge_i32 s62, s4
	s_cselect_b64 s[62:63], -1, 0
	v_mov_b32_e32 v12, s70
	s_or_b64 s[62:63], s[0:1], s[62:63]
	v_mad_u64_u32 v[12:13], s[0:1], s42, v12, v[10:11]
	s_mul_i32 s0, s43, s70
	s_mov_b32 s71, 0
	v_add_u32_e32 v13, s0, v13
	v_mov_b32_e32 v23, v22
	v_mov_b64_e32 v[14:15], v[8:9]
	s_branch .LBB19_11
.LBB19_10:                              ;   in Loop: Header=BB19_11 Depth=3
	s_add_i32 s71, s71, 1
	v_lshl_add_u64 v[14:15], v[14:15], 0, s[48:49]
	s_cmp_eq_u32 s71, s18
	v_add_u32_e32 v23, s14, v23
	s_cbranch_scc1 .LBB19_7
.LBB19_11:                              ;   Parent Loop BB19_3 Depth=1
                                        ;     Parent Loop BB19_8 Depth=2
                                        ; =>    This Loop Header: Depth=3
                                        ;         Child Loop BB19_14 Depth 4
	s_andn2_b64 vcc, exec, s[34:35]
	s_cbranch_vccnz .LBB19_10
; %bb.12:                               ;   in Loop: Header=BB19_11 Depth=3
	v_mad_u64_u32 v[16:17], s[0:1], s40, v23, v[12:13]
	v_mov_b32_e32 v18, v17
	v_mad_u64_u32 v[18:19], s[0:1], s41, v23, v[18:19]
	s_mul_i32 s0, s71, s14
	v_mov_b32_e32 v17, v18
	v_add_u32_e32 v18, s0, v22
	v_cmp_gt_i32_e32 vcc, 0, v18
	v_cmp_le_i32_e64 s[0:1], s5, v18
	s_or_b64 s[0:1], vcc, s[0:1]
	s_or_b64 s[0:1], s[62:63], s[0:1]
	s_xor_b64 s[0:1], s[0:1], -1
	v_mov_b64_e32 v[18:19], v[14:15]
	s_mov_b32 s72, s8
	s_branch .LBB19_14
.LBB19_13:                              ;   in Loop: Header=BB19_14 Depth=4
	s_or_b64 exec, exec, s[64:65]
	s_add_i32 s72, s72, -1
	v_lshl_add_u64 v[18:19], v[18:19], 0, s[46:47]
	s_cmp_eq_u32 s72, 0
	v_lshl_add_u64 v[16:17], v[16:17], 0, s[36:37]
	s_cbranch_scc1 .LBB19_10
.LBB19_14:                              ;   Parent Loop BB19_3 Depth=1
                                        ;     Parent Loop BB19_8 Depth=2
                                        ;       Parent Loop BB19_11 Depth=3
                                        ; =>      This Inner Loop Header: Depth=4
	s_and_saveexec_b64 s[64:65], s[0:1]
	s_cbranch_execz .LBB19_13
; %bb.15:                               ;   in Loop: Header=BB19_14 Depth=4
	global_load_ushort v24, v[16:17], off
	global_load_ushort v25, v[18:19], off
	s_waitcnt vmcnt(1)
	v_cvt_f32_f16_e32 v24, v24
	s_waitcnt vmcnt(0)
	v_cvt_f32_f16_e32 v26, v25
	v_cvt_f64_f32_e32 v[24:25], v24
	v_cvt_f64_f32_e32 v[26:27], v26
	v_fmac_f64_e32 v[6:7], v[24:25], v[26:27]
	s_branch .LBB19_13
.LBB19_16:                              ;   in Loop: Header=BB19_3 Depth=1
	v_ashrrev_i32_e32 v8, 31, v21
	v_mul_lo_u32 v10, s29, v21
	v_mul_lo_u32 v11, s28, v8
	v_mad_u64_u32 v[8:9], s[0:1], s28, v21, 0
	v_add3_u32 v9, v9, v11, v10
	v_mad_u64_u32 v[8:9], s[0:1], v4, s56, v[8:9]
	v_mul_lo_u32 v4, v4, s57
	v_mul_lo_u32 v3, v3, s56
	v_add3_u32 v9, v3, v9, v4
	v_mad_u64_u32 v[8:9], s[0:1], v2, s58, v[8:9]
	v_mul_lo_u32 v2, v2, s59
	v_mul_lo_u32 v1, v1, s58
	v_add3_u32 v9, v1, v9, v2
	s_mov_b64 s[0:1], -1
	s_and_b64 vcc, exec, s[60:61]
	v_lshl_add_u64 v[2:3], v[8:9], 1, s[2:3]
	s_cbranch_vccz .LBB19_18
; %bb.17:                               ;   in Loop: Header=BB19_3 Depth=1
	global_load_ushort v1, v[2:3], off
	s_mov_b64 s[0:1], 0
	s_waitcnt vmcnt(0)
	v_cvt_f32_f16_e32 v1, v1
	v_cvt_f64_f32_e32 v[8:9], v1
	v_mul_f64 v[8:9], v[8:9], s[26:27]
	v_fmac_f64_e32 v[8:9], s[24:25], v[6:7]
	v_cvt_f32_f64_e32 v1, v[8:9]
	v_cvt_f16_f32_e32 v1, v1
	global_store_short v[2:3], v1, off
.LBB19_18:                              ;   in Loop: Header=BB19_3 Depth=1
	s_andn2_b64 vcc, exec, s[0:1]
	s_cbranch_vccnz .LBB19_2
; %bb.19:                               ;   in Loop: Header=BB19_3 Depth=1
	v_cvt_f32_f64_e32 v1, v[6:7]
	v_cvt_f16_f32_e32 v1, v1
	global_store_short v[2:3], v1, off
	s_branch .LBB19_2
.LBB19_20:
	s_endpgm
	.section	.rodata,"a",@progbits
	.p2align	6, 0x0
	.amdhsa_kernel naive_conv_ab_nonpacked_fwd_nhwc_half_double_half_0
		.amdhsa_group_segment_fixed_size 0
		.amdhsa_private_segment_fixed_size 0
		.amdhsa_kernarg_size 480
		.amdhsa_user_sgpr_count 2
		.amdhsa_user_sgpr_dispatch_ptr 0
		.amdhsa_user_sgpr_queue_ptr 0
		.amdhsa_user_sgpr_kernarg_segment_ptr 1
		.amdhsa_user_sgpr_dispatch_id 0
		.amdhsa_user_sgpr_kernarg_preload_length 0
		.amdhsa_user_sgpr_kernarg_preload_offset 0
		.amdhsa_user_sgpr_private_segment_size 0
		.amdhsa_uses_dynamic_stack 0
		.amdhsa_enable_private_segment 0
		.amdhsa_system_sgpr_workgroup_id_x 1
		.amdhsa_system_sgpr_workgroup_id_y 0
		.amdhsa_system_sgpr_workgroup_id_z 0
		.amdhsa_system_sgpr_workgroup_info 0
		.amdhsa_system_vgpr_workitem_id 0
		.amdhsa_next_free_vgpr 28
		.amdhsa_next_free_sgpr 73
		.amdhsa_accum_offset 28
		.amdhsa_reserve_vcc 1
		.amdhsa_float_round_mode_32 0
		.amdhsa_float_round_mode_16_64 0
		.amdhsa_float_denorm_mode_32 3
		.amdhsa_float_denorm_mode_16_64 3
		.amdhsa_dx10_clamp 1
		.amdhsa_ieee_mode 1
		.amdhsa_fp16_overflow 0
		.amdhsa_tg_split 0
		.amdhsa_exception_fp_ieee_invalid_op 0
		.amdhsa_exception_fp_denorm_src 0
		.amdhsa_exception_fp_ieee_div_zero 0
		.amdhsa_exception_fp_ieee_overflow 0
		.amdhsa_exception_fp_ieee_underflow 0
		.amdhsa_exception_fp_ieee_inexact 0
		.amdhsa_exception_int_div_zero 0
	.end_amdhsa_kernel
	.text
.Lfunc_end19:
	.size	naive_conv_ab_nonpacked_fwd_nhwc_half_double_half_0, .Lfunc_end19-naive_conv_ab_nonpacked_fwd_nhwc_half_double_half_0
                                        ; -- End function
	.section	.AMDGPU.csdata,"",@progbits
; Kernel info:
; codeLenInByte = 1528
; NumSgprs: 79
; NumVgprs: 28
; NumAgprs: 0
; TotalNumVgprs: 28
; ScratchSize: 0
; MemoryBound: 0
; FloatMode: 240
; IeeeMode: 1
; LDSByteSize: 0 bytes/workgroup (compile time only)
; SGPRBlocks: 9
; VGPRBlocks: 3
; NumSGPRsForWavesPerEU: 79
; NumVGPRsForWavesPerEU: 28
; AccumOffset: 28
; Occupancy: 8
; WaveLimiterHint : 0
; COMPUTE_PGM_RSRC2:SCRATCH_EN: 0
; COMPUTE_PGM_RSRC2:USER_SGPR: 2
; COMPUTE_PGM_RSRC2:TRAP_HANDLER: 0
; COMPUTE_PGM_RSRC2:TGID_X_EN: 1
; COMPUTE_PGM_RSRC2:TGID_Y_EN: 0
; COMPUTE_PGM_RSRC2:TGID_Z_EN: 0
; COMPUTE_PGM_RSRC2:TIDIG_COMP_CNT: 0
; COMPUTE_PGM_RSRC3_GFX90A:ACCUM_OFFSET: 6
; COMPUTE_PGM_RSRC3_GFX90A:TG_SPLIT: 0
	.text
	.protected	naive_conv_ab_packed_fwd_nhwc_ushort_double_ushort_0 ; -- Begin function naive_conv_ab_packed_fwd_nhwc_ushort_double_ushort_0
	.globl	naive_conv_ab_packed_fwd_nhwc_ushort_double_ushort_0
	.p2align	8
	.type	naive_conv_ab_packed_fwd_nhwc_ushort_double_ushort_0,@function
naive_conv_ab_packed_fwd_nhwc_ushort_double_ushort_0: ; @naive_conv_ab_packed_fwd_nhwc_ushort_double_ushort_0
; %bb.0:
	s_load_dwordx16 s[4:19], s[0:1], 0xa0
	s_abs_i32 s20, s2
	s_waitcnt lgkmcnt(0)
	s_abs_i32 s3, s9
	v_cvt_f32_u32_e32 v1, s3
	s_sub_i32 s21, 0, s3
	v_rcp_iflag_f32_e32 v1, v1
	s_nop 0
	v_mul_f32_e32 v1, 0x4f7ffffe, v1
	v_cvt_u32_f32_e32 v1, v1
	s_nop 0
	v_readfirstlane_b32 s22, v1
	s_mul_i32 s21, s21, s22
	s_mul_hi_u32 s21, s22, s21
	s_add_i32 s22, s22, s21
	s_mul_hi_u32 s21, s20, s22
	s_mul_i32 s22, s21, s3
	s_sub_i32 s20, s20, s22
	s_add_i32 s23, s21, 1
	s_sub_i32 s22, s20, s3
	s_cmp_ge_u32 s20, s3
	s_cselect_b32 s21, s23, s21
	s_cselect_b32 s20, s22, s20
	s_add_i32 s22, s21, 1
	s_cmp_ge_u32 s20, s3
	s_cselect_b32 s28, s22, s21
	s_abs_i32 s3, s6
	v_cvt_f32_u32_e32 v1, s3
	s_mul_i32 s6, s19, s7
	s_mul_i32 s33, s6, s10
	v_cmp_gt_i32_e32 vcc, s33, v0
	v_rcp_iflag_f32_e32 v1, v1
	s_nop 0
	v_mul_f32_e32 v1, 0x4f7ffffe, v1
	v_cvt_u32_f32_e32 v1, v1
	s_nop 0
	v_readfirstlane_b32 s29, v1
	s_and_saveexec_b64 s[20:21], vcc
	s_cbranch_execz .LBB20_20
; %bb.1:
	s_xor_b32 s30, s2, s9
	s_ashr_i32 s30, s30, 31
	s_sub_i32 s34, 0, s3
	s_xor_b32 s28, s28, s30
	s_mul_i32 s34, s34, s29
	s_sub_i32 s28, s28, s30
	s_mul_hi_u32 s34, s29, s34
	s_abs_i32 s31, s28
	s_add_i32 s29, s29, s34
	s_mul_hi_u32 s29, s31, s29
	s_ashr_i32 s30, s28, 31
	s_mul_i32 s28, s28, s9
	s_mul_i32 s29, s29, s3
	s_sub_i32 s34, s2, s28
	s_sub_i32 s2, s31, s29
	;; [unrolled: 1-line block ×3, first 2 shown]
	s_cmp_ge_u32 s2, s3
	s_cselect_b32 s2, s28, s2
	s_sub_i32 s28, s2, s3
	s_cmp_ge_u32 s2, s3
	s_cselect_b32 s2, s28, s2
	s_xor_b32 s2, s2, s30
	s_mul_i32 s19, s19, s8
	s_sub_i32 s40, s2, s30
	s_ashr_i32 s41, s40, 31
	s_ashr_i32 s52, s5, 31
	;; [unrolled: 1-line block ×3, first 2 shown]
	s_mul_hi_i32 s2, s40, s9
	s_mul_i32 s3, s40, s9
	s_ashr_i32 s55, s6, 31
	s_ashr_i32 s9, s34, 31
	s_add_u32 s28, s3, s34
	s_addc_u32 s2, s2, s9
	s_mul_hi_i32 s3, s6, s10
	s_mul_i32 s2, s33, s2
	s_mul_hi_u32 s9, s33, s28
	s_add_i32 s9, s9, s2
	s_mul_i32 s10, s3, s28
	s_load_dwordx2 s[2:3], s[0:1], 0x20
	s_load_dword s38, s[0:1], 0xec
	s_add_i32 s29, s9, s10
	s_mul_i32 s28, s33, s28
	s_lshl_b64 s[28:29], s[28:29], 1
	s_waitcnt lgkmcnt(0)
	s_add_u32 s2, s2, s28
	s_addc_u32 s3, s3, s29
	s_cmp_lt_i32 s17, 1
	s_mul_i32 s34, s34, s11
	s_cselect_b64 s[10:11], -1, 0
	s_sub_i32 s15, s34, s15
	s_cmp_gt_i32 s18, 0
	s_cselect_b64 s[28:29], -1, 0
	s_cmp_gt_i32 s8, 0
	s_cselect_b64 s[30:31], -1, 0
	s_abs_i32 s58, s6
	v_cvt_f32_u32_e32 v1, s58
	s_abs_i32 s59, s7
	v_cvt_f32_u32_e32 v2, s59
	s_load_dwordx8 s[20:27], s[0:1], 0x0
	v_rcp_iflag_f32_e32 v1, v1
	s_mov_b32 s53, s5
	v_rcp_iflag_f32_e32 v2, v2
	s_ashr_i32 s9, s8, 31
	v_mul_f32_e32 v1, 0x4f7ffffe, v1
	v_cvt_u32_f32_e32 v1, v1
	v_mul_f32_e32 v2, 0x4f7ffffe, v2
	s_waitcnt lgkmcnt(0)
	v_cmp_neq_f64_e64 s[0:1], s[24:25], 1.0
	v_cmp_neq_f64_e64 s[36:37], s[26:27], 0
	v_cvt_u32_f32_e32 v2, v2
	s_or_b64 s[36:37], s[0:1], s[36:37]
	s_sub_i32 s0, 0, s58
	v_mul_lo_u32 v3, s0, v1
	v_mul_hi_u32 v3, v1, v3
	s_sub_i32 s0, 0, s59
	v_add_u32_e32 v1, v1, v3
	v_mul_lo_u32 v3, s0, v2
	s_mul_hi_i32 s0, s5, s4
	s_mul_i32 s5, s5, s4
	s_and_b32 s60, s38, 0xffff
	s_lshl_b64 s[38:39], s[8:9], 1
	s_mul_i32 s1, s5, s41
	s_mul_hi_u32 s9, s5, s40
	s_add_i32 s1, s9, s1
	s_mul_i32 s0, s0, s40
	s_add_i32 s1, s1, s0
	s_mul_i32 s0, s5, s40
	s_ashr_i32 s42, s17, 31
	s_lshl_b64 s[40:41], s[0:1], 1
	s_mul_i32 s0, s18, s8
	s_mul_i32 s1, s0, s42
	s_mul_hi_u32 s5, s0, s17
	s_add_i32 s5, s5, s1
	s_mul_hi_i32 s1, s18, s8
	s_mul_i32 s9, s1, s17
	v_mul_hi_u32 v3, v2, v3
	s_add_i32 s43, s5, s9
	s_mul_i32 s42, s0, s17
	s_ashr_i32 s56, s7, 31
	s_mov_b32 s57, s7
	s_mov_b64 s[34:35], 0
	v_add_u32_e32 v20, v2, v3
	s_lshl_b64 s[42:43], s[42:43], 1
	s_lshl_b64 s[44:45], s[0:1], 1
	v_mov_b32_e32 v3, 0
	s_mov_b32 s5, 0x7f800000
	s_branch .LBB20_3
.LBB20_2:                               ;   in Loop: Header=BB20_3 Depth=1
	v_add_u32_e32 v0, s60, v0
	v_cmp_le_i32_e32 vcc, s33, v0
	s_or_b64 s[34:35], vcc, s[34:35]
	s_andn2_b64 exec, exec, s[34:35]
	s_cbranch_execz .LBB20_20
.LBB20_3:                               ; =>This Loop Header: Depth=1
                                        ;     Child Loop BB20_8 Depth 2
                                        ;       Child Loop BB20_11 Depth 3
                                        ;         Child Loop BB20_14 Depth 4
	v_sub_u32_e32 v4, 0, v0
	v_max_i32_e32 v4, v0, v4
	v_mul_hi_u32 v5, v4, v1
	v_mul_lo_u32 v6, v5, s58
	v_sub_u32_e32 v4, v4, v6
	v_add_u32_e32 v6, 1, v5
	v_cmp_le_u32_e32 vcc, s58, v4
	v_ashrrev_i32_e32 v2, 31, v0
	v_xor_b32_e32 v2, s55, v2
	v_cndmask_b32_e32 v5, v5, v6, vcc
	v_subrev_u32_e32 v6, s58, v4
	v_cndmask_b32_e32 v4, v4, v6, vcc
	v_add_u32_e32 v6, 1, v5
	v_cmp_le_u32_e32 vcc, s58, v4
	s_nop 1
	v_cndmask_b32_e32 v4, v5, v6, vcc
	v_xor_b32_e32 v4, v4, v2
	v_sub_u32_e32 v21, v4, v2
	v_mul_lo_u32 v2, v21, s6
	v_sub_u32_e32 v12, v0, v2
	v_sub_u32_e32 v4, 0, v12
	v_max_i32_e32 v4, v12, v4
	v_mul_hi_u32 v5, v4, v20
	v_mul_lo_u32 v6, v5, s59
	v_sub_u32_e32 v4, v4, v6
	v_add_u32_e32 v6, 1, v5
	v_cmp_le_u32_e32 vcc, s59, v4
	v_ashrrev_i32_e32 v13, 31, v12
	v_xor_b32_e32 v2, s56, v13
	v_cndmask_b32_e32 v5, v5, v6, vcc
	v_subrev_u32_e32 v6, s59, v4
	v_cndmask_b32_e32 v4, v4, v6, vcc
	v_add_u32_e32 v6, 1, v5
	v_cmp_le_u32_e32 vcc, s59, v4
	s_nop 1
	v_cndmask_b32_e32 v4, v5, v6, vcc
	v_xor_b32_e32 v4, v4, v2
	v_sub_u32_e32 v14, v4, v2
	v_mul_lo_u32 v2, v14, s7
	v_sub_u32_e32 v4, v12, v2
	s_andn2_b64 vcc, exec, s[10:11]
	v_ashrrev_i32_e32 v5, 31, v4
	s_cbranch_vccnz .LBB20_5
; %bb.4:                                ;   in Loop: Header=BB20_3 Depth=1
	v_mad_i64_i32 v[6:7], s[0:1], v14, s57, 0
	s_mov_b64 s[0:1], 0
	s_nop 0
	v_mov_b64_e32 v[8:9], s[0:1]
	s_cbranch_execz .LBB20_6
	s_branch .LBB20_16
.LBB20_5:                               ;   in Loop: Header=BB20_3 Depth=1
                                        ; implicit-def: $sgpr0_sgpr1
                                        ; implicit-def: $vgpr6_vgpr7
	v_mov_b64_e32 v[8:9], s[0:1]
.LBB20_6:                               ;   in Loop: Header=BB20_3 Depth=1
	v_ashrrev_i32_e32 v15, 31, v14
	v_mov_b64_e32 v[8:9], s[20:21]
	v_mad_u64_u32 v[10:11], s[0:1], s38, v14, v[8:9]
	v_mul_lo_u32 v8, s39, v14
	v_mul_lo_u32 v9, s38, v15
	v_add3_u32 v11, v8, v11, v9
	v_mad_i64_i32 v[8:9], s[0:1], v14, s57, v[12:13]
	v_ashrrev_i32_e32 v12, 31, v2
	v_sub_co_u32_e32 v2, vcc, v8, v2
	v_mul_lo_u32 v6, v21, s12
	s_nop 0
	v_subb_co_u32_e32 v8, vcc, v9, v12, vcc
	v_subrev_u32_e32 v22, s16, v6
	v_mad_i64_i32 v[6:7], s[0:1], v14, s57, 0
	v_mul_lo_u32 v14, s42, v8
	v_mov_b64_e32 v[8:9], s[22:23]
	v_mul_lo_u32 v15, s43, v2
	v_mad_u64_u32 v[12:13], s[0:1], s42, v2, v[8:9]
	v_add3_u32 v13, v15, v13, v14
	s_mov_b32 s9, 0
	v_mov_b64_e32 v[8:9], 0
	s_mov_b32 s61, s15
	s_branch .LBB20_8
.LBB20_7:                               ;   in Loop: Header=BB20_8 Depth=2
	s_add_i32 s9, s9, 1
	s_add_i32 s61, s61, s13
	s_cmp_eq_u32 s9, s17
	v_lshl_add_u64 v[12:13], v[12:13], 0, s[44:45]
	s_cbranch_scc1 .LBB20_16
.LBB20_8:                               ;   Parent Loop BB20_3 Depth=1
                                        ; =>  This Loop Header: Depth=2
                                        ;       Child Loop BB20_11 Depth 3
                                        ;         Child Loop BB20_14 Depth 4
	s_andn2_b64 vcc, exec, s[28:29]
	s_cbranch_vccnz .LBB20_7
; %bb.9:                                ;   in Loop: Header=BB20_8 Depth=2
	s_mul_i32 s0, s52, s61
	s_mul_hi_u32 s1, s53, s61
	s_add_i32 s47, s1, s0
	s_mul_i32 s0, s9, s13
	s_add_i32 s48, s0, s15
	s_cmp_lt_i32 s48, 0
	s_cselect_b64 s[0:1], -1, 0
	s_cmp_ge_i32 s48, s4
	s_cselect_b64 s[48:49], -1, 0
	s_mul_i32 s46, s53, s61
	s_mov_b32 s62, 0
	s_or_b64 s[48:49], s[0:1], s[48:49]
	v_mov_b64_e32 v[14:15], v[12:13]
	v_mov_b32_e32 v2, v22
	s_branch .LBB20_11
.LBB20_10:                              ;   in Loop: Header=BB20_11 Depth=3
	s_add_i32 s62, s62, 1
	v_add_u32_e32 v2, s14, v2
	s_cmp_eq_u32 s62, s18
	v_lshl_add_u64 v[14:15], v[14:15], 0, s[38:39]
	s_cbranch_scc1 .LBB20_7
.LBB20_11:                              ;   Parent Loop BB20_3 Depth=1
                                        ;     Parent Loop BB20_8 Depth=2
                                        ; =>    This Loop Header: Depth=3
                                        ;         Child Loop BB20_14 Depth 4
	s_andn2_b64 vcc, exec, s[30:31]
	s_cbranch_vccnz .LBB20_10
; %bb.12:                               ;   in Loop: Header=BB20_11 Depth=3
	v_lshl_add_u64 v[16:17], s[46:47], 0, v[2:3]
	v_lshl_add_u64 v[16:17], v[16:17], 1, s[40:41]
	v_mul_lo_u32 v18, s19, v17
	v_mul_lo_u32 v19, s54, v16
	v_mad_u64_u32 v[16:17], s[0:1], s19, v16, v[10:11]
	s_mul_i32 s0, s62, s14
	v_add3_u32 v17, v19, v17, v18
	v_add_u32_e32 v18, s0, v22
	v_cmp_gt_i32_e32 vcc, 0, v18
	v_cmp_le_i32_e64 s[0:1], s53, v18
	s_or_b64 s[0:1], vcc, s[0:1]
	s_or_b64 s[0:1], s[48:49], s[0:1]
	s_xor_b64 s[0:1], s[0:1], -1
	v_mov_b64_e32 v[18:19], v[14:15]
	s_mov_b32 s63, s8
	s_branch .LBB20_14
.LBB20_13:                              ;   in Loop: Header=BB20_14 Depth=4
	s_or_b64 exec, exec, s[50:51]
	s_add_i32 s63, s63, -1
	v_lshl_add_u64 v[16:17], v[16:17], 0, 2
	s_cmp_eq_u32 s63, 0
	v_lshl_add_u64 v[18:19], v[18:19], 0, 2
	s_cbranch_scc1 .LBB20_10
.LBB20_14:                              ;   Parent Loop BB20_3 Depth=1
                                        ;     Parent Loop BB20_8 Depth=2
                                        ;       Parent Loop BB20_11 Depth=3
                                        ; =>      This Inner Loop Header: Depth=4
	s_and_saveexec_b64 s[50:51], s[0:1]
	s_cbranch_execz .LBB20_13
; %bb.15:                               ;   in Loop: Header=BB20_14 Depth=4
	global_load_ushort v23, v[16:17], off
	global_load_ushort v24, v[18:19], off
	s_waitcnt vmcnt(1)
	v_lshlrev_b32_e32 v23, 16, v23
	s_waitcnt vmcnt(0)
	v_lshlrev_b32_e32 v26, 16, v24
	v_cvt_f64_f32_e32 v[24:25], v23
	v_cvt_f64_f32_e32 v[26:27], v26
	v_fmac_f64_e32 v[8:9], v[24:25], v[26:27]
	s_branch .LBB20_13
.LBB20_16:                              ;   in Loop: Header=BB20_3 Depth=1
	v_mad_i64_i32 v[4:5], s[0:1], v21, s6, v[4:5]
	v_lshl_add_u64 v[4:5], v[4:5], 0, v[6:7]
	s_mov_b64 s[0:1], -1
	s_and_b64 vcc, exec, s[36:37]
	v_lshl_add_u64 v[4:5], v[4:5], 1, s[2:3]
	s_cbranch_vccz .LBB20_18
; %bb.17:                               ;   in Loop: Header=BB20_3 Depth=1
	global_load_ushort v2, v[4:5], off
	s_waitcnt vmcnt(0)
	v_lshlrev_b32_e32 v2, 16, v2
	v_cvt_f64_f32_e32 v[6:7], v2
	v_mul_f64 v[6:7], v[6:7], s[26:27]
	v_fmac_f64_e32 v[6:7], s[24:25], v[8:9]
	v_cvt_f32_f64_e32 v2, v[6:7]
	v_and_b32_e32 v6, 0x7f800000, v2
	v_cmp_ne_u32_sdwa s[0:1], v2, v3 src0_sel:WORD_0 src1_sel:DWORD
	v_cmp_eq_u32_e32 vcc, s5, v6
	s_and_b64 s[0:1], vcc, s[0:1]
	v_cndmask_b32_e64 v6, 0, 1, s[0:1]
	v_or_b32_sdwa v2, v2, v6 dst_sel:DWORD dst_unused:UNUSED_PAD src0_sel:WORD_1 src1_sel:DWORD
	global_store_short v[4:5], v2, off
	s_mov_b64 s[0:1], 0
.LBB20_18:                              ;   in Loop: Header=BB20_3 Depth=1
	s_andn2_b64 vcc, exec, s[0:1]
	s_cbranch_vccnz .LBB20_2
; %bb.19:                               ;   in Loop: Header=BB20_3 Depth=1
	v_cvt_f32_f64_e32 v2, v[8:9]
	v_and_b32_e32 v6, 0x7f800000, v2
	v_cmp_eq_u32_e32 vcc, s5, v6
	v_cmp_ne_u32_sdwa s[0:1], v2, v3 src0_sel:WORD_0 src1_sel:DWORD
	s_and_b64 s[0:1], vcc, s[0:1]
	s_nop 0
	v_cndmask_b32_e64 v6, 0, 1, s[0:1]
	v_or_b32_sdwa v2, v2, v6 dst_sel:DWORD dst_unused:UNUSED_PAD src0_sel:WORD_1 src1_sel:DWORD
	global_store_short v[4:5], v2, off
	s_branch .LBB20_2
.LBB20_20:
	s_endpgm
	.section	.rodata,"a",@progbits
	.p2align	6, 0x0
	.amdhsa_kernel naive_conv_ab_packed_fwd_nhwc_ushort_double_ushort_0
		.amdhsa_group_segment_fixed_size 0
		.amdhsa_private_segment_fixed_size 0
		.amdhsa_kernarg_size 480
		.amdhsa_user_sgpr_count 2
		.amdhsa_user_sgpr_dispatch_ptr 0
		.amdhsa_user_sgpr_queue_ptr 0
		.amdhsa_user_sgpr_kernarg_segment_ptr 1
		.amdhsa_user_sgpr_dispatch_id 0
		.amdhsa_user_sgpr_kernarg_preload_length 0
		.amdhsa_user_sgpr_kernarg_preload_offset 0
		.amdhsa_user_sgpr_private_segment_size 0
		.amdhsa_uses_dynamic_stack 0
		.amdhsa_enable_private_segment 0
		.amdhsa_system_sgpr_workgroup_id_x 1
		.amdhsa_system_sgpr_workgroup_id_y 0
		.amdhsa_system_sgpr_workgroup_id_z 0
		.amdhsa_system_sgpr_workgroup_info 0
		.amdhsa_system_vgpr_workitem_id 0
		.amdhsa_next_free_vgpr 28
		.amdhsa_next_free_sgpr 64
		.amdhsa_accum_offset 28
		.amdhsa_reserve_vcc 1
		.amdhsa_float_round_mode_32 0
		.amdhsa_float_round_mode_16_64 0
		.amdhsa_float_denorm_mode_32 3
		.amdhsa_float_denorm_mode_16_64 3
		.amdhsa_dx10_clamp 1
		.amdhsa_ieee_mode 1
		.amdhsa_fp16_overflow 0
		.amdhsa_tg_split 0
		.amdhsa_exception_fp_ieee_invalid_op 0
		.amdhsa_exception_fp_denorm_src 0
		.amdhsa_exception_fp_ieee_div_zero 0
		.amdhsa_exception_fp_ieee_overflow 0
		.amdhsa_exception_fp_ieee_underflow 0
		.amdhsa_exception_fp_ieee_inexact 0
		.amdhsa_exception_int_div_zero 0
	.end_amdhsa_kernel
	.text
.Lfunc_end20:
	.size	naive_conv_ab_packed_fwd_nhwc_ushort_double_ushort_0, .Lfunc_end20-naive_conv_ab_packed_fwd_nhwc_ushort_double_ushort_0
                                        ; -- End function
	.section	.AMDGPU.csdata,"",@progbits
; Kernel info:
; codeLenInByte = 1532
; NumSgprs: 70
; NumVgprs: 28
; NumAgprs: 0
; TotalNumVgprs: 28
; ScratchSize: 0
; MemoryBound: 0
; FloatMode: 240
; IeeeMode: 1
; LDSByteSize: 0 bytes/workgroup (compile time only)
; SGPRBlocks: 8
; VGPRBlocks: 3
; NumSGPRsForWavesPerEU: 70
; NumVGPRsForWavesPerEU: 28
; AccumOffset: 28
; Occupancy: 8
; WaveLimiterHint : 0
; COMPUTE_PGM_RSRC2:SCRATCH_EN: 0
; COMPUTE_PGM_RSRC2:USER_SGPR: 2
; COMPUTE_PGM_RSRC2:TRAP_HANDLER: 0
; COMPUTE_PGM_RSRC2:TGID_X_EN: 1
; COMPUTE_PGM_RSRC2:TGID_Y_EN: 0
; COMPUTE_PGM_RSRC2:TGID_Z_EN: 0
; COMPUTE_PGM_RSRC2:TIDIG_COMP_CNT: 0
; COMPUTE_PGM_RSRC3_GFX90A:ACCUM_OFFSET: 6
; COMPUTE_PGM_RSRC3_GFX90A:TG_SPLIT: 0
	.text
	.protected	naive_conv_ab_nonpacked_fwd_nhwc_ushort_double_ushort_0 ; -- Begin function naive_conv_ab_nonpacked_fwd_nhwc_ushort_double_ushort_0
	.globl	naive_conv_ab_nonpacked_fwd_nhwc_ushort_double_ushort_0
	.p2align	8
	.type	naive_conv_ab_nonpacked_fwd_nhwc_ushort_double_ushort_0,@function
naive_conv_ab_nonpacked_fwd_nhwc_ushort_double_ushort_0: ; @naive_conv_ab_nonpacked_fwd_nhwc_ushort_double_ushort_0
; %bb.0:
	s_load_dwordx16 s[4:19], s[0:1], 0xa0
	s_abs_i32 s20, s2
	s_waitcnt lgkmcnt(0)
	s_abs_i32 s3, s9
	v_cvt_f32_u32_e32 v1, s3
	s_sub_i32 s21, 0, s3
	v_rcp_iflag_f32_e32 v1, v1
	s_nop 0
	v_mul_f32_e32 v1, 0x4f7ffffe, v1
	v_cvt_u32_f32_e32 v1, v1
	s_nop 0
	v_readfirstlane_b32 s22, v1
	s_mul_i32 s21, s21, s22
	s_mul_hi_u32 s21, s22, s21
	s_add_i32 s22, s22, s21
	s_mul_hi_u32 s21, s20, s22
	s_mul_i32 s22, s21, s3
	s_sub_i32 s20, s20, s22
	s_add_i32 s23, s21, 1
	s_sub_i32 s22, s20, s3
	s_cmp_ge_u32 s20, s3
	s_cselect_b32 s21, s23, s21
	s_cselect_b32 s20, s22, s20
	s_add_i32 s22, s21, 1
	s_cmp_ge_u32 s20, s3
	s_cselect_b32 s28, s22, s21
	s_abs_i32 s3, s6
	v_cvt_f32_u32_e32 v1, s3
	s_mul_i32 s6, s19, s7
	s_mul_i32 s19, s6, s10
	v_cmp_gt_i32_e32 vcc, s19, v0
	v_rcp_iflag_f32_e32 v1, v1
	s_nop 0
	v_mul_f32_e32 v1, 0x4f7ffffe, v1
	v_cvt_u32_f32_e32 v1, v1
	s_nop 0
	v_readfirstlane_b32 s10, v1
	s_and_saveexec_b64 s[20:21], vcc
	s_cbranch_execz .LBB21_20
; %bb.1:
	s_xor_b32 s29, s2, s9
	s_ashr_i32 s29, s29, 31
	s_xor_b32 s28, s28, s29
	s_sub_i32 s33, s28, s29
	s_sub_i32 s28, 0, s3
	s_mul_i32 s28, s28, s10
	s_mul_hi_u32 s28, s10, s28
	s_abs_i32 s63, s33
	s_add_i32 s10, s10, s28
	s_mul_hi_u32 s10, s63, s10
	s_ashr_i32 s62, s33, 31
	s_mul_i32 s33, s33, s9
	s_mul_i32 s10, s10, s3
	s_sub_i32 s9, s2, s33
	s_sub_i32 s2, s63, s10
	;; [unrolled: 1-line block ×3, first 2 shown]
	s_cmp_ge_u32 s2, s3
	s_cselect_b32 s2, s10, s2
	s_sub_i32 s10, s2, s3
	s_cmp_ge_u32 s2, s3
	s_cselect_b32 s2, s10, s2
	s_load_dwordx8 s[20:27], s[0:1], 0x0
	s_load_dwordx2 s[34:35], s[0:1], 0x20
	s_load_dwordx16 s[36:51], s[0:1], 0x28
	s_load_dwordx2 s[60:61], s[0:1], 0x98
	s_load_dwordx4 s[28:31], s[0:1], 0x88
	s_load_dwordx8 s[52:59], s[0:1], 0x68
	s_xor_b32 s2, s2, s62
	s_sub_i32 s62, s2, s62
	s_ashr_i32 s63, s62, 31
	s_waitcnt lgkmcnt(0)
	s_mul_i32 s2, s60, s63
	s_mul_hi_u32 s3, s60, s62
	s_ashr_i32 s10, s9, 31
	s_add_i32 s2, s3, s2
	s_mul_i32 s3, s61, s62
	s_mul_i32 s10, s30, s10
	s_mul_hi_u32 s33, s30, s9
	s_add_i32 s3, s2, s3
	s_mul_i32 s2, s60, s62
	s_add_i32 s10, s33, s10
	s_mul_i32 s31, s31, s9
	s_add_i32 s31, s10, s31
	s_lshl_b64 s[2:3], s[2:3], 1
	s_mul_i32 s30, s30, s9
	s_add_u32 s10, s34, s2
	s_addc_u32 s33, s35, s3
	s_lshl_b64 s[2:3], s[30:31], 1
	s_add_u32 s2, s10, s2
	s_addc_u32 s3, s33, s3
	s_cmp_lt_i32 s17, 1
	s_mul_i32 s9, s9, s11
	s_cselect_b64 s[10:11], -1, 0
	s_sub_i32 s9, s9, s15
	s_cmp_gt_i32 s18, 0
	s_cselect_b64 s[30:31], -1, 0
	s_cmp_gt_i32 s8, 0
	s_cselect_b64 s[34:35], -1, 0
	s_abs_i32 s66, s6
	v_cvt_f32_u32_e32 v1, s66
	s_abs_i32 s68, s7
	v_cvt_f32_u32_e32 v2, s68
	s_load_dword s15, s[0:1], 0xec
	v_rcp_iflag_f32_e32 v1, v1
	v_cmp_neq_f64_e64 s[0:1], s[24:25], 1.0
	v_rcp_iflag_f32_e32 v2, v2
	v_cmp_neq_f64_e64 s[60:61], s[26:27], 0
	v_mul_f32_e32 v1, 0x4f7ffffe, v1
	v_cvt_u32_f32_e32 v1, v1
	v_mul_f32_e32 v2, 0x4f7ffffe, v2
	v_cvt_u32_f32_e32 v2, v2
	s_or_b64 s[60:61], s[0:1], s[60:61]
	s_sub_i32 s64, 0, s66
	s_mul_i32 s0, s44, s63
	s_mul_hi_u32 s1, s44, s62
	s_add_i32 s0, s1, s0
	s_mul_i32 s1, s45, s62
	v_mul_lo_u32 v3, s64, v1
	s_sub_i32 s65, 0, s68
	s_add_i32 s1, s0, s1
	s_mul_i32 s0, s44, s62
	v_mul_hi_u32 v3, v1, v3
	s_waitcnt lgkmcnt(0)
	s_and_b32 s15, s15, 0xffff
	s_ashr_i32 s33, s6, 31
	s_ashr_i32 s67, s7, 31
	s_lshl_b64 s[52:53], s[52:53], 1
	s_lshl_b64 s[0:1], s[0:1], 1
	;; [unrolled: 1-line block ×6, first 2 shown]
	v_add_u32_e32 v5, v1, v3
	v_mul_lo_u32 v1, s65, v2
	s_add_u32 s20, s20, s0
	v_mul_hi_u32 v1, v2, v1
	s_addc_u32 s21, s21, s1
	s_lshl_b64 s[38:39], s[38:39], 1
	s_lshl_b64 s[42:43], s[42:43], 1
	;; [unrolled: 1-line block ×4, first 2 shown]
	s_mov_b64 s[54:55], 0
	v_add_u32_e32 v20, v2, v1
	s_mov_b32 s69, 0x7f800000
	v_mov_b32_e32 v21, 0
	s_branch .LBB21_3
.LBB21_2:                               ;   in Loop: Header=BB21_3 Depth=1
	v_add_u32_e32 v0, s15, v0
	v_cmp_le_i32_e32 vcc, s19, v0
	s_or_b64 s[54:55], vcc, s[54:55]
	s_andn2_b64 exec, exec, s[54:55]
	s_cbranch_execz .LBB21_20
.LBB21_3:                               ; =>This Loop Header: Depth=1
                                        ;     Child Loop BB21_8 Depth 2
                                        ;       Child Loop BB21_11 Depth 3
                                        ;         Child Loop BB21_14 Depth 4
	v_sub_u32_e32 v2, 0, v0
	v_max_i32_e32 v2, v0, v2
	v_mul_hi_u32 v3, v2, v5
	v_mul_lo_u32 v4, v3, s66
	v_sub_u32_e32 v2, v2, v4
	v_add_u32_e32 v4, 1, v3
	v_cmp_le_u32_e32 vcc, s66, v2
	v_ashrrev_i32_e32 v1, 31, v0
	v_xor_b32_e32 v1, s33, v1
	v_cndmask_b32_e32 v3, v3, v4, vcc
	v_subrev_u32_e32 v4, s66, v2
	v_cndmask_b32_e32 v2, v2, v4, vcc
	v_add_u32_e32 v4, 1, v3
	v_cmp_le_u32_e32 vcc, s66, v2
	s_nop 1
	v_cndmask_b32_e32 v2, v3, v4, vcc
	v_xor_b32_e32 v2, v2, v1
	v_sub_u32_e32 v22, v2, v1
	v_mul_lo_u32 v1, v22, s6
	v_sub_u32_e32 v8, v0, v1
	v_sub_u32_e32 v2, 0, v8
	v_max_i32_e32 v2, v8, v2
	v_mul_hi_u32 v3, v2, v20
	v_mul_lo_u32 v4, v3, s68
	v_sub_u32_e32 v2, v2, v4
	v_add_u32_e32 v4, 1, v3
	v_cmp_le_u32_e32 vcc, s68, v2
	v_ashrrev_i32_e32 v9, 31, v8
	v_xor_b32_e32 v1, s67, v9
	v_cndmask_b32_e32 v3, v3, v4, vcc
	v_subrev_u32_e32 v4, s68, v2
	v_cndmask_b32_e32 v2, v2, v4, vcc
	v_add_u32_e32 v4, 1, v3
	v_cmp_le_u32_e32 vcc, s68, v2
	s_nop 1
	v_cndmask_b32_e32 v2, v3, v4, vcc
	v_xor_b32_e32 v2, v2, v1
	v_sub_u32_e32 v2, v2, v1
	v_mul_lo_u32 v10, v2, s7
	v_sub_u32_e32 v4, v8, v10
	s_andn2_b64 vcc, exec, s[10:11]
	v_ashrrev_i32_e32 v1, 31, v2
	v_ashrrev_i32_e32 v3, 31, v4
	s_cbranch_vccnz .LBB21_5
; %bb.4:                                ;   in Loop: Header=BB21_3 Depth=1
	s_mov_b64 s[0:1], 0
	v_mov_b64_e32 v[6:7], s[0:1]
	s_cbranch_execz .LBB21_6
	s_branch .LBB21_16
.LBB21_5:                               ;   in Loop: Header=BB21_3 Depth=1
                                        ; implicit-def: $sgpr0_sgpr1
	v_mov_b64_e32 v[6:7], s[0:1]
.LBB21_6:                               ;   in Loop: Header=BB21_3 Depth=1
	v_mul_lo_u32 v6, v22, s12
	v_subrev_u32_e32 v23, s16, v6
	v_ashrrev_i32_e32 v6, 31, v10
	v_sub_co_u32_e32 v8, vcc, v8, v10
	v_mul_lo_u32 v10, s45, v2
	s_nop 0
	v_subb_co_u32_e32 v9, vcc, v9, v6, vcc
	v_mul_lo_u32 v11, s44, v1
	v_mad_u64_u32 v[6:7], s[0:1], s44, v2, 0
	v_add3_u32 v7, v7, v11, v10
	v_mad_u64_u32 v[6:7], s[0:1], s52, v8, v[6:7]
	v_mul_lo_u32 v9, s52, v9
	v_mul_lo_u32 v8, s53, v8
	v_add3_u32 v7, v8, v7, v9
	v_lshl_add_u64 v[8:9], s[22:23], 0, v[6:7]
	v_mov_b64_e32 v[6:7], s[20:21]
	v_mad_u64_u32 v[10:11], s[0:1], s38, v2, v[6:7]
	v_mul_lo_u32 v6, s39, v2
	v_mul_lo_u32 v7, s38, v1
	v_add3_u32 v11, v6, v11, v7
	s_mov_b32 s70, 0
	v_mov_b64_e32 v[6:7], 0
	s_mov_b32 s71, s9
	s_branch .LBB21_8
.LBB21_7:                               ;   in Loop: Header=BB21_8 Depth=2
	s_add_i32 s70, s70, 1
	s_add_i32 s71, s71, s13
	s_cmp_eq_u32 s70, s17
	v_lshl_add_u64 v[8:9], v[8:9], 0, s[50:51]
	s_cbranch_scc1 .LBB21_16
.LBB21_8:                               ;   Parent Loop BB21_3 Depth=1
                                        ; =>  This Loop Header: Depth=2
                                        ;       Child Loop BB21_11 Depth 3
                                        ;         Child Loop BB21_14 Depth 4
	s_andn2_b64 vcc, exec, s[30:31]
	s_cbranch_vccnz .LBB21_7
; %bb.9:                                ;   in Loop: Header=BB21_8 Depth=2
	s_mul_i32 s0, s70, s13
	s_add_i32 s62, s0, s9
	s_cmp_lt_i32 s62, 0
	s_cselect_b64 s[0:1], -1, 0
	s_cmp_ge_i32 s62, s4
	s_cselect_b64 s[62:63], -1, 0
	v_mov_b32_e32 v12, s71
	s_or_b64 s[62:63], s[0:1], s[62:63]
	v_mad_u64_u32 v[12:13], s[0:1], s42, v12, v[10:11]
	s_mul_i32 s0, s43, s71
	s_mov_b32 s72, 0
	v_add_u32_e32 v13, s0, v13
	v_mov_b32_e32 v24, v23
	v_mov_b64_e32 v[14:15], v[8:9]
	s_branch .LBB21_11
.LBB21_10:                              ;   in Loop: Header=BB21_11 Depth=3
	s_add_i32 s72, s72, 1
	v_lshl_add_u64 v[14:15], v[14:15], 0, s[48:49]
	s_cmp_eq_u32 s72, s18
	v_add_u32_e32 v24, s14, v24
	s_cbranch_scc1 .LBB21_7
.LBB21_11:                              ;   Parent Loop BB21_3 Depth=1
                                        ;     Parent Loop BB21_8 Depth=2
                                        ; =>    This Loop Header: Depth=3
                                        ;         Child Loop BB21_14 Depth 4
	s_andn2_b64 vcc, exec, s[34:35]
	s_cbranch_vccnz .LBB21_10
; %bb.12:                               ;   in Loop: Header=BB21_11 Depth=3
	v_mad_u64_u32 v[16:17], s[0:1], s40, v24, v[12:13]
	v_mov_b32_e32 v18, v17
	v_mad_u64_u32 v[18:19], s[0:1], s41, v24, v[18:19]
	s_mul_i32 s0, s72, s14
	v_mov_b32_e32 v17, v18
	v_add_u32_e32 v18, s0, v23
	v_cmp_gt_i32_e32 vcc, 0, v18
	v_cmp_le_i32_e64 s[0:1], s5, v18
	s_or_b64 s[0:1], vcc, s[0:1]
	s_or_b64 s[0:1], s[62:63], s[0:1]
	s_xor_b64 s[0:1], s[0:1], -1
	v_mov_b64_e32 v[18:19], v[14:15]
	s_mov_b32 s73, s8
	s_branch .LBB21_14
.LBB21_13:                              ;   in Loop: Header=BB21_14 Depth=4
	s_or_b64 exec, exec, s[64:65]
	s_add_i32 s73, s73, -1
	v_lshl_add_u64 v[18:19], v[18:19], 0, s[46:47]
	s_cmp_eq_u32 s73, 0
	v_lshl_add_u64 v[16:17], v[16:17], 0, s[36:37]
	s_cbranch_scc1 .LBB21_10
.LBB21_14:                              ;   Parent Loop BB21_3 Depth=1
                                        ;     Parent Loop BB21_8 Depth=2
                                        ;       Parent Loop BB21_11 Depth=3
                                        ; =>      This Inner Loop Header: Depth=4
	s_and_saveexec_b64 s[64:65], s[0:1]
	s_cbranch_execz .LBB21_13
; %bb.15:                               ;   in Loop: Header=BB21_14 Depth=4
	global_load_ushort v25, v[16:17], off
	global_load_ushort v26, v[18:19], off
	s_waitcnt vmcnt(1)
	v_lshlrev_b32_e32 v25, 16, v25
	s_waitcnt vmcnt(0)
	v_lshlrev_b32_e32 v28, 16, v26
	v_cvt_f64_f32_e32 v[26:27], v25
	v_cvt_f64_f32_e32 v[28:29], v28
	v_fmac_f64_e32 v[6:7], v[26:27], v[28:29]
	s_branch .LBB21_13
.LBB21_16:                              ;   in Loop: Header=BB21_3 Depth=1
	v_ashrrev_i32_e32 v8, 31, v22
	v_mul_lo_u32 v10, s29, v22
	v_mul_lo_u32 v11, s28, v8
	v_mad_u64_u32 v[8:9], s[0:1], s28, v22, 0
	v_add3_u32 v9, v9, v11, v10
	v_mad_u64_u32 v[8:9], s[0:1], v4, s56, v[8:9]
	v_mul_lo_u32 v4, v4, s57
	v_mul_lo_u32 v3, v3, s56
	v_add3_u32 v9, v3, v9, v4
	v_mad_u64_u32 v[8:9], s[0:1], v2, s58, v[8:9]
	v_mul_lo_u32 v2, v2, s59
	v_mul_lo_u32 v1, v1, s58
	v_add3_u32 v9, v1, v9, v2
	s_mov_b64 s[0:1], -1
	s_and_b64 vcc, exec, s[60:61]
	v_lshl_add_u64 v[2:3], v[8:9], 1, s[2:3]
	s_cbranch_vccz .LBB21_18
; %bb.17:                               ;   in Loop: Header=BB21_3 Depth=1
	global_load_ushort v1, v[2:3], off
	s_waitcnt vmcnt(0)
	v_lshlrev_b32_e32 v1, 16, v1
	v_cvt_f64_f32_e32 v[8:9], v1
	v_mul_f64 v[8:9], v[8:9], s[26:27]
	v_fmac_f64_e32 v[8:9], s[24:25], v[6:7]
	v_cvt_f32_f64_e32 v1, v[8:9]
	v_and_b32_e32 v4, 0x7f800000, v1
	v_cmp_ne_u32_sdwa s[0:1], v1, v21 src0_sel:WORD_0 src1_sel:DWORD
	v_cmp_eq_u32_e32 vcc, s69, v4
	s_and_b64 s[0:1], vcc, s[0:1]
	v_cndmask_b32_e64 v4, 0, 1, s[0:1]
	v_or_b32_sdwa v1, v1, v4 dst_sel:DWORD dst_unused:UNUSED_PAD src0_sel:WORD_1 src1_sel:DWORD
	global_store_short v[2:3], v1, off
	s_mov_b64 s[0:1], 0
.LBB21_18:                              ;   in Loop: Header=BB21_3 Depth=1
	s_andn2_b64 vcc, exec, s[0:1]
	s_cbranch_vccnz .LBB21_2
; %bb.19:                               ;   in Loop: Header=BB21_3 Depth=1
	v_cvt_f32_f64_e32 v1, v[6:7]
	v_and_b32_e32 v4, 0x7f800000, v1
	v_cmp_eq_u32_e32 vcc, s69, v4
	v_cmp_ne_u32_sdwa s[0:1], v1, v21 src0_sel:WORD_0 src1_sel:DWORD
	s_and_b64 s[0:1], vcc, s[0:1]
	s_nop 0
	v_cndmask_b32_e64 v4, 0, 1, s[0:1]
	v_or_b32_sdwa v1, v1, v4 dst_sel:DWORD dst_unused:UNUSED_PAD src0_sel:WORD_1 src1_sel:DWORD
	global_store_short v[2:3], v1, off
	s_branch .LBB21_2
.LBB21_20:
	s_endpgm
	.section	.rodata,"a",@progbits
	.p2align	6, 0x0
	.amdhsa_kernel naive_conv_ab_nonpacked_fwd_nhwc_ushort_double_ushort_0
		.amdhsa_group_segment_fixed_size 0
		.amdhsa_private_segment_fixed_size 0
		.amdhsa_kernarg_size 480
		.amdhsa_user_sgpr_count 2
		.amdhsa_user_sgpr_dispatch_ptr 0
		.amdhsa_user_sgpr_queue_ptr 0
		.amdhsa_user_sgpr_kernarg_segment_ptr 1
		.amdhsa_user_sgpr_dispatch_id 0
		.amdhsa_user_sgpr_kernarg_preload_length 0
		.amdhsa_user_sgpr_kernarg_preload_offset 0
		.amdhsa_user_sgpr_private_segment_size 0
		.amdhsa_uses_dynamic_stack 0
		.amdhsa_enable_private_segment 0
		.amdhsa_system_sgpr_workgroup_id_x 1
		.amdhsa_system_sgpr_workgroup_id_y 0
		.amdhsa_system_sgpr_workgroup_id_z 0
		.amdhsa_system_sgpr_workgroup_info 0
		.amdhsa_system_vgpr_workitem_id 0
		.amdhsa_next_free_vgpr 30
		.amdhsa_next_free_sgpr 74
		.amdhsa_accum_offset 32
		.amdhsa_reserve_vcc 1
		.amdhsa_float_round_mode_32 0
		.amdhsa_float_round_mode_16_64 0
		.amdhsa_float_denorm_mode_32 3
		.amdhsa_float_denorm_mode_16_64 3
		.amdhsa_dx10_clamp 1
		.amdhsa_ieee_mode 1
		.amdhsa_fp16_overflow 0
		.amdhsa_tg_split 0
		.amdhsa_exception_fp_ieee_invalid_op 0
		.amdhsa_exception_fp_denorm_src 0
		.amdhsa_exception_fp_ieee_div_zero 0
		.amdhsa_exception_fp_ieee_overflow 0
		.amdhsa_exception_fp_ieee_underflow 0
		.amdhsa_exception_fp_ieee_inexact 0
		.amdhsa_exception_int_div_zero 0
	.end_amdhsa_kernel
	.text
.Lfunc_end21:
	.size	naive_conv_ab_nonpacked_fwd_nhwc_ushort_double_ushort_0, .Lfunc_end21-naive_conv_ab_nonpacked_fwd_nhwc_ushort_double_ushort_0
                                        ; -- End function
	.section	.AMDGPU.csdata,"",@progbits
; Kernel info:
; codeLenInByte = 1616
; NumSgprs: 80
; NumVgprs: 30
; NumAgprs: 0
; TotalNumVgprs: 30
; ScratchSize: 0
; MemoryBound: 0
; FloatMode: 240
; IeeeMode: 1
; LDSByteSize: 0 bytes/workgroup (compile time only)
; SGPRBlocks: 9
; VGPRBlocks: 3
; NumSGPRsForWavesPerEU: 80
; NumVGPRsForWavesPerEU: 30
; AccumOffset: 32
; Occupancy: 8
; WaveLimiterHint : 0
; COMPUTE_PGM_RSRC2:SCRATCH_EN: 0
; COMPUTE_PGM_RSRC2:USER_SGPR: 2
; COMPUTE_PGM_RSRC2:TRAP_HANDLER: 0
; COMPUTE_PGM_RSRC2:TGID_X_EN: 1
; COMPUTE_PGM_RSRC2:TGID_Y_EN: 0
; COMPUTE_PGM_RSRC2:TGID_Z_EN: 0
; COMPUTE_PGM_RSRC2:TIDIG_COMP_CNT: 0
; COMPUTE_PGM_RSRC3_GFX90A:ACCUM_OFFSET: 7
; COMPUTE_PGM_RSRC3_GFX90A:TG_SPLIT: 0
	.text
	.protected	naive_conv_ab_packed_fwd_nhwc_int8_t_int32_t_int8_t_0 ; -- Begin function naive_conv_ab_packed_fwd_nhwc_int8_t_int32_t_int8_t_0
	.globl	naive_conv_ab_packed_fwd_nhwc_int8_t_int32_t_int8_t_0
	.p2align	8
	.type	naive_conv_ab_packed_fwd_nhwc_int8_t_int32_t_int8_t_0,@function
naive_conv_ab_packed_fwd_nhwc_int8_t_int32_t_int8_t_0: ; @naive_conv_ab_packed_fwd_nhwc_int8_t_int32_t_int8_t_0
; %bb.0:
	s_load_dwordx16 s[4:19], s[0:1], 0xa0
	s_abs_i32 s20, s2
	s_waitcnt lgkmcnt(0)
	s_abs_i32 s3, s9
	v_cvt_f32_u32_e32 v1, s3
	s_sub_i32 s21, 0, s3
	v_rcp_iflag_f32_e32 v1, v1
	s_nop 0
	v_mul_f32_e32 v1, 0x4f7ffffe, v1
	v_cvt_u32_f32_e32 v1, v1
	s_nop 0
	v_readfirstlane_b32 s22, v1
	s_mul_i32 s21, s21, s22
	s_mul_hi_u32 s21, s22, s21
	s_add_i32 s22, s22, s21
	s_mul_hi_u32 s21, s20, s22
	s_mul_i32 s22, s21, s3
	s_sub_i32 s20, s20, s22
	s_add_i32 s23, s21, 1
	s_sub_i32 s22, s20, s3
	s_cmp_ge_u32 s20, s3
	s_cselect_b32 s21, s23, s21
	s_cselect_b32 s20, s22, s20
	s_add_i32 s22, s21, 1
	s_cmp_ge_u32 s20, s3
	s_cselect_b32 s28, s22, s21
	s_abs_i32 s3, s6
	v_cvt_f32_u32_e32 v1, s3
	s_mul_i32 s6, s19, s7
	s_mul_i32 s33, s6, s10
	v_cmp_gt_i32_e32 vcc, s33, v0
	v_rcp_iflag_f32_e32 v1, v1
	s_nop 0
	v_mul_f32_e32 v1, 0x4f7ffffe, v1
	v_cvt_u32_f32_e32 v1, v1
	s_nop 0
	v_readfirstlane_b32 s29, v1
	s_and_saveexec_b64 s[20:21], vcc
	s_cbranch_execz .LBB22_18
; %bb.1:
	s_xor_b32 s30, s2, s9
	s_ashr_i32 s30, s30, 31
	s_sub_i32 s34, 0, s3
	s_xor_b32 s28, s28, s30
	s_mul_i32 s34, s34, s29
	s_sub_i32 s28, s28, s30
	s_mul_hi_u32 s34, s29, s34
	s_abs_i32 s31, s28
	s_add_i32 s29, s29, s34
	s_mul_hi_u32 s29, s31, s29
	s_ashr_i32 s30, s28, 31
	s_mul_i32 s28, s28, s9
	s_mul_i32 s29, s29, s3
	s_sub_i32 s28, s2, s28
	s_sub_i32 s2, s31, s29
	;; [unrolled: 1-line block ×3, first 2 shown]
	s_cmp_ge_u32 s2, s3
	s_cselect_b32 s2, s29, s2
	s_sub_i32 s29, s2, s3
	s_cmp_ge_u32 s2, s3
	s_cselect_b32 s2, s29, s2
	s_xor_b32 s2, s2, s30
	s_mul_i32 s19, s19, s8
	s_sub_i32 s38, s2, s30
	s_ashr_i32 s42, s5, 31
	s_ashr_i32 s43, s19, 31
	s_mul_hi_i32 s2, s38, s9
	s_mul_i32 s3, s38, s9
	s_ashr_i32 s44, s6, 31
	s_ashr_i32 s9, s28, 31
	s_add_u32 s29, s3, s28
	s_addc_u32 s2, s2, s9
	s_mul_i32 s2, s33, s2
	s_mul_hi_u32 s3, s33, s29
	s_mul_hi_i32 s9, s6, s10
	s_add_i32 s10, s3, s2
	s_load_dwordx2 s[2:3], s[0:1], 0x20
	s_load_dword s39, s[0:1], 0xec
	s_mul_i32 s9, s9, s29
	s_add_i32 s10, s10, s9
	s_mul_i32 s9, s33, s29
	s_waitcnt lgkmcnt(0)
	s_add_u32 s2, s2, s9
	s_addc_u32 s3, s3, s10
	s_cmp_lt_i32 s17, 1
	s_mul_i32 s28, s28, s11
	s_cselect_b64 s[10:11], -1, 0
	s_sub_i32 s15, s28, s15
	s_cmp_gt_i32 s18, 0
	s_cselect_b64 s[28:29], -1, 0
	s_cmp_gt_i32 s8, 0
	s_cselect_b64 s[30:31], -1, 0
	s_abs_i32 s47, s6
	v_cvt_f32_u32_e32 v2, s47
	s_abs_i32 s48, s7
	v_cvt_f32_u32_e32 v3, s48
	s_load_dwordx8 s[20:27], s[0:1], 0x0
	v_rcp_iflag_f32_e32 v2, v2
	s_ashr_i32 s40, s17, 31
	v_rcp_iflag_f32_e32 v3, v3
	s_ashr_i32 s9, s8, 31
	v_mul_f32_e32 v2, 0x4f7ffffe, v2
	v_cvt_u32_f32_e32 v2, v2
	v_mul_f32_e32 v3, 0x4f7ffffe, v3
	s_waitcnt lgkmcnt(0)
	v_cmp_neq_f64_e64 s[0:1], s[24:25], 1.0
	v_cmp_neq_f64_e64 s[36:37], s[26:27], 0
	v_cvt_u32_f32_e32 v3, v3
	s_or_b64 s[36:37], s[0:1], s[36:37]
	s_sub_i32 s0, 0, s47
	v_mul_lo_u32 v4, s0, v2
	v_cvt_i32_f64_e32 v1, s[24:25]
	v_mul_hi_u32 v4, v2, v4
	s_sub_i32 s0, 0, s48
	s_mul_i32 s24, s18, s8
	v_add_u32_e32 v21, v2, v4
	v_mul_lo_u32 v2, s0, v3
	s_mul_i32 s0, s24, s40
	s_mul_hi_u32 s1, s24, s17
	s_mul_hi_i32 s25, s18, s8
	v_mul_hi_u32 v2, v3, v2
	s_add_i32 s0, s1, s0
	s_mul_i32 s1, s25, s17
	s_ashr_i32 s45, s7, 31
	s_mov_b32 s46, s7
	s_mov_b64 s[34:35], 0
	v_cvt_i32_f64_e32 v20, s[26:27]
	s_and_b32 s49, s39, 0xffff
	v_add_u32_e32 v22, v3, v2
	s_mul_hi_i32 s50, s4, s38
	s_mul_i32 s51, s4, s38
	s_add_i32 s52, s0, s1
	s_mul_i32 s53, s24, s17
	v_mov_b32_e32 v3, 0
	s_branch .LBB22_3
.LBB22_2:                               ;   in Loop: Header=BB22_3 Depth=1
	v_add_u32_e32 v0, s49, v0
	v_cmp_le_i32_e32 vcc, s33, v0
	s_or_b64 s[34:35], vcc, s[34:35]
	global_store_byte v[4:5], v8, off
	s_andn2_b64 exec, exec, s[34:35]
	s_cbranch_execz .LBB22_18
.LBB22_3:                               ; =>This Loop Header: Depth=1
                                        ;     Child Loop BB22_8 Depth 2
                                        ;       Child Loop BB22_11 Depth 3
                                        ;         Child Loop BB22_14 Depth 4
	v_sub_u32_e32 v4, 0, v0
	v_max_i32_e32 v4, v0, v4
	v_mul_hi_u32 v5, v4, v21
	v_mul_lo_u32 v6, v5, s47
	v_sub_u32_e32 v4, v4, v6
	v_add_u32_e32 v6, 1, v5
	v_cmp_le_u32_e32 vcc, s47, v4
	v_ashrrev_i32_e32 v2, 31, v0
	v_xor_b32_e32 v2, s44, v2
	v_cndmask_b32_e32 v5, v5, v6, vcc
	v_subrev_u32_e32 v6, s47, v4
	v_cndmask_b32_e32 v4, v4, v6, vcc
	v_add_u32_e32 v6, 1, v5
	v_cmp_le_u32_e32 vcc, s47, v4
	s_nop 1
	v_cndmask_b32_e32 v4, v5, v6, vcc
	v_xor_b32_e32 v4, v4, v2
	v_sub_u32_e32 v9, v4, v2
	v_mul_lo_u32 v2, v9, s6
	v_sub_u32_e32 v12, v0, v2
	v_sub_u32_e32 v4, 0, v12
	v_max_i32_e32 v4, v12, v4
	v_mul_hi_u32 v5, v4, v22
	v_mul_lo_u32 v6, v5, s48
	v_sub_u32_e32 v4, v4, v6
	v_add_u32_e32 v6, 1, v5
	v_cmp_le_u32_e32 vcc, s48, v4
	v_ashrrev_i32_e32 v13, 31, v12
	v_xor_b32_e32 v2, s45, v13
	v_cndmask_b32_e32 v5, v5, v6, vcc
	v_subrev_u32_e32 v6, s48, v4
	v_cndmask_b32_e32 v4, v4, v6, vcc
	v_add_u32_e32 v6, 1, v5
	v_cmp_le_u32_e32 vcc, s48, v4
	s_nop 1
	v_cndmask_b32_e32 v4, v5, v6, vcc
	v_xor_b32_e32 v4, v4, v2
	v_sub_u32_e32 v14, v4, v2
	v_mul_lo_u32 v2, v14, s7
	v_sub_u32_e32 v4, v12, v2
	s_andn2_b64 vcc, exec, s[10:11]
	v_ashrrev_i32_e32 v5, 31, v4
	s_cbranch_vccnz .LBB22_5
; %bb.4:                                ;   in Loop: Header=BB22_3 Depth=1
	v_mad_i64_i32 v[6:7], s[0:1], v14, s46, 0
	s_mov_b32 s26, 0
	v_mov_b32_e32 v8, s26
	s_cbranch_execz .LBB22_6
	s_branch .LBB22_16
.LBB22_5:                               ;   in Loop: Header=BB22_3 Depth=1
                                        ; implicit-def: $sgpr26
                                        ; implicit-def: $vgpr6_vgpr7
	v_mov_b32_e32 v8, s26
.LBB22_6:                               ;   in Loop: Header=BB22_3 Depth=1
	v_mad_i64_i32 v[12:13], s[0:1], v14, s46, v[12:13]
	v_ashrrev_i32_e32 v8, 31, v2
	v_sub_co_u32_e32 v2, vcc, v12, v2
	v_mul_lo_u32 v6, v9, s12
	v_mov_b64_e32 v[10:11], s[20:21]
	v_subb_co_u32_e32 v8, vcc, v13, v8, vcc
	v_mov_b64_e32 v[12:13], s[22:23]
	v_subrev_u32_e32 v23, s16, v6
	v_mad_i64_i32 v[6:7], s[0:1], v14, s46, 0
	v_mad_i64_i32 v[10:11], s[0:1], v14, s8, v[10:11]
	v_mul_lo_u32 v8, s53, v8
	v_mul_lo_u32 v14, s52, v2
	v_mad_u64_u32 v[12:13], s[0:1], s53, v2, v[12:13]
	v_add3_u32 v13, v14, v13, v8
	s_mov_b32 s54, 0
	v_mov_b32_e32 v8, 0
	s_mov_b32 s55, s15
	s_branch .LBB22_8
.LBB22_7:                               ;   in Loop: Header=BB22_8 Depth=2
	s_add_i32 s54, s54, 1
	s_add_i32 s55, s55, s13
	s_cmp_eq_u32 s54, s17
	v_lshl_add_u64 v[12:13], v[12:13], 0, s[24:25]
	s_cbranch_scc1 .LBB22_16
.LBB22_8:                               ;   Parent Loop BB22_3 Depth=1
                                        ; =>  This Loop Header: Depth=2
                                        ;       Child Loop BB22_11 Depth 3
                                        ;         Child Loop BB22_14 Depth 4
	s_andn2_b64 vcc, exec, s[28:29]
	s_cbranch_vccnz .LBB22_7
; %bb.9:                                ;   in Loop: Header=BB22_8 Depth=2
	s_add_u32 s0, s51, s55
	s_addc_u32 s1, s50, 0
	s_mul_i32 s1, s5, s1
	s_mul_hi_u32 s26, s5, s0
	s_add_i32 s1, s26, s1
	s_mul_i32 s26, s42, s0
	s_add_i32 s27, s1, s26
	s_mul_i32 s26, s5, s0
	s_mul_i32 s0, s54, s13
	s_add_i32 s38, s0, s15
	s_cmp_lt_i32 s38, 0
	s_cselect_b64 s[0:1], -1, 0
	s_cmp_ge_i32 s38, s4
	s_cselect_b64 s[38:39], -1, 0
	s_mov_b32 s56, 0
	s_or_b64 s[38:39], s[0:1], s[38:39]
	v_mov_b64_e32 v[14:15], v[12:13]
	v_mov_b32_e32 v2, v23
	s_branch .LBB22_11
.LBB22_10:                              ;   in Loop: Header=BB22_11 Depth=3
	s_add_i32 s56, s56, 1
	v_add_u32_e32 v2, s14, v2
	s_cmp_eq_u32 s56, s18
	v_lshl_add_u64 v[14:15], v[14:15], 0, s[8:9]
	s_cbranch_scc1 .LBB22_7
.LBB22_11:                              ;   Parent Loop BB22_3 Depth=1
                                        ;     Parent Loop BB22_8 Depth=2
                                        ; =>    This Loop Header: Depth=3
                                        ;         Child Loop BB22_14 Depth 4
	s_andn2_b64 vcc, exec, s[30:31]
	s_cbranch_vccnz .LBB22_10
; %bb.12:                               ;   in Loop: Header=BB22_11 Depth=3
	v_lshl_add_u64 v[16:17], s[26:27], 0, v[2:3]
	v_mul_lo_u32 v18, s19, v17
	v_mul_lo_u32 v19, s43, v16
	v_mad_u64_u32 v[16:17], s[0:1], s19, v16, v[10:11]
	s_mul_i32 s0, s56, s14
	v_add3_u32 v17, v19, v17, v18
	v_add_u32_e32 v18, s0, v23
	v_cmp_gt_i32_e32 vcc, 0, v18
	v_cmp_le_i32_e64 s[0:1], s5, v18
	s_or_b64 s[0:1], vcc, s[0:1]
	s_or_b64 s[0:1], s[38:39], s[0:1]
	s_xor_b64 s[0:1], s[0:1], -1
	v_mov_b64_e32 v[18:19], v[14:15]
	s_mov_b32 s57, s8
	s_branch .LBB22_14
.LBB22_13:                              ;   in Loop: Header=BB22_14 Depth=4
	s_or_b64 exec, exec, s[40:41]
	s_add_i32 s57, s57, -1
	v_lshl_add_u64 v[16:17], v[16:17], 0, 1
	s_cmp_eq_u32 s57, 0
	v_lshl_add_u64 v[18:19], v[18:19], 0, 1
	s_cbranch_scc1 .LBB22_10
.LBB22_14:                              ;   Parent Loop BB22_3 Depth=1
                                        ;     Parent Loop BB22_8 Depth=2
                                        ;       Parent Loop BB22_11 Depth=3
                                        ; =>      This Inner Loop Header: Depth=4
	s_and_saveexec_b64 s[40:41], s[0:1]
	s_cbranch_execz .LBB22_13
; %bb.15:                               ;   in Loop: Header=BB22_14 Depth=4
	global_load_ubyte v24, v[16:17], off
	global_load_ubyte v25, v[18:19], off
	s_waitcnt vmcnt(0)
	v_mad_u32_u24 v8, v25, v24, v8
	s_branch .LBB22_13
.LBB22_16:                              ;   in Loop: Header=BB22_3 Depth=1
	v_lshl_add_u64 v[6:7], s[2:3], 0, v[6:7]
	v_mad_i64_i32 v[6:7], s[0:1], v9, s6, v[6:7]
	s_andn2_b64 vcc, exec, s[36:37]
	v_lshl_add_u64 v[4:5], v[6:7], 0, v[4:5]
	s_cbranch_vccnz .LBB22_2
; %bb.17:                               ;   in Loop: Header=BB22_3 Depth=1
	global_load_ubyte v6, v[4:5], off
	v_mul_lo_u32 v2, v8, v1
	s_waitcnt vmcnt(0)
	v_mad_u64_u32 v[8:9], s[0:1], v6, v20, v[2:3]
	s_branch .LBB22_2
.LBB22_18:
	s_endpgm
	.section	.rodata,"a",@progbits
	.p2align	6, 0x0
	.amdhsa_kernel naive_conv_ab_packed_fwd_nhwc_int8_t_int32_t_int8_t_0
		.amdhsa_group_segment_fixed_size 0
		.amdhsa_private_segment_fixed_size 0
		.amdhsa_kernarg_size 480
		.amdhsa_user_sgpr_count 2
		.amdhsa_user_sgpr_dispatch_ptr 0
		.amdhsa_user_sgpr_queue_ptr 0
		.amdhsa_user_sgpr_kernarg_segment_ptr 1
		.amdhsa_user_sgpr_dispatch_id 0
		.amdhsa_user_sgpr_kernarg_preload_length 0
		.amdhsa_user_sgpr_kernarg_preload_offset 0
		.amdhsa_user_sgpr_private_segment_size 0
		.amdhsa_uses_dynamic_stack 0
		.amdhsa_enable_private_segment 0
		.amdhsa_system_sgpr_workgroup_id_x 1
		.amdhsa_system_sgpr_workgroup_id_y 0
		.amdhsa_system_sgpr_workgroup_id_z 0
		.amdhsa_system_sgpr_workgroup_info 0
		.amdhsa_system_vgpr_workitem_id 0
		.amdhsa_next_free_vgpr 26
		.amdhsa_next_free_sgpr 58
		.amdhsa_accum_offset 28
		.amdhsa_reserve_vcc 1
		.amdhsa_float_round_mode_32 0
		.amdhsa_float_round_mode_16_64 0
		.amdhsa_float_denorm_mode_32 3
		.amdhsa_float_denorm_mode_16_64 3
		.amdhsa_dx10_clamp 1
		.amdhsa_ieee_mode 1
		.amdhsa_fp16_overflow 0
		.amdhsa_tg_split 0
		.amdhsa_exception_fp_ieee_invalid_op 0
		.amdhsa_exception_fp_denorm_src 0
		.amdhsa_exception_fp_ieee_div_zero 0
		.amdhsa_exception_fp_ieee_overflow 0
		.amdhsa_exception_fp_ieee_underflow 0
		.amdhsa_exception_fp_ieee_inexact 0
		.amdhsa_exception_int_div_zero 0
	.end_amdhsa_kernel
	.text
.Lfunc_end22:
	.size	naive_conv_ab_packed_fwd_nhwc_int8_t_int32_t_int8_t_0, .Lfunc_end22-naive_conv_ab_packed_fwd_nhwc_int8_t_int32_t_int8_t_0
                                        ; -- End function
	.section	.AMDGPU.csdata,"",@progbits
; Kernel info:
; codeLenInByte = 1316
; NumSgprs: 64
; NumVgprs: 26
; NumAgprs: 0
; TotalNumVgprs: 26
; ScratchSize: 0
; MemoryBound: 0
; FloatMode: 240
; IeeeMode: 1
; LDSByteSize: 0 bytes/workgroup (compile time only)
; SGPRBlocks: 7
; VGPRBlocks: 3
; NumSGPRsForWavesPerEU: 64
; NumVGPRsForWavesPerEU: 26
; AccumOffset: 28
; Occupancy: 8
; WaveLimiterHint : 0
; COMPUTE_PGM_RSRC2:SCRATCH_EN: 0
; COMPUTE_PGM_RSRC2:USER_SGPR: 2
; COMPUTE_PGM_RSRC2:TRAP_HANDLER: 0
; COMPUTE_PGM_RSRC2:TGID_X_EN: 1
; COMPUTE_PGM_RSRC2:TGID_Y_EN: 0
; COMPUTE_PGM_RSRC2:TGID_Z_EN: 0
; COMPUTE_PGM_RSRC2:TIDIG_COMP_CNT: 0
; COMPUTE_PGM_RSRC3_GFX90A:ACCUM_OFFSET: 6
; COMPUTE_PGM_RSRC3_GFX90A:TG_SPLIT: 0
	.text
	.protected	naive_conv_ab_nonpacked_fwd_nhwc_int8_t_int32_t_int8_t_0 ; -- Begin function naive_conv_ab_nonpacked_fwd_nhwc_int8_t_int32_t_int8_t_0
	.globl	naive_conv_ab_nonpacked_fwd_nhwc_int8_t_int32_t_int8_t_0
	.p2align	8
	.type	naive_conv_ab_nonpacked_fwd_nhwc_int8_t_int32_t_int8_t_0,@function
naive_conv_ab_nonpacked_fwd_nhwc_int8_t_int32_t_int8_t_0: ; @naive_conv_ab_nonpacked_fwd_nhwc_int8_t_int32_t_int8_t_0
; %bb.0:
	s_load_dwordx16 s[4:19], s[0:1], 0xa0
	s_abs_i32 s20, s2
	s_waitcnt lgkmcnt(0)
	s_abs_i32 s3, s9
	v_cvt_f32_u32_e32 v1, s3
	s_sub_i32 s21, 0, s3
	v_rcp_iflag_f32_e32 v1, v1
	s_nop 0
	v_mul_f32_e32 v1, 0x4f7ffffe, v1
	v_cvt_u32_f32_e32 v1, v1
	s_nop 0
	v_readfirstlane_b32 s22, v1
	s_mul_i32 s21, s21, s22
	s_mul_hi_u32 s21, s22, s21
	s_add_i32 s22, s22, s21
	s_mul_hi_u32 s21, s20, s22
	s_mul_i32 s22, s21, s3
	s_sub_i32 s20, s20, s22
	s_add_i32 s23, s21, 1
	s_sub_i32 s22, s20, s3
	s_cmp_ge_u32 s20, s3
	s_cselect_b32 s21, s23, s21
	s_cselect_b32 s20, s22, s20
	s_add_i32 s22, s21, 1
	s_cmp_ge_u32 s20, s3
	s_cselect_b32 s28, s22, s21
	s_abs_i32 s3, s6
	v_cvt_f32_u32_e32 v1, s3
	s_mul_i32 s6, s19, s7
	s_mul_i32 s19, s6, s10
	v_cmp_gt_i32_e32 vcc, s19, v0
	v_rcp_iflag_f32_e32 v1, v1
	s_nop 0
	v_mul_f32_e32 v1, 0x4f7ffffe, v1
	v_cvt_u32_f32_e32 v1, v1
	s_nop 0
	v_readfirstlane_b32 s10, v1
	s_and_saveexec_b64 s[20:21], vcc
	s_cbranch_execz .LBB23_18
; %bb.1:
	s_xor_b32 s29, s2, s9
	s_ashr_i32 s29, s29, 31
	s_xor_b32 s28, s28, s29
	s_sub_i32 s33, s28, s29
	s_sub_i32 s28, 0, s3
	s_mul_i32 s28, s28, s10
	s_mul_hi_u32 s28, s10, s28
	s_abs_i32 s63, s33
	s_add_i32 s10, s10, s28
	s_mul_hi_u32 s10, s63, s10
	s_ashr_i32 s62, s33, 31
	s_mul_i32 s33, s33, s9
	s_mul_i32 s10, s10, s3
	s_sub_i32 s9, s2, s33
	s_sub_i32 s2, s63, s10
	;; [unrolled: 1-line block ×3, first 2 shown]
	s_cmp_ge_u32 s2, s3
	s_cselect_b32 s2, s10, s2
	s_sub_i32 s10, s2, s3
	s_cmp_ge_u32 s2, s3
	s_cselect_b32 s2, s10, s2
	s_xor_b32 s2, s2, s62
	s_load_dwordx8 s[20:27], s[0:1], 0x0
	s_load_dwordx2 s[34:35], s[0:1], 0x20
	s_load_dwordx16 s[36:51], s[0:1], 0x28
	s_load_dwordx2 s[60:61], s[0:1], 0x98
	s_load_dwordx4 s[28:31], s[0:1], 0x88
	s_load_dwordx8 s[52:59], s[0:1], 0x68
	s_sub_i32 s2, s2, s62
	s_ashr_i32 s3, s2, 31
	s_waitcnt lgkmcnt(0)
	s_mul_i32 s10, s44, s3
	s_mul_hi_u32 s33, s44, s2
	s_add_i32 s10, s33, s10
	s_mul_i32 s33, s45, s2
	s_add_i32 s65, s10, s33
	s_mul_i32 s3, s60, s3
	s_mul_hi_u32 s10, s60, s2
	s_add_i32 s3, s10, s3
	s_mul_i32 s10, s61, s2
	s_add_i32 s3, s3, s10
	s_ashr_i32 s10, s9, 31
	s_mul_i32 s10, s30, s10
	s_mul_hi_u32 s33, s30, s9
	s_add_i32 s10, s33, s10
	s_mul_i32 s31, s31, s9
	s_mul_i32 s66, s44, s2
	;; [unrolled: 1-line block ×3, first 2 shown]
	s_add_i32 s10, s10, s31
	s_add_u32 s2, s34, s2
	s_mul_i32 s30, s30, s9
	s_addc_u32 s3, s35, s3
	s_add_u32 s2, s2, s30
	s_addc_u32 s3, s3, s10
	s_cmp_lt_i32 s17, 1
	s_mul_i32 s9, s9, s11
	s_cselect_b64 s[10:11], -1, 0
	s_sub_i32 s9, s9, s15
	s_cmp_gt_i32 s18, 0
	s_cselect_b64 s[30:31], -1, 0
	s_cmp_gt_i32 s8, 0
	s_cselect_b64 s[34:35], -1, 0
	s_abs_i32 s15, s6
	v_cmp_neq_f64_e64 s[60:61], s[24:25], 1.0
	v_cmp_neq_f64_e64 s[62:63], s[26:27], 0
	v_cvt_f32_u32_e32 v1, s15
	s_or_b64 s[60:61], s[60:61], s[62:63]
	s_abs_i32 s62, s7
	v_cvt_f32_u32_e32 v2, s62
	v_rcp_iflag_f32_e32 v1, v1
	s_load_dword s0, s[0:1], 0xec
	s_ashr_i32 s63, s6, 31
	v_rcp_iflag_f32_e32 v2, v2
	v_mul_f32_e32 v1, 0x4f7ffffe, v1
	v_cvt_u32_f32_e32 v1, v1
	s_waitcnt lgkmcnt(0)
	s_and_b32 s33, s0, 0xffff
	v_mul_f32_e32 v2, 0x4f7ffffe, v2
	v_cvt_u32_f32_e32 v2, v2
	s_sub_i32 s0, 0, s15
	v_mul_lo_u32 v3, s0, v1
	v_mul_hi_u32 v3, v1, v3
	s_sub_i32 s0, 0, s62
	v_add_u32_e32 v22, v1, v3
	s_ashr_i32 s64, s7, 31
	v_mul_lo_u32 v1, s0, v2
	v_mul_hi_u32 v1, v2, v1
	s_add_u32 s20, s20, s66
	s_mov_b64 s[44:45], 0
	v_cvt_i32_f64_e32 v20, s[24:25]
	v_cvt_i32_f64_e32 v21, s[26:27]
	v_add_u32_e32 v23, v2, v1
	s_addc_u32 s21, s21, s65
	s_branch .LBB23_3
.LBB23_2:                               ;   in Loop: Header=BB23_3 Depth=1
	v_add_u32_e32 v0, s33, v0
	v_cmp_le_i32_e32 vcc, s19, v0
	s_or_b64 s[44:45], vcc, s[44:45]
	global_store_byte v[4:5], v6, off
	s_andn2_b64 exec, exec, s[44:45]
	s_cbranch_execz .LBB23_18
.LBB23_3:                               ; =>This Loop Header: Depth=1
                                        ;     Child Loop BB23_8 Depth 2
                                        ;       Child Loop BB23_11 Depth 3
                                        ;         Child Loop BB23_14 Depth 4
	v_sub_u32_e32 v2, 0, v0
	v_max_i32_e32 v2, v0, v2
	v_mul_hi_u32 v3, v2, v22
	v_mul_lo_u32 v4, v3, s15
	v_sub_u32_e32 v2, v2, v4
	v_add_u32_e32 v4, 1, v3
	v_cmp_le_u32_e32 vcc, s15, v2
	v_ashrrev_i32_e32 v1, 31, v0
	v_xor_b32_e32 v1, s63, v1
	v_cndmask_b32_e32 v3, v3, v4, vcc
	v_subrev_u32_e32 v4, s15, v2
	v_cndmask_b32_e32 v2, v2, v4, vcc
	v_add_u32_e32 v4, 1, v3
	v_cmp_le_u32_e32 vcc, s15, v2
	s_nop 1
	v_cndmask_b32_e32 v2, v3, v4, vcc
	v_xor_b32_e32 v2, v2, v1
	v_sub_u32_e32 v5, v2, v1
	v_mul_lo_u32 v1, v5, s6
	v_sub_u32_e32 v8, v0, v1
	v_sub_u32_e32 v2, 0, v8
	v_max_i32_e32 v2, v8, v2
	v_mul_hi_u32 v3, v2, v23
	v_mul_lo_u32 v4, v3, s62
	v_sub_u32_e32 v2, v2, v4
	v_add_u32_e32 v4, 1, v3
	v_cmp_le_u32_e32 vcc, s62, v2
	v_ashrrev_i32_e32 v9, 31, v8
	v_xor_b32_e32 v1, s64, v9
	v_cndmask_b32_e32 v3, v3, v4, vcc
	v_subrev_u32_e32 v4, s62, v2
	v_cndmask_b32_e32 v2, v2, v4, vcc
	v_add_u32_e32 v4, 1, v3
	v_cmp_le_u32_e32 vcc, s62, v2
	s_nop 1
	v_cndmask_b32_e32 v2, v3, v4, vcc
	v_xor_b32_e32 v2, v2, v1
	v_sub_u32_e32 v4, v2, v1
	v_mul_lo_u32 v10, v4, s7
	v_sub_u32_e32 v2, v8, v10
	s_andn2_b64 vcc, exec, s[10:11]
	v_ashrrev_i32_e32 v3, 31, v4
	v_ashrrev_i32_e32 v1, 31, v2
	s_cbranch_vccnz .LBB23_5
; %bb.4:                                ;   in Loop: Header=BB23_3 Depth=1
	s_mov_b32 s24, 0
	v_mov_b32_e32 v6, s24
	s_cbranch_execz .LBB23_6
	s_branch .LBB23_16
.LBB23_5:                               ;   in Loop: Header=BB23_3 Depth=1
                                        ; implicit-def: $sgpr24
	v_mov_b32_e32 v6, s24
.LBB23_6:                               ;   in Loop: Header=BB23_3 Depth=1
	v_mul_lo_u32 v6, v5, s12
	v_subrev_u32_e32 v7, s16, v6
	v_mul_lo_u32 v6, s55, v4
	v_mul_lo_u32 v11, s54, v3
	v_mad_u64_u32 v[12:13], s[0:1], s54, v4, 0
	v_add3_u32 v13, v13, v11, v6
	v_ashrrev_i32_e32 v6, 31, v10
	v_sub_co_u32_e32 v10, vcc, v8, v10
	s_mov_b32 s65, 0
	s_nop 0
	v_subb_co_u32_e32 v6, vcc, v9, v6, vcc
	v_mad_u64_u32 v[8:9], s[0:1], s52, v10, v[12:13]
	v_mul_lo_u32 v6, s52, v6
	v_mul_lo_u32 v10, s53, v10
	v_add3_u32 v9, v10, v9, v6
	v_mov_b64_e32 v[10:11], s[20:21]
	v_mad_u64_u32 v[10:11], s[0:1], s38, v4, v[10:11]
	v_mul_lo_u32 v6, s39, v4
	v_mul_lo_u32 v12, s38, v3
	v_lshl_add_u64 v[8:9], s[22:23], 0, v[8:9]
	v_add3_u32 v11, v6, v11, v12
	v_mov_b32_e32 v6, 0
	s_mov_b32 s66, s9
	s_branch .LBB23_8
.LBB23_7:                               ;   in Loop: Header=BB23_8 Depth=2
	s_add_i32 s65, s65, 1
	s_add_i32 s66, s66, s13
	s_cmp_eq_u32 s65, s17
	v_lshl_add_u64 v[8:9], v[8:9], 0, s[50:51]
	s_cbranch_scc1 .LBB23_16
.LBB23_8:                               ;   Parent Loop BB23_3 Depth=1
                                        ; =>  This Loop Header: Depth=2
                                        ;       Child Loop BB23_11 Depth 3
                                        ;         Child Loop BB23_14 Depth 4
	s_andn2_b64 vcc, exec, s[30:31]
	s_cbranch_vccnz .LBB23_7
; %bb.9:                                ;   in Loop: Header=BB23_8 Depth=2
	s_mul_i32 s0, s65, s13
	s_add_i32 s24, s0, s9
	s_cmp_lt_i32 s24, 0
	s_cselect_b64 s[0:1], -1, 0
	s_cmp_ge_i32 s24, s4
	s_cselect_b64 s[24:25], -1, 0
	v_mov_b32_e32 v12, s66
	s_or_b64 s[24:25], s[0:1], s[24:25]
	v_mad_u64_u32 v[12:13], s[0:1], s42, v12, v[10:11]
	s_mul_i32 s0, s43, s66
	s_mov_b32 s67, 0
	v_add_u32_e32 v13, s0, v13
	v_mov_b32_e32 v24, v7
	v_mov_b64_e32 v[14:15], v[8:9]
	s_branch .LBB23_11
.LBB23_10:                              ;   in Loop: Header=BB23_11 Depth=3
	s_add_i32 s67, s67, 1
	v_lshl_add_u64 v[14:15], v[14:15], 0, s[48:49]
	s_cmp_eq_u32 s67, s18
	v_add_u32_e32 v24, s14, v24
	s_cbranch_scc1 .LBB23_7
.LBB23_11:                              ;   Parent Loop BB23_3 Depth=1
                                        ;     Parent Loop BB23_8 Depth=2
                                        ; =>    This Loop Header: Depth=3
                                        ;         Child Loop BB23_14 Depth 4
	s_andn2_b64 vcc, exec, s[34:35]
	s_cbranch_vccnz .LBB23_10
; %bb.12:                               ;   in Loop: Header=BB23_11 Depth=3
	v_mad_u64_u32 v[16:17], s[0:1], s40, v24, v[12:13]
	v_mov_b32_e32 v18, v17
	v_mad_u64_u32 v[18:19], s[0:1], s41, v24, v[18:19]
	s_mul_i32 s0, s67, s14
	v_mov_b32_e32 v17, v18
	v_add_u32_e32 v18, s0, v7
	v_cmp_gt_i32_e32 vcc, 0, v18
	v_cmp_le_i32_e64 s[0:1], s5, v18
	s_or_b64 s[0:1], vcc, s[0:1]
	s_or_b64 s[0:1], s[24:25], s[0:1]
	s_xor_b64 s[0:1], s[0:1], -1
	v_mov_b64_e32 v[18:19], v[14:15]
	s_mov_b32 s68, s8
	s_branch .LBB23_14
.LBB23_13:                              ;   in Loop: Header=BB23_14 Depth=4
	s_or_b64 exec, exec, s[26:27]
	s_add_i32 s68, s68, -1
	v_lshl_add_u64 v[18:19], v[18:19], 0, s[46:47]
	s_cmp_eq_u32 s68, 0
	v_lshl_add_u64 v[16:17], v[16:17], 0, s[36:37]
	s_cbranch_scc1 .LBB23_10
.LBB23_14:                              ;   Parent Loop BB23_3 Depth=1
                                        ;     Parent Loop BB23_8 Depth=2
                                        ;       Parent Loop BB23_11 Depth=3
                                        ; =>      This Inner Loop Header: Depth=4
	s_and_saveexec_b64 s[26:27], s[0:1]
	s_cbranch_execz .LBB23_13
; %bb.15:                               ;   in Loop: Header=BB23_14 Depth=4
	global_load_ubyte v25, v[16:17], off
	global_load_ubyte v26, v[18:19], off
	s_waitcnt vmcnt(0)
	v_mad_u32_u24 v6, v26, v25, v6
	s_branch .LBB23_13
.LBB23_16:                              ;   in Loop: Header=BB23_3 Depth=1
	v_mov_b64_e32 v[8:9], s[2:3]
	v_mad_u64_u32 v[8:9], s[0:1], v4, s58, v[8:9]
	v_mul_lo_u32 v4, v4, s59
	v_mul_lo_u32 v3, v3, s58
	v_ashrrev_i32_e32 v7, 31, v5
	v_add3_u32 v9, v3, v9, v4
	v_mad_u64_u32 v[8:9], s[0:1], s28, v5, v[8:9]
	v_mul_lo_u32 v3, s29, v5
	v_mul_lo_u32 v4, s28, v7
	v_add3_u32 v9, v3, v9, v4
	v_mad_u64_u32 v[4:5], s[0:1], v2, s56, v[8:9]
	v_mul_lo_u32 v2, v2, s57
	v_mul_lo_u32 v1, v1, s56
	s_andn2_b64 vcc, exec, s[60:61]
	v_add3_u32 v5, v1, v5, v2
	s_cbranch_vccnz .LBB23_2
; %bb.17:                               ;   in Loop: Header=BB23_3 Depth=1
	global_load_ubyte v1, v[4:5], off
	v_mul_lo_u32 v2, v6, v20
	s_waitcnt vmcnt(0)
	v_mad_u64_u32 v[6:7], s[0:1], v1, v21, v[2:3]
	s_branch .LBB23_2
.LBB23_18:
	s_endpgm
	.section	.rodata,"a",@progbits
	.p2align	6, 0x0
	.amdhsa_kernel naive_conv_ab_nonpacked_fwd_nhwc_int8_t_int32_t_int8_t_0
		.amdhsa_group_segment_fixed_size 0
		.amdhsa_private_segment_fixed_size 0
		.amdhsa_kernarg_size 480
		.amdhsa_user_sgpr_count 2
		.amdhsa_user_sgpr_dispatch_ptr 0
		.amdhsa_user_sgpr_queue_ptr 0
		.amdhsa_user_sgpr_kernarg_segment_ptr 1
		.amdhsa_user_sgpr_dispatch_id 0
		.amdhsa_user_sgpr_kernarg_preload_length 0
		.amdhsa_user_sgpr_kernarg_preload_offset 0
		.amdhsa_user_sgpr_private_segment_size 0
		.amdhsa_uses_dynamic_stack 0
		.amdhsa_enable_private_segment 0
		.amdhsa_system_sgpr_workgroup_id_x 1
		.amdhsa_system_sgpr_workgroup_id_y 0
		.amdhsa_system_sgpr_workgroup_id_z 0
		.amdhsa_system_sgpr_workgroup_info 0
		.amdhsa_system_vgpr_workitem_id 0
		.amdhsa_next_free_vgpr 27
		.amdhsa_next_free_sgpr 69
		.amdhsa_accum_offset 28
		.amdhsa_reserve_vcc 1
		.amdhsa_float_round_mode_32 0
		.amdhsa_float_round_mode_16_64 0
		.amdhsa_float_denorm_mode_32 3
		.amdhsa_float_denorm_mode_16_64 3
		.amdhsa_dx10_clamp 1
		.amdhsa_ieee_mode 1
		.amdhsa_fp16_overflow 0
		.amdhsa_tg_split 0
		.amdhsa_exception_fp_ieee_invalid_op 0
		.amdhsa_exception_fp_denorm_src 0
		.amdhsa_exception_fp_ieee_div_zero 0
		.amdhsa_exception_fp_ieee_overflow 0
		.amdhsa_exception_fp_ieee_underflow 0
		.amdhsa_exception_fp_ieee_inexact 0
		.amdhsa_exception_int_div_zero 0
	.end_amdhsa_kernel
	.text
.Lfunc_end23:
	.size	naive_conv_ab_nonpacked_fwd_nhwc_int8_t_int32_t_int8_t_0, .Lfunc_end23-naive_conv_ab_nonpacked_fwd_nhwc_int8_t_int32_t_int8_t_0
                                        ; -- End function
	.section	.AMDGPU.csdata,"",@progbits
; Kernel info:
; codeLenInByte = 1424
; NumSgprs: 75
; NumVgprs: 27
; NumAgprs: 0
; TotalNumVgprs: 27
; ScratchSize: 0
; MemoryBound: 0
; FloatMode: 240
; IeeeMode: 1
; LDSByteSize: 0 bytes/workgroup (compile time only)
; SGPRBlocks: 9
; VGPRBlocks: 3
; NumSGPRsForWavesPerEU: 75
; NumVGPRsForWavesPerEU: 27
; AccumOffset: 28
; Occupancy: 8
; WaveLimiterHint : 0
; COMPUTE_PGM_RSRC2:SCRATCH_EN: 0
; COMPUTE_PGM_RSRC2:USER_SGPR: 2
; COMPUTE_PGM_RSRC2:TRAP_HANDLER: 0
; COMPUTE_PGM_RSRC2:TGID_X_EN: 1
; COMPUTE_PGM_RSRC2:TGID_Y_EN: 0
; COMPUTE_PGM_RSRC2:TGID_Z_EN: 0
; COMPUTE_PGM_RSRC2:TIDIG_COMP_CNT: 0
; COMPUTE_PGM_RSRC3_GFX90A:ACCUM_OFFSET: 6
; COMPUTE_PGM_RSRC3_GFX90A:TG_SPLIT: 0
	.text
	.protected	naive_conv_ab_packed_fwd_nhwc_int8_t_int32_t_int32_t_0 ; -- Begin function naive_conv_ab_packed_fwd_nhwc_int8_t_int32_t_int32_t_0
	.globl	naive_conv_ab_packed_fwd_nhwc_int8_t_int32_t_int32_t_0
	.p2align	8
	.type	naive_conv_ab_packed_fwd_nhwc_int8_t_int32_t_int32_t_0,@function
naive_conv_ab_packed_fwd_nhwc_int8_t_int32_t_int32_t_0: ; @naive_conv_ab_packed_fwd_nhwc_int8_t_int32_t_int32_t_0
; %bb.0:
	s_load_dwordx16 s[4:19], s[0:1], 0xa0
	s_abs_i32 s20, s2
	s_waitcnt lgkmcnt(0)
	s_abs_i32 s3, s9
	v_cvt_f32_u32_e32 v1, s3
	s_sub_i32 s21, 0, s3
	v_rcp_iflag_f32_e32 v1, v1
	s_nop 0
	v_mul_f32_e32 v1, 0x4f7ffffe, v1
	v_cvt_u32_f32_e32 v1, v1
	s_nop 0
	v_readfirstlane_b32 s22, v1
	s_mul_i32 s21, s21, s22
	s_mul_hi_u32 s21, s22, s21
	s_add_i32 s22, s22, s21
	s_mul_hi_u32 s21, s20, s22
	s_mul_i32 s22, s21, s3
	s_sub_i32 s20, s20, s22
	s_add_i32 s23, s21, 1
	s_sub_i32 s22, s20, s3
	s_cmp_ge_u32 s20, s3
	s_cselect_b32 s21, s23, s21
	s_cselect_b32 s20, s22, s20
	s_add_i32 s22, s21, 1
	s_cmp_ge_u32 s20, s3
	s_cselect_b32 s28, s22, s21
	s_abs_i32 s3, s6
	v_cvt_f32_u32_e32 v1, s3
	s_mul_i32 s6, s19, s7
	s_mul_i32 s33, s6, s10
	v_cmp_gt_i32_e32 vcc, s33, v0
	v_rcp_iflag_f32_e32 v1, v1
	s_nop 0
	v_mul_f32_e32 v1, 0x4f7ffffe, v1
	v_cvt_u32_f32_e32 v1, v1
	s_nop 0
	v_readfirstlane_b32 s29, v1
	s_and_saveexec_b64 s[20:21], vcc
	s_cbranch_execz .LBB24_20
; %bb.1:
	s_xor_b32 s30, s2, s9
	s_ashr_i32 s30, s30, 31
	s_sub_i32 s34, 0, s3
	s_xor_b32 s28, s28, s30
	s_mul_i32 s34, s34, s29
	s_sub_i32 s28, s28, s30
	s_mul_hi_u32 s34, s29, s34
	s_abs_i32 s31, s28
	s_add_i32 s29, s29, s34
	s_mul_hi_u32 s29, s31, s29
	s_ashr_i32 s30, s28, 31
	s_mul_i32 s28, s28, s9
	s_mul_i32 s29, s29, s3
	s_sub_i32 s34, s2, s28
	s_sub_i32 s2, s31, s29
	;; [unrolled: 1-line block ×3, first 2 shown]
	s_cmp_ge_u32 s2, s3
	s_cselect_b32 s2, s28, s2
	s_sub_i32 s28, s2, s3
	s_cmp_ge_u32 s2, s3
	s_cselect_b32 s2, s28, s2
	s_xor_b32 s2, s2, s30
	s_mul_i32 s19, s19, s8
	s_sub_i32 s38, s2, s30
	s_ashr_i32 s42, s5, 31
	s_ashr_i32 s43, s19, 31
	s_mul_hi_i32 s2, s38, s9
	s_mul_i32 s3, s38, s9
	s_ashr_i32 s44, s6, 31
	s_ashr_i32 s9, s34, 31
	s_add_u32 s28, s3, s34
	s_addc_u32 s2, s2, s9
	s_mul_hi_i32 s3, s6, s10
	s_mul_i32 s2, s33, s2
	s_mul_hi_u32 s9, s33, s28
	s_add_i32 s9, s9, s2
	s_mul_i32 s10, s3, s28
	s_load_dwordx2 s[2:3], s[0:1], 0x20
	s_load_dword s39, s[0:1], 0xec
	s_add_i32 s29, s9, s10
	s_mul_i32 s28, s33, s28
	s_lshl_b64 s[28:29], s[28:29], 2
	s_waitcnt lgkmcnt(0)
	s_add_u32 s2, s2, s28
	s_addc_u32 s3, s3, s29
	s_cmp_lt_i32 s17, 1
	s_mul_i32 s34, s34, s11
	s_cselect_b64 s[10:11], -1, 0
	s_sub_i32 s15, s34, s15
	s_cmp_gt_i32 s18, 0
	s_cselect_b64 s[28:29], -1, 0
	s_cmp_gt_i32 s8, 0
	s_cselect_b64 s[30:31], -1, 0
	s_abs_i32 s47, s6
	v_cvt_f32_u32_e32 v2, s47
	s_abs_i32 s48, s7
	v_cvt_f32_u32_e32 v3, s48
	s_load_dwordx8 s[20:27], s[0:1], 0x0
	v_rcp_iflag_f32_e32 v2, v2
	s_ashr_i32 s40, s17, 31
	v_rcp_iflag_f32_e32 v3, v3
	s_ashr_i32 s9, s8, 31
	v_mul_f32_e32 v2, 0x4f7ffffe, v2
	v_cvt_u32_f32_e32 v2, v2
	v_mul_f32_e32 v3, 0x4f7ffffe, v3
	s_waitcnt lgkmcnt(0)
	v_cmp_neq_f64_e64 s[0:1], s[24:25], 1.0
	v_cmp_neq_f64_e64 s[36:37], s[26:27], 0
	v_cvt_u32_f32_e32 v3, v3
	s_or_b64 s[36:37], s[0:1], s[36:37]
	s_sub_i32 s0, 0, s47
	v_mul_lo_u32 v4, s0, v2
	v_cvt_i32_f64_e32 v1, s[24:25]
	v_mul_hi_u32 v4, v2, v4
	s_sub_i32 s0, 0, s48
	s_mul_i32 s24, s18, s8
	v_add_u32_e32 v19, v2, v4
	v_mul_lo_u32 v2, s0, v3
	s_mul_i32 s0, s24, s40
	s_mul_hi_u32 s1, s24, s17
	s_mul_hi_i32 s25, s18, s8
	v_mul_hi_u32 v2, v3, v2
	s_add_i32 s0, s1, s0
	s_mul_i32 s1, s25, s17
	s_ashr_i32 s45, s7, 31
	s_mov_b32 s46, s7
	s_mov_b64 s[34:35], 0
	v_cvt_i32_f64_e32 v18, s[26:27]
	s_and_b32 s49, s39, 0xffff
	v_add_u32_e32 v20, v3, v2
	s_mul_hi_i32 s50, s4, s38
	s_mul_i32 s51, s4, s38
	s_add_i32 s52, s0, s1
	s_mul_i32 s53, s24, s17
	v_mov_b32_e32 v3, 0
	s_branch .LBB24_3
.LBB24_2:                               ;   in Loop: Header=BB24_3 Depth=1
	v_add_u32_e32 v0, s49, v0
	v_cmp_le_i32_e32 vcc, s33, v0
	s_or_b64 s[34:35], vcc, s[34:35]
	s_andn2_b64 exec, exec, s[34:35]
	s_cbranch_execz .LBB24_20
.LBB24_3:                               ; =>This Loop Header: Depth=1
                                        ;     Child Loop BB24_8 Depth 2
                                        ;       Child Loop BB24_11 Depth 3
                                        ;         Child Loop BB24_14 Depth 4
	v_sub_u32_e32 v4, 0, v0
	v_max_i32_e32 v4, v0, v4
	v_mul_hi_u32 v5, v4, v19
	v_mul_lo_u32 v6, v5, s47
	v_sub_u32_e32 v4, v4, v6
	v_add_u32_e32 v6, 1, v5
	v_cmp_le_u32_e32 vcc, s47, v4
	v_ashrrev_i32_e32 v2, 31, v0
	v_xor_b32_e32 v2, s44, v2
	v_cndmask_b32_e32 v5, v5, v6, vcc
	v_subrev_u32_e32 v6, s47, v4
	v_cndmask_b32_e32 v4, v4, v6, vcc
	v_add_u32_e32 v6, 1, v5
	v_cmp_le_u32_e32 vcc, s47, v4
	s_nop 1
	v_cndmask_b32_e32 v4, v5, v6, vcc
	v_xor_b32_e32 v4, v4, v2
	v_sub_u32_e32 v21, v4, v2
	v_mul_lo_u32 v2, v21, s6
	v_sub_u32_e32 v10, v0, v2
	v_sub_u32_e32 v4, 0, v10
	v_max_i32_e32 v4, v10, v4
	v_mul_hi_u32 v5, v4, v20
	v_mul_lo_u32 v6, v5, s48
	v_sub_u32_e32 v4, v4, v6
	v_add_u32_e32 v6, 1, v5
	v_cmp_le_u32_e32 vcc, s48, v4
	v_ashrrev_i32_e32 v11, 31, v10
	v_xor_b32_e32 v2, s45, v11
	v_cndmask_b32_e32 v5, v5, v6, vcc
	v_subrev_u32_e32 v6, s48, v4
	v_cndmask_b32_e32 v4, v4, v6, vcc
	v_add_u32_e32 v6, 1, v5
	v_cmp_le_u32_e32 vcc, s48, v4
	s_nop 1
	v_cndmask_b32_e32 v4, v5, v6, vcc
	v_xor_b32_e32 v4, v4, v2
	v_sub_u32_e32 v12, v4, v2
	v_mul_lo_u32 v2, v12, s7
	v_sub_u32_e32 v4, v10, v2
	s_andn2_b64 vcc, exec, s[10:11]
	v_ashrrev_i32_e32 v5, 31, v4
	s_cbranch_vccnz .LBB24_5
; %bb.4:                                ;   in Loop: Header=BB24_3 Depth=1
	v_mad_i64_i32 v[6:7], s[0:1], v12, s46, 0
	s_mov_b32 s26, 0
	v_mov_b32_e32 v22, s26
	s_cbranch_execz .LBB24_6
	s_branch .LBB24_16
.LBB24_5:                               ;   in Loop: Header=BB24_3 Depth=1
                                        ; implicit-def: $sgpr26
                                        ; implicit-def: $vgpr6_vgpr7
	v_mov_b32_e32 v22, s26
.LBB24_6:                               ;   in Loop: Header=BB24_3 Depth=1
	v_mul_lo_u32 v6, v21, s12
	v_mov_b64_e32 v[8:9], s[20:21]
	v_mad_i64_i32 v[10:11], s[0:1], v12, s46, v[10:11]
	v_subrev_u32_e32 v23, s16, v6
	v_mad_i64_i32 v[6:7], s[0:1], v12, s46, 0
	v_mad_i64_i32 v[8:9], s[0:1], v12, s8, v[8:9]
	v_ashrrev_i32_e32 v12, 31, v2
	v_sub_co_u32_e32 v2, vcc, v10, v2
	v_mul_lo_u32 v13, s52, v2
	s_nop 0
	v_subb_co_u32_e32 v10, vcc, v11, v12, vcc
	v_mul_lo_u32 v12, s53, v10
	v_mov_b64_e32 v[10:11], s[22:23]
	v_mad_u64_u32 v[10:11], s[0:1], s53, v2, v[10:11]
	v_add3_u32 v11, v13, v11, v12
	s_mov_b32 s54, 0
	v_mov_b32_e32 v22, 0
	s_mov_b32 s55, s15
	s_branch .LBB24_8
.LBB24_7:                               ;   in Loop: Header=BB24_8 Depth=2
	s_add_i32 s54, s54, 1
	s_add_i32 s55, s55, s13
	s_cmp_eq_u32 s54, s17
	v_lshl_add_u64 v[10:11], v[10:11], 0, s[24:25]
	s_cbranch_scc1 .LBB24_16
.LBB24_8:                               ;   Parent Loop BB24_3 Depth=1
                                        ; =>  This Loop Header: Depth=2
                                        ;       Child Loop BB24_11 Depth 3
                                        ;         Child Loop BB24_14 Depth 4
	s_andn2_b64 vcc, exec, s[28:29]
	s_cbranch_vccnz .LBB24_7
; %bb.9:                                ;   in Loop: Header=BB24_8 Depth=2
	s_add_u32 s0, s51, s55
	s_addc_u32 s1, s50, 0
	s_mul_i32 s1, s5, s1
	s_mul_hi_u32 s26, s5, s0
	s_add_i32 s1, s26, s1
	s_mul_i32 s26, s42, s0
	s_add_i32 s27, s1, s26
	s_mul_i32 s26, s5, s0
	s_mul_i32 s0, s54, s13
	s_add_i32 s38, s0, s15
	s_cmp_lt_i32 s38, 0
	s_cselect_b64 s[0:1], -1, 0
	s_cmp_ge_i32 s38, s4
	s_cselect_b64 s[38:39], -1, 0
	s_mov_b32 s56, 0
	s_or_b64 s[38:39], s[0:1], s[38:39]
	v_mov_b64_e32 v[12:13], v[10:11]
	v_mov_b32_e32 v2, v23
	s_branch .LBB24_11
.LBB24_10:                              ;   in Loop: Header=BB24_11 Depth=3
	s_add_i32 s56, s56, 1
	v_add_u32_e32 v2, s14, v2
	s_cmp_eq_u32 s56, s18
	v_lshl_add_u64 v[12:13], v[12:13], 0, s[8:9]
	s_cbranch_scc1 .LBB24_7
.LBB24_11:                              ;   Parent Loop BB24_3 Depth=1
                                        ;     Parent Loop BB24_8 Depth=2
                                        ; =>    This Loop Header: Depth=3
                                        ;         Child Loop BB24_14 Depth 4
	s_andn2_b64 vcc, exec, s[30:31]
	s_cbranch_vccnz .LBB24_10
; %bb.12:                               ;   in Loop: Header=BB24_11 Depth=3
	v_lshl_add_u64 v[14:15], s[26:27], 0, v[2:3]
	v_mul_lo_u32 v16, s19, v15
	v_mul_lo_u32 v17, s43, v14
	v_mad_u64_u32 v[14:15], s[0:1], s19, v14, v[8:9]
	s_mul_i32 s0, s56, s14
	v_add3_u32 v15, v17, v15, v16
	v_add_u32_e32 v16, s0, v23
	v_cmp_gt_i32_e32 vcc, 0, v16
	v_cmp_le_i32_e64 s[0:1], s5, v16
	s_or_b64 s[0:1], vcc, s[0:1]
	s_or_b64 s[0:1], s[38:39], s[0:1]
	s_xor_b64 s[0:1], s[0:1], -1
	v_mov_b64_e32 v[16:17], v[12:13]
	s_mov_b32 s57, s8
	s_branch .LBB24_14
.LBB24_13:                              ;   in Loop: Header=BB24_14 Depth=4
	s_or_b64 exec, exec, s[40:41]
	s_add_i32 s57, s57, -1
	v_lshl_add_u64 v[14:15], v[14:15], 0, 1
	s_cmp_eq_u32 s57, 0
	v_lshl_add_u64 v[16:17], v[16:17], 0, 1
	s_cbranch_scc1 .LBB24_10
.LBB24_14:                              ;   Parent Loop BB24_3 Depth=1
                                        ;     Parent Loop BB24_8 Depth=2
                                        ;       Parent Loop BB24_11 Depth=3
                                        ; =>      This Inner Loop Header: Depth=4
	s_and_saveexec_b64 s[40:41], s[0:1]
	s_cbranch_execz .LBB24_13
; %bb.15:                               ;   in Loop: Header=BB24_14 Depth=4
	global_load_sbyte v24, v[14:15], off
	global_load_sbyte v25, v[16:17], off
	s_waitcnt vmcnt(0)
	v_mad_i32_i24 v22, v25, v24, v22
	s_branch .LBB24_13
.LBB24_16:                              ;   in Loop: Header=BB24_3 Depth=1
	v_mad_i64_i32 v[4:5], s[0:1], v21, s6, v[4:5]
	v_lshl_add_u64 v[4:5], v[4:5], 0, v[6:7]
	s_mov_b64 s[0:1], -1
	s_and_b64 vcc, exec, s[36:37]
	v_lshl_add_u64 v[4:5], v[4:5], 2, s[2:3]
	s_cbranch_vccz .LBB24_18
; %bb.17:                               ;   in Loop: Header=BB24_3 Depth=1
	global_load_dword v6, v[4:5], off
	v_mul_lo_u32 v2, v22, v1
	s_waitcnt vmcnt(0)
	v_mad_u64_u32 v[6:7], s[0:1], v6, v18, v[2:3]
	global_store_dword v[4:5], v6, off
	s_mov_b64 s[0:1], 0
.LBB24_18:                              ;   in Loop: Header=BB24_3 Depth=1
	s_andn2_b64 vcc, exec, s[0:1]
	s_cbranch_vccnz .LBB24_2
; %bb.19:                               ;   in Loop: Header=BB24_3 Depth=1
	global_store_dword v[4:5], v22, off
	s_branch .LBB24_2
.LBB24_20:
	s_endpgm
	.section	.rodata,"a",@progbits
	.p2align	6, 0x0
	.amdhsa_kernel naive_conv_ab_packed_fwd_nhwc_int8_t_int32_t_int32_t_0
		.amdhsa_group_segment_fixed_size 0
		.amdhsa_private_segment_fixed_size 0
		.amdhsa_kernarg_size 480
		.amdhsa_user_sgpr_count 2
		.amdhsa_user_sgpr_dispatch_ptr 0
		.amdhsa_user_sgpr_queue_ptr 0
		.amdhsa_user_sgpr_kernarg_segment_ptr 1
		.amdhsa_user_sgpr_dispatch_id 0
		.amdhsa_user_sgpr_kernarg_preload_length 0
		.amdhsa_user_sgpr_kernarg_preload_offset 0
		.amdhsa_user_sgpr_private_segment_size 0
		.amdhsa_uses_dynamic_stack 0
		.amdhsa_enable_private_segment 0
		.amdhsa_system_sgpr_workgroup_id_x 1
		.amdhsa_system_sgpr_workgroup_id_y 0
		.amdhsa_system_sgpr_workgroup_id_z 0
		.amdhsa_system_sgpr_workgroup_info 0
		.amdhsa_system_vgpr_workitem_id 0
		.amdhsa_next_free_vgpr 26
		.amdhsa_next_free_sgpr 58
		.amdhsa_accum_offset 28
		.amdhsa_reserve_vcc 1
		.amdhsa_float_round_mode_32 0
		.amdhsa_float_round_mode_16_64 0
		.amdhsa_float_denorm_mode_32 3
		.amdhsa_float_denorm_mode_16_64 3
		.amdhsa_dx10_clamp 1
		.amdhsa_ieee_mode 1
		.amdhsa_fp16_overflow 0
		.amdhsa_tg_split 0
		.amdhsa_exception_fp_ieee_invalid_op 0
		.amdhsa_exception_fp_denorm_src 0
		.amdhsa_exception_fp_ieee_div_zero 0
		.amdhsa_exception_fp_ieee_overflow 0
		.amdhsa_exception_fp_ieee_underflow 0
		.amdhsa_exception_fp_ieee_inexact 0
		.amdhsa_exception_int_div_zero 0
	.end_amdhsa_kernel
	.text
.Lfunc_end24:
	.size	naive_conv_ab_packed_fwd_nhwc_int8_t_int32_t_int32_t_0, .Lfunc_end24-naive_conv_ab_packed_fwd_nhwc_int8_t_int32_t_int32_t_0
                                        ; -- End function
	.section	.AMDGPU.csdata,"",@progbits
; Kernel info:
; codeLenInByte = 1348
; NumSgprs: 64
; NumVgprs: 26
; NumAgprs: 0
; TotalNumVgprs: 26
; ScratchSize: 0
; MemoryBound: 0
; FloatMode: 240
; IeeeMode: 1
; LDSByteSize: 0 bytes/workgroup (compile time only)
; SGPRBlocks: 7
; VGPRBlocks: 3
; NumSGPRsForWavesPerEU: 64
; NumVGPRsForWavesPerEU: 26
; AccumOffset: 28
; Occupancy: 8
; WaveLimiterHint : 0
; COMPUTE_PGM_RSRC2:SCRATCH_EN: 0
; COMPUTE_PGM_RSRC2:USER_SGPR: 2
; COMPUTE_PGM_RSRC2:TRAP_HANDLER: 0
; COMPUTE_PGM_RSRC2:TGID_X_EN: 1
; COMPUTE_PGM_RSRC2:TGID_Y_EN: 0
; COMPUTE_PGM_RSRC2:TGID_Z_EN: 0
; COMPUTE_PGM_RSRC2:TIDIG_COMP_CNT: 0
; COMPUTE_PGM_RSRC3_GFX90A:ACCUM_OFFSET: 6
; COMPUTE_PGM_RSRC3_GFX90A:TG_SPLIT: 0
	.text
	.protected	naive_conv_ab_nonpacked_fwd_nhwc_int8_t_int32_t_int32_t_0 ; -- Begin function naive_conv_ab_nonpacked_fwd_nhwc_int8_t_int32_t_int32_t_0
	.globl	naive_conv_ab_nonpacked_fwd_nhwc_int8_t_int32_t_int32_t_0
	.p2align	8
	.type	naive_conv_ab_nonpacked_fwd_nhwc_int8_t_int32_t_int32_t_0,@function
naive_conv_ab_nonpacked_fwd_nhwc_int8_t_int32_t_int32_t_0: ; @naive_conv_ab_nonpacked_fwd_nhwc_int8_t_int32_t_int32_t_0
; %bb.0:
	s_load_dwordx16 s[4:19], s[0:1], 0xa0
	s_abs_i32 s20, s2
	s_waitcnt lgkmcnt(0)
	s_abs_i32 s3, s9
	v_cvt_f32_u32_e32 v1, s3
	s_sub_i32 s21, 0, s3
	v_rcp_iflag_f32_e32 v1, v1
	s_nop 0
	v_mul_f32_e32 v1, 0x4f7ffffe, v1
	v_cvt_u32_f32_e32 v1, v1
	s_nop 0
	v_readfirstlane_b32 s22, v1
	s_mul_i32 s21, s21, s22
	s_mul_hi_u32 s21, s22, s21
	s_add_i32 s22, s22, s21
	s_mul_hi_u32 s21, s20, s22
	s_mul_i32 s22, s21, s3
	s_sub_i32 s20, s20, s22
	s_add_i32 s23, s21, 1
	s_sub_i32 s22, s20, s3
	s_cmp_ge_u32 s20, s3
	s_cselect_b32 s21, s23, s21
	s_cselect_b32 s20, s22, s20
	s_add_i32 s22, s21, 1
	s_cmp_ge_u32 s20, s3
	s_cselect_b32 s28, s22, s21
	s_abs_i32 s3, s6
	v_cvt_f32_u32_e32 v1, s3
	s_mul_i32 s6, s19, s7
	s_mul_i32 s19, s6, s10
	v_cmp_gt_i32_e32 vcc, s19, v0
	v_rcp_iflag_f32_e32 v1, v1
	s_nop 0
	v_mul_f32_e32 v1, 0x4f7ffffe, v1
	v_cvt_u32_f32_e32 v1, v1
	s_nop 0
	v_readfirstlane_b32 s10, v1
	s_and_saveexec_b64 s[20:21], vcc
	s_cbranch_execz .LBB25_20
; %bb.1:
	s_xor_b32 s29, s2, s9
	s_ashr_i32 s29, s29, 31
	s_xor_b32 s28, s28, s29
	s_sub_i32 s33, s28, s29
	s_sub_i32 s28, 0, s3
	s_mul_i32 s28, s28, s10
	s_mul_hi_u32 s28, s10, s28
	s_abs_i32 s63, s33
	s_add_i32 s10, s10, s28
	s_mul_hi_u32 s10, s63, s10
	s_ashr_i32 s62, s33, 31
	s_mul_i32 s33, s33, s9
	s_mul_i32 s10, s10, s3
	s_sub_i32 s9, s2, s33
	s_sub_i32 s2, s63, s10
	;; [unrolled: 1-line block ×3, first 2 shown]
	s_cmp_ge_u32 s2, s3
	s_cselect_b32 s2, s10, s2
	s_sub_i32 s10, s2, s3
	s_cmp_ge_u32 s2, s3
	s_cselect_b32 s2, s10, s2
	s_xor_b32 s2, s2, s62
	s_load_dwordx8 s[20:27], s[0:1], 0x0
	s_load_dwordx2 s[34:35], s[0:1], 0x20
	s_load_dwordx16 s[36:51], s[0:1], 0x28
	s_load_dwordx2 s[60:61], s[0:1], 0x98
	s_load_dwordx4 s[28:31], s[0:1], 0x88
	s_load_dwordx8 s[52:59], s[0:1], 0x68
	s_sub_i32 s2, s2, s62
	s_ashr_i32 s3, s2, 31
	s_waitcnt lgkmcnt(0)
	s_mul_i32 s10, s44, s3
	s_mul_hi_u32 s33, s44, s2
	s_add_i32 s10, s33, s10
	s_mul_i32 s33, s45, s2
	s_add_i32 s65, s10, s33
	s_mul_i32 s3, s60, s3
	s_mul_hi_u32 s10, s60, s2
	s_add_i32 s3, s10, s3
	s_mul_i32 s10, s61, s2
	s_add_i32 s3, s3, s10
	s_ashr_i32 s10, s9, 31
	s_mul_i32 s10, s30, s10
	s_mul_hi_u32 s33, s30, s9
	s_mul_i32 s66, s44, s2
	s_mul_i32 s2, s60, s2
	s_add_i32 s10, s33, s10
	s_mul_i32 s31, s31, s9
	s_add_i32 s31, s10, s31
	s_lshl_b64 s[2:3], s[2:3], 2
	s_mul_i32 s30, s30, s9
	s_add_u32 s10, s34, s2
	s_addc_u32 s33, s35, s3
	s_lshl_b64 s[2:3], s[30:31], 2
	s_add_u32 s2, s10, s2
	s_addc_u32 s3, s33, s3
	s_cmp_lt_i32 s17, 1
	s_mul_i32 s9, s9, s11
	s_cselect_b64 s[10:11], -1, 0
	s_sub_i32 s9, s9, s15
	s_cmp_gt_i32 s18, 0
	s_cselect_b64 s[30:31], -1, 0
	s_cmp_gt_i32 s8, 0
	s_cselect_b64 s[34:35], -1, 0
	s_abs_i32 s15, s6
	v_cmp_neq_f64_e64 s[60:61], s[24:25], 1.0
	v_cmp_neq_f64_e64 s[62:63], s[26:27], 0
	v_cvt_f32_u32_e32 v1, s15
	s_or_b64 s[60:61], s[60:61], s[62:63]
	s_abs_i32 s62, s7
	v_cvt_f32_u32_e32 v2, s62
	v_rcp_iflag_f32_e32 v1, v1
	s_load_dword s0, s[0:1], 0xec
	s_ashr_i32 s63, s6, 31
	v_rcp_iflag_f32_e32 v2, v2
	v_mul_f32_e32 v1, 0x4f7ffffe, v1
	v_cvt_u32_f32_e32 v1, v1
	s_waitcnt lgkmcnt(0)
	s_and_b32 s33, s0, 0xffff
	v_mul_f32_e32 v2, 0x4f7ffffe, v2
	v_cvt_u32_f32_e32 v2, v2
	s_sub_i32 s0, 0, s15
	v_mul_lo_u32 v3, s0, v1
	v_mul_hi_u32 v3, v1, v3
	s_sub_i32 s0, 0, s62
	v_add_u32_e32 v19, v1, v3
	s_ashr_i32 s64, s7, 31
	v_mul_lo_u32 v1, s0, v2
	v_mul_hi_u32 v1, v2, v1
	s_add_u32 s20, s20, s66
	s_mov_b64 s[44:45], 0
	v_cvt_i32_f64_e32 v5, s[24:25]
	v_cvt_i32_f64_e32 v18, s[26:27]
	v_add_u32_e32 v20, v2, v1
	s_addc_u32 s21, s21, s65
	s_branch .LBB25_3
.LBB25_2:                               ;   in Loop: Header=BB25_3 Depth=1
	v_add_u32_e32 v0, s33, v0
	v_cmp_le_i32_e32 vcc, s19, v0
	s_or_b64 s[44:45], vcc, s[44:45]
	s_andn2_b64 exec, exec, s[44:45]
	s_cbranch_execz .LBB25_20
.LBB25_3:                               ; =>This Loop Header: Depth=1
                                        ;     Child Loop BB25_8 Depth 2
                                        ;       Child Loop BB25_11 Depth 3
                                        ;         Child Loop BB25_14 Depth 4
	v_sub_u32_e32 v2, 0, v0
	v_max_i32_e32 v2, v0, v2
	v_mul_hi_u32 v3, v2, v19
	v_mul_lo_u32 v4, v3, s15
	v_sub_u32_e32 v2, v2, v4
	v_add_u32_e32 v4, 1, v3
	v_cmp_le_u32_e32 vcc, s15, v2
	v_ashrrev_i32_e32 v1, 31, v0
	v_xor_b32_e32 v1, s63, v1
	v_cndmask_b32_e32 v3, v3, v4, vcc
	v_subrev_u32_e32 v4, s15, v2
	v_cndmask_b32_e32 v2, v2, v4, vcc
	v_add_u32_e32 v4, 1, v3
	v_cmp_le_u32_e32 vcc, s15, v2
	s_nop 1
	v_cndmask_b32_e32 v2, v3, v4, vcc
	v_xor_b32_e32 v2, v2, v1
	v_sub_u32_e32 v21, v2, v1
	v_mul_lo_u32 v1, v21, s6
	v_sub_u32_e32 v6, v0, v1
	v_sub_u32_e32 v2, 0, v6
	v_max_i32_e32 v2, v6, v2
	v_mul_hi_u32 v3, v2, v20
	v_mul_lo_u32 v4, v3, s62
	v_sub_u32_e32 v2, v2, v4
	v_add_u32_e32 v4, 1, v3
	v_cmp_le_u32_e32 vcc, s62, v2
	v_ashrrev_i32_e32 v7, 31, v6
	v_xor_b32_e32 v1, s64, v7
	v_cndmask_b32_e32 v3, v3, v4, vcc
	v_subrev_u32_e32 v4, s62, v2
	v_cndmask_b32_e32 v2, v2, v4, vcc
	v_add_u32_e32 v4, 1, v3
	v_cmp_le_u32_e32 vcc, s62, v2
	s_nop 1
	v_cndmask_b32_e32 v2, v3, v4, vcc
	v_xor_b32_e32 v2, v2, v1
	v_sub_u32_e32 v2, v2, v1
	v_mul_lo_u32 v8, v2, s7
	v_sub_u32_e32 v4, v6, v8
	s_andn2_b64 vcc, exec, s[10:11]
	v_ashrrev_i32_e32 v1, 31, v2
	v_ashrrev_i32_e32 v3, 31, v4
	s_cbranch_vccnz .LBB25_5
; %bb.4:                                ;   in Loop: Header=BB25_3 Depth=1
	s_mov_b32 s24, 0
	v_mov_b32_e32 v22, s24
	s_cbranch_execz .LBB25_6
	s_branch .LBB25_16
.LBB25_5:                               ;   in Loop: Header=BB25_3 Depth=1
                                        ; implicit-def: $sgpr24
	v_mov_b32_e32 v22, s24
.LBB25_6:                               ;   in Loop: Header=BB25_3 Depth=1
	v_mul_lo_u32 v9, v21, s12
	v_subrev_u32_e32 v23, s16, v9
	v_mul_lo_u32 v9, s55, v2
	v_mul_lo_u32 v12, s54, v1
	v_mad_u64_u32 v[10:11], s[0:1], s54, v2, 0
	v_add3_u32 v11, v11, v12, v9
	v_ashrrev_i32_e32 v9, 31, v8
	v_sub_co_u32_e32 v8, vcc, v6, v8
	s_mov_b32 s65, 0
	s_nop 0
	v_subb_co_u32_e32 v9, vcc, v7, v9, vcc
	v_mad_u64_u32 v[6:7], s[0:1], s52, v8, v[10:11]
	v_mul_lo_u32 v9, s52, v9
	v_mul_lo_u32 v8, s53, v8
	v_add3_u32 v7, v8, v7, v9
	v_mov_b64_e32 v[8:9], s[20:21]
	v_mad_u64_u32 v[8:9], s[0:1], s38, v2, v[8:9]
	v_mul_lo_u32 v10, s39, v2
	v_mul_lo_u32 v11, s38, v1
	v_lshl_add_u64 v[6:7], s[22:23], 0, v[6:7]
	v_add3_u32 v9, v10, v9, v11
	v_mov_b32_e32 v22, 0
	s_mov_b32 s66, s9
	s_branch .LBB25_8
.LBB25_7:                               ;   in Loop: Header=BB25_8 Depth=2
	s_add_i32 s65, s65, 1
	s_add_i32 s66, s66, s13
	s_cmp_eq_u32 s65, s17
	v_lshl_add_u64 v[6:7], v[6:7], 0, s[50:51]
	s_cbranch_scc1 .LBB25_16
.LBB25_8:                               ;   Parent Loop BB25_3 Depth=1
                                        ; =>  This Loop Header: Depth=2
                                        ;       Child Loop BB25_11 Depth 3
                                        ;         Child Loop BB25_14 Depth 4
	s_andn2_b64 vcc, exec, s[30:31]
	s_cbranch_vccnz .LBB25_7
; %bb.9:                                ;   in Loop: Header=BB25_8 Depth=2
	s_mul_i32 s0, s65, s13
	s_add_i32 s24, s0, s9
	s_cmp_lt_i32 s24, 0
	s_cselect_b64 s[0:1], -1, 0
	s_cmp_ge_i32 s24, s4
	s_cselect_b64 s[24:25], -1, 0
	v_mov_b32_e32 v10, s66
	s_or_b64 s[24:25], s[0:1], s[24:25]
	v_mad_u64_u32 v[10:11], s[0:1], s42, v10, v[8:9]
	s_mul_i32 s0, s43, s66
	s_mov_b32 s67, 0
	v_add_u32_e32 v11, s0, v11
	v_mov_b32_e32 v24, v23
	v_mov_b64_e32 v[12:13], v[6:7]
	s_branch .LBB25_11
.LBB25_10:                              ;   in Loop: Header=BB25_11 Depth=3
	s_add_i32 s67, s67, 1
	v_lshl_add_u64 v[12:13], v[12:13], 0, s[48:49]
	s_cmp_eq_u32 s67, s18
	v_add_u32_e32 v24, s14, v24
	s_cbranch_scc1 .LBB25_7
.LBB25_11:                              ;   Parent Loop BB25_3 Depth=1
                                        ;     Parent Loop BB25_8 Depth=2
                                        ; =>    This Loop Header: Depth=3
                                        ;         Child Loop BB25_14 Depth 4
	s_andn2_b64 vcc, exec, s[34:35]
	s_cbranch_vccnz .LBB25_10
; %bb.12:                               ;   in Loop: Header=BB25_11 Depth=3
	v_mad_u64_u32 v[14:15], s[0:1], s40, v24, v[10:11]
	v_mov_b32_e32 v16, v15
	v_mad_u64_u32 v[16:17], s[0:1], s41, v24, v[16:17]
	s_mul_i32 s0, s67, s14
	v_mov_b32_e32 v15, v16
	v_add_u32_e32 v16, s0, v23
	v_cmp_gt_i32_e32 vcc, 0, v16
	v_cmp_le_i32_e64 s[0:1], s5, v16
	s_or_b64 s[0:1], vcc, s[0:1]
	s_or_b64 s[0:1], s[24:25], s[0:1]
	s_xor_b64 s[0:1], s[0:1], -1
	v_mov_b64_e32 v[16:17], v[12:13]
	s_mov_b32 s68, s8
	s_branch .LBB25_14
.LBB25_13:                              ;   in Loop: Header=BB25_14 Depth=4
	s_or_b64 exec, exec, s[26:27]
	s_add_i32 s68, s68, -1
	v_lshl_add_u64 v[16:17], v[16:17], 0, s[46:47]
	s_cmp_eq_u32 s68, 0
	v_lshl_add_u64 v[14:15], v[14:15], 0, s[36:37]
	s_cbranch_scc1 .LBB25_10
.LBB25_14:                              ;   Parent Loop BB25_3 Depth=1
                                        ;     Parent Loop BB25_8 Depth=2
                                        ;       Parent Loop BB25_11 Depth=3
                                        ; =>      This Inner Loop Header: Depth=4
	s_and_saveexec_b64 s[26:27], s[0:1]
	s_cbranch_execz .LBB25_13
; %bb.15:                               ;   in Loop: Header=BB25_14 Depth=4
	global_load_sbyte v25, v[14:15], off
	global_load_sbyte v26, v[16:17], off
	s_waitcnt vmcnt(0)
	v_mad_i32_i24 v22, v26, v25, v22
	s_branch .LBB25_13
.LBB25_16:                              ;   in Loop: Header=BB25_3 Depth=1
	v_ashrrev_i32_e32 v6, 31, v21
	v_mul_lo_u32 v8, s29, v21
	v_mul_lo_u32 v9, s28, v6
	v_mad_u64_u32 v[6:7], s[0:1], s28, v21, 0
	v_add3_u32 v7, v7, v9, v8
	v_mad_u64_u32 v[6:7], s[0:1], v4, s56, v[6:7]
	v_mul_lo_u32 v4, v4, s57
	v_mul_lo_u32 v3, v3, s56
	v_add3_u32 v7, v3, v7, v4
	v_mad_u64_u32 v[6:7], s[0:1], v2, s58, v[6:7]
	v_mul_lo_u32 v2, v2, s59
	v_mul_lo_u32 v1, v1, s58
	v_add3_u32 v7, v1, v7, v2
	s_mov_b64 s[0:1], -1
	s_and_b64 vcc, exec, s[60:61]
	v_lshl_add_u64 v[2:3], v[6:7], 2, s[2:3]
	s_cbranch_vccz .LBB25_18
; %bb.17:                               ;   in Loop: Header=BB25_3 Depth=1
	global_load_dword v1, v[2:3], off
	v_mul_lo_u32 v4, v22, v5
	s_waitcnt vmcnt(0)
	v_mad_u64_u32 v[6:7], s[0:1], v1, v18, v[4:5]
	global_store_dword v[2:3], v6, off
	s_mov_b64 s[0:1], 0
.LBB25_18:                              ;   in Loop: Header=BB25_3 Depth=1
	s_andn2_b64 vcc, exec, s[0:1]
	s_cbranch_vccnz .LBB25_2
; %bb.19:                               ;   in Loop: Header=BB25_3 Depth=1
	global_store_dword v[2:3], v22, off
	s_branch .LBB25_2
.LBB25_20:
	s_endpgm
	.section	.rodata,"a",@progbits
	.p2align	6, 0x0
	.amdhsa_kernel naive_conv_ab_nonpacked_fwd_nhwc_int8_t_int32_t_int32_t_0
		.amdhsa_group_segment_fixed_size 0
		.amdhsa_private_segment_fixed_size 0
		.amdhsa_kernarg_size 480
		.amdhsa_user_sgpr_count 2
		.amdhsa_user_sgpr_dispatch_ptr 0
		.amdhsa_user_sgpr_queue_ptr 0
		.amdhsa_user_sgpr_kernarg_segment_ptr 1
		.amdhsa_user_sgpr_dispatch_id 0
		.amdhsa_user_sgpr_kernarg_preload_length 0
		.amdhsa_user_sgpr_kernarg_preload_offset 0
		.amdhsa_user_sgpr_private_segment_size 0
		.amdhsa_uses_dynamic_stack 0
		.amdhsa_enable_private_segment 0
		.amdhsa_system_sgpr_workgroup_id_x 1
		.amdhsa_system_sgpr_workgroup_id_y 0
		.amdhsa_system_sgpr_workgroup_id_z 0
		.amdhsa_system_sgpr_workgroup_info 0
		.amdhsa_system_vgpr_workitem_id 0
		.amdhsa_next_free_vgpr 27
		.amdhsa_next_free_sgpr 69
		.amdhsa_accum_offset 28
		.amdhsa_reserve_vcc 1
		.amdhsa_float_round_mode_32 0
		.amdhsa_float_round_mode_16_64 0
		.amdhsa_float_denorm_mode_32 3
		.amdhsa_float_denorm_mode_16_64 3
		.amdhsa_dx10_clamp 1
		.amdhsa_ieee_mode 1
		.amdhsa_fp16_overflow 0
		.amdhsa_tg_split 0
		.amdhsa_exception_fp_ieee_invalid_op 0
		.amdhsa_exception_fp_denorm_src 0
		.amdhsa_exception_fp_ieee_div_zero 0
		.amdhsa_exception_fp_ieee_overflow 0
		.amdhsa_exception_fp_ieee_underflow 0
		.amdhsa_exception_fp_ieee_inexact 0
		.amdhsa_exception_int_div_zero 0
	.end_amdhsa_kernel
	.text
.Lfunc_end25:
	.size	naive_conv_ab_nonpacked_fwd_nhwc_int8_t_int32_t_int32_t_0, .Lfunc_end25-naive_conv_ab_nonpacked_fwd_nhwc_int8_t_int32_t_int32_t_0
                                        ; -- End function
	.section	.AMDGPU.csdata,"",@progbits
; Kernel info:
; codeLenInByte = 1460
; NumSgprs: 75
; NumVgprs: 27
; NumAgprs: 0
; TotalNumVgprs: 27
; ScratchSize: 0
; MemoryBound: 0
; FloatMode: 240
; IeeeMode: 1
; LDSByteSize: 0 bytes/workgroup (compile time only)
; SGPRBlocks: 9
; VGPRBlocks: 3
; NumSGPRsForWavesPerEU: 75
; NumVGPRsForWavesPerEU: 27
; AccumOffset: 28
; Occupancy: 8
; WaveLimiterHint : 0
; COMPUTE_PGM_RSRC2:SCRATCH_EN: 0
; COMPUTE_PGM_RSRC2:USER_SGPR: 2
; COMPUTE_PGM_RSRC2:TRAP_HANDLER: 0
; COMPUTE_PGM_RSRC2:TGID_X_EN: 1
; COMPUTE_PGM_RSRC2:TGID_Y_EN: 0
; COMPUTE_PGM_RSRC2:TGID_Z_EN: 0
; COMPUTE_PGM_RSRC2:TIDIG_COMP_CNT: 0
; COMPUTE_PGM_RSRC3_GFX90A:ACCUM_OFFSET: 6
; COMPUTE_PGM_RSRC3_GFX90A:TG_SPLIT: 0
	.text
	.protected	naive_conv_ab_packed_fwd_nhwc_int8_t_int32_t_float_0 ; -- Begin function naive_conv_ab_packed_fwd_nhwc_int8_t_int32_t_float_0
	.globl	naive_conv_ab_packed_fwd_nhwc_int8_t_int32_t_float_0
	.p2align	8
	.type	naive_conv_ab_packed_fwd_nhwc_int8_t_int32_t_float_0,@function
naive_conv_ab_packed_fwd_nhwc_int8_t_int32_t_float_0: ; @naive_conv_ab_packed_fwd_nhwc_int8_t_int32_t_float_0
; %bb.0:
	s_load_dwordx16 s[4:19], s[0:1], 0xa0
	s_abs_i32 s20, s2
	s_waitcnt lgkmcnt(0)
	s_abs_i32 s3, s9
	v_cvt_f32_u32_e32 v1, s3
	s_sub_i32 s21, 0, s3
	v_rcp_iflag_f32_e32 v1, v1
	s_nop 0
	v_mul_f32_e32 v1, 0x4f7ffffe, v1
	v_cvt_u32_f32_e32 v1, v1
	s_nop 0
	v_readfirstlane_b32 s22, v1
	s_mul_i32 s21, s21, s22
	s_mul_hi_u32 s21, s22, s21
	s_add_i32 s22, s22, s21
	s_mul_hi_u32 s21, s20, s22
	s_mul_i32 s22, s21, s3
	s_sub_i32 s20, s20, s22
	s_add_i32 s23, s21, 1
	s_sub_i32 s22, s20, s3
	s_cmp_ge_u32 s20, s3
	s_cselect_b32 s21, s23, s21
	s_cselect_b32 s20, s22, s20
	s_add_i32 s22, s21, 1
	s_cmp_ge_u32 s20, s3
	s_cselect_b32 s28, s22, s21
	s_abs_i32 s3, s6
	v_cvt_f32_u32_e32 v1, s3
	s_mul_i32 s6, s19, s7
	s_mul_i32 s33, s6, s10
	v_cmp_gt_i32_e32 vcc, s33, v0
	v_rcp_iflag_f32_e32 v1, v1
	s_nop 0
	v_mul_f32_e32 v1, 0x4f7ffffe, v1
	v_cvt_u32_f32_e32 v1, v1
	s_nop 0
	v_readfirstlane_b32 s29, v1
	s_and_saveexec_b64 s[20:21], vcc
	s_cbranch_execz .LBB26_18
; %bb.1:
	s_xor_b32 s30, s2, s9
	s_ashr_i32 s30, s30, 31
	s_sub_i32 s34, 0, s3
	s_xor_b32 s28, s28, s30
	s_mul_i32 s34, s34, s29
	s_sub_i32 s28, s28, s30
	s_mul_hi_u32 s34, s29, s34
	s_abs_i32 s31, s28
	s_add_i32 s29, s29, s34
	s_mul_hi_u32 s29, s31, s29
	s_ashr_i32 s30, s28, 31
	s_mul_i32 s28, s28, s9
	s_mul_i32 s29, s29, s3
	s_sub_i32 s34, s2, s28
	s_sub_i32 s2, s31, s29
	;; [unrolled: 1-line block ×3, first 2 shown]
	s_cmp_ge_u32 s2, s3
	s_cselect_b32 s2, s28, s2
	s_sub_i32 s28, s2, s3
	s_cmp_ge_u32 s2, s3
	s_cselect_b32 s2, s28, s2
	s_xor_b32 s2, s2, s30
	s_mul_i32 s19, s19, s8
	s_sub_i32 s38, s2, s30
	s_ashr_i32 s42, s5, 31
	s_ashr_i32 s43, s19, 31
	s_mul_hi_i32 s2, s38, s9
	s_mul_i32 s3, s38, s9
	s_ashr_i32 s44, s6, 31
	s_ashr_i32 s9, s34, 31
	s_add_u32 s28, s3, s34
	s_addc_u32 s2, s2, s9
	s_mul_hi_i32 s3, s6, s10
	s_mul_i32 s2, s33, s2
	s_mul_hi_u32 s9, s33, s28
	s_add_i32 s9, s9, s2
	s_mul_i32 s10, s3, s28
	s_load_dwordx2 s[2:3], s[0:1], 0x20
	s_load_dword s39, s[0:1], 0xec
	s_add_i32 s29, s9, s10
	s_mul_i32 s28, s33, s28
	s_lshl_b64 s[28:29], s[28:29], 2
	s_waitcnt lgkmcnt(0)
	s_add_u32 s2, s2, s28
	s_addc_u32 s3, s3, s29
	s_cmp_lt_i32 s17, 1
	s_mul_i32 s34, s34, s11
	s_cselect_b64 s[10:11], -1, 0
	s_sub_i32 s15, s34, s15
	s_cmp_gt_i32 s18, 0
	s_cselect_b64 s[28:29], -1, 0
	s_cmp_gt_i32 s8, 0
	s_cselect_b64 s[30:31], -1, 0
	s_abs_i32 s47, s6
	v_cvt_f32_u32_e32 v2, s47
	s_abs_i32 s48, s7
	v_cvt_f32_u32_e32 v3, s48
	s_load_dwordx8 s[20:27], s[0:1], 0x0
	v_rcp_iflag_f32_e32 v2, v2
	s_ashr_i32 s40, s17, 31
	v_rcp_iflag_f32_e32 v3, v3
	s_ashr_i32 s9, s8, 31
	v_mul_f32_e32 v2, 0x4f7ffffe, v2
	v_cvt_u32_f32_e32 v2, v2
	v_mul_f32_e32 v3, 0x4f7ffffe, v3
	s_waitcnt lgkmcnt(0)
	v_cmp_neq_f64_e64 s[0:1], s[24:25], 1.0
	v_cmp_neq_f64_e64 s[36:37], s[26:27], 0
	v_cvt_u32_f32_e32 v3, v3
	s_or_b64 s[36:37], s[0:1], s[36:37]
	s_sub_i32 s0, 0, s47
	v_mul_lo_u32 v4, s0, v2
	v_cvt_i32_f64_e32 v1, s[24:25]
	v_mul_hi_u32 v4, v2, v4
	s_sub_i32 s0, 0, s48
	s_mul_i32 s24, s18, s8
	v_add_u32_e32 v21, v2, v4
	v_mul_lo_u32 v2, s0, v3
	s_mul_i32 s0, s24, s40
	s_mul_hi_u32 s1, s24, s17
	s_mul_hi_i32 s25, s18, s8
	v_mul_hi_u32 v2, v3, v2
	s_add_i32 s0, s1, s0
	s_mul_i32 s1, s25, s17
	s_ashr_i32 s45, s7, 31
	s_mov_b32 s46, s7
	s_mov_b64 s[34:35], 0
	v_cvt_i32_f64_e32 v20, s[26:27]
	s_and_b32 s49, s39, 0xffff
	v_add_u32_e32 v22, v3, v2
	s_mul_hi_i32 s50, s4, s38
	s_mul_i32 s51, s4, s38
	s_add_i32 s52, s0, s1
	s_mul_i32 s53, s24, s17
	v_mov_b32_e32 v3, 0
	s_branch .LBB26_3
.LBB26_2:                               ;   in Loop: Header=BB26_3 Depth=1
	v_cvt_f32_i32_e32 v2, v8
	v_add_u32_e32 v0, s49, v0
	v_cmp_le_i32_e32 vcc, s33, v0
	s_or_b64 s[34:35], vcc, s[34:35]
	global_store_dword v[4:5], v2, off
	s_andn2_b64 exec, exec, s[34:35]
	s_cbranch_execz .LBB26_18
.LBB26_3:                               ; =>This Loop Header: Depth=1
                                        ;     Child Loop BB26_8 Depth 2
                                        ;       Child Loop BB26_11 Depth 3
                                        ;         Child Loop BB26_14 Depth 4
	v_sub_u32_e32 v4, 0, v0
	v_max_i32_e32 v4, v0, v4
	v_mul_hi_u32 v5, v4, v21
	v_mul_lo_u32 v6, v5, s47
	v_sub_u32_e32 v4, v4, v6
	v_add_u32_e32 v6, 1, v5
	v_cmp_le_u32_e32 vcc, s47, v4
	v_ashrrev_i32_e32 v2, 31, v0
	v_xor_b32_e32 v2, s44, v2
	v_cndmask_b32_e32 v5, v5, v6, vcc
	v_subrev_u32_e32 v6, s47, v4
	v_cndmask_b32_e32 v4, v4, v6, vcc
	v_add_u32_e32 v6, 1, v5
	v_cmp_le_u32_e32 vcc, s47, v4
	s_nop 1
	v_cndmask_b32_e32 v4, v5, v6, vcc
	v_xor_b32_e32 v4, v4, v2
	v_sub_u32_e32 v9, v4, v2
	v_mul_lo_u32 v2, v9, s6
	v_sub_u32_e32 v12, v0, v2
	v_sub_u32_e32 v4, 0, v12
	v_max_i32_e32 v4, v12, v4
	v_mul_hi_u32 v5, v4, v22
	v_mul_lo_u32 v6, v5, s48
	v_sub_u32_e32 v4, v4, v6
	v_add_u32_e32 v6, 1, v5
	v_cmp_le_u32_e32 vcc, s48, v4
	v_ashrrev_i32_e32 v13, 31, v12
	v_xor_b32_e32 v2, s45, v13
	v_cndmask_b32_e32 v5, v5, v6, vcc
	v_subrev_u32_e32 v6, s48, v4
	v_cndmask_b32_e32 v4, v4, v6, vcc
	v_add_u32_e32 v6, 1, v5
	v_cmp_le_u32_e32 vcc, s48, v4
	s_nop 1
	v_cndmask_b32_e32 v4, v5, v6, vcc
	v_xor_b32_e32 v4, v4, v2
	v_sub_u32_e32 v14, v4, v2
	v_mul_lo_u32 v2, v14, s7
	v_sub_u32_e32 v4, v12, v2
	s_andn2_b64 vcc, exec, s[10:11]
	v_ashrrev_i32_e32 v5, 31, v4
	s_cbranch_vccnz .LBB26_5
; %bb.4:                                ;   in Loop: Header=BB26_3 Depth=1
	v_mad_i64_i32 v[6:7], s[0:1], v14, s46, 0
	s_mov_b32 s26, 0
	v_mov_b32_e32 v8, s26
	s_cbranch_execz .LBB26_6
	s_branch .LBB26_16
.LBB26_5:                               ;   in Loop: Header=BB26_3 Depth=1
                                        ; implicit-def: $sgpr26
                                        ; implicit-def: $vgpr6_vgpr7
	v_mov_b32_e32 v8, s26
.LBB26_6:                               ;   in Loop: Header=BB26_3 Depth=1
	v_mad_i64_i32 v[12:13], s[0:1], v14, s46, v[12:13]
	v_ashrrev_i32_e32 v8, 31, v2
	v_sub_co_u32_e32 v2, vcc, v12, v2
	v_mul_lo_u32 v6, v9, s12
	v_mov_b64_e32 v[10:11], s[20:21]
	v_subb_co_u32_e32 v8, vcc, v13, v8, vcc
	v_mov_b64_e32 v[12:13], s[22:23]
	v_subrev_u32_e32 v23, s16, v6
	v_mad_i64_i32 v[6:7], s[0:1], v14, s46, 0
	v_mad_i64_i32 v[10:11], s[0:1], v14, s8, v[10:11]
	v_mul_lo_u32 v8, s53, v8
	v_mul_lo_u32 v14, s52, v2
	v_mad_u64_u32 v[12:13], s[0:1], s53, v2, v[12:13]
	v_add3_u32 v13, v14, v13, v8
	s_mov_b32 s54, 0
	v_mov_b32_e32 v8, 0
	s_mov_b32 s55, s15
	s_branch .LBB26_8
.LBB26_7:                               ;   in Loop: Header=BB26_8 Depth=2
	s_add_i32 s54, s54, 1
	s_add_i32 s55, s55, s13
	s_cmp_eq_u32 s54, s17
	v_lshl_add_u64 v[12:13], v[12:13], 0, s[24:25]
	s_cbranch_scc1 .LBB26_16
.LBB26_8:                               ;   Parent Loop BB26_3 Depth=1
                                        ; =>  This Loop Header: Depth=2
                                        ;       Child Loop BB26_11 Depth 3
                                        ;         Child Loop BB26_14 Depth 4
	s_andn2_b64 vcc, exec, s[28:29]
	s_cbranch_vccnz .LBB26_7
; %bb.9:                                ;   in Loop: Header=BB26_8 Depth=2
	s_add_u32 s0, s51, s55
	s_addc_u32 s1, s50, 0
	s_mul_i32 s1, s5, s1
	s_mul_hi_u32 s26, s5, s0
	s_add_i32 s1, s26, s1
	s_mul_i32 s26, s42, s0
	s_add_i32 s27, s1, s26
	s_mul_i32 s26, s5, s0
	s_mul_i32 s0, s54, s13
	s_add_i32 s38, s0, s15
	s_cmp_lt_i32 s38, 0
	s_cselect_b64 s[0:1], -1, 0
	s_cmp_ge_i32 s38, s4
	s_cselect_b64 s[38:39], -1, 0
	s_mov_b32 s56, 0
	s_or_b64 s[38:39], s[0:1], s[38:39]
	v_mov_b64_e32 v[14:15], v[12:13]
	v_mov_b32_e32 v2, v23
	s_branch .LBB26_11
.LBB26_10:                              ;   in Loop: Header=BB26_11 Depth=3
	s_add_i32 s56, s56, 1
	v_add_u32_e32 v2, s14, v2
	s_cmp_eq_u32 s56, s18
	v_lshl_add_u64 v[14:15], v[14:15], 0, s[8:9]
	s_cbranch_scc1 .LBB26_7
.LBB26_11:                              ;   Parent Loop BB26_3 Depth=1
                                        ;     Parent Loop BB26_8 Depth=2
                                        ; =>    This Loop Header: Depth=3
                                        ;         Child Loop BB26_14 Depth 4
	s_andn2_b64 vcc, exec, s[30:31]
	s_cbranch_vccnz .LBB26_10
; %bb.12:                               ;   in Loop: Header=BB26_11 Depth=3
	v_lshl_add_u64 v[16:17], s[26:27], 0, v[2:3]
	v_mul_lo_u32 v18, s19, v17
	v_mul_lo_u32 v19, s43, v16
	v_mad_u64_u32 v[16:17], s[0:1], s19, v16, v[10:11]
	s_mul_i32 s0, s56, s14
	v_add3_u32 v17, v19, v17, v18
	v_add_u32_e32 v18, s0, v23
	v_cmp_gt_i32_e32 vcc, 0, v18
	v_cmp_le_i32_e64 s[0:1], s5, v18
	s_or_b64 s[0:1], vcc, s[0:1]
	s_or_b64 s[0:1], s[38:39], s[0:1]
	s_xor_b64 s[0:1], s[0:1], -1
	v_mov_b64_e32 v[18:19], v[14:15]
	s_mov_b32 s57, s8
	s_branch .LBB26_14
.LBB26_13:                              ;   in Loop: Header=BB26_14 Depth=4
	s_or_b64 exec, exec, s[40:41]
	s_add_i32 s57, s57, -1
	v_lshl_add_u64 v[16:17], v[16:17], 0, 1
	s_cmp_eq_u32 s57, 0
	v_lshl_add_u64 v[18:19], v[18:19], 0, 1
	s_cbranch_scc1 .LBB26_10
.LBB26_14:                              ;   Parent Loop BB26_3 Depth=1
                                        ;     Parent Loop BB26_8 Depth=2
                                        ;       Parent Loop BB26_11 Depth=3
                                        ; =>      This Inner Loop Header: Depth=4
	s_and_saveexec_b64 s[40:41], s[0:1]
	s_cbranch_execz .LBB26_13
; %bb.15:                               ;   in Loop: Header=BB26_14 Depth=4
	global_load_sbyte v24, v[16:17], off
	global_load_sbyte v25, v[18:19], off
	s_waitcnt vmcnt(0)
	v_mad_i32_i24 v8, v25, v24, v8
	s_branch .LBB26_13
.LBB26_16:                              ;   in Loop: Header=BB26_3 Depth=1
	v_mad_i64_i32 v[10:11], s[0:1], v9, s6, 0
	v_lshl_add_u64 v[6:7], v[6:7], 2, s[2:3]
	v_lshl_add_u64 v[6:7], v[10:11], 2, v[6:7]
	s_andn2_b64 vcc, exec, s[36:37]
	v_lshl_add_u64 v[4:5], v[4:5], 2, v[6:7]
	s_cbranch_vccnz .LBB26_2
; %bb.17:                               ;   in Loop: Header=BB26_3 Depth=1
	global_load_dword v2, v[4:5], off
	s_waitcnt vmcnt(0)
	v_cvt_i32_f32_e32 v6, v2
	v_mul_lo_u32 v2, v8, v1
	v_mad_u64_u32 v[8:9], s[0:1], v6, v20, v[2:3]
	s_branch .LBB26_2
.LBB26_18:
	s_endpgm
	.section	.rodata,"a",@progbits
	.p2align	6, 0x0
	.amdhsa_kernel naive_conv_ab_packed_fwd_nhwc_int8_t_int32_t_float_0
		.amdhsa_group_segment_fixed_size 0
		.amdhsa_private_segment_fixed_size 0
		.amdhsa_kernarg_size 480
		.amdhsa_user_sgpr_count 2
		.amdhsa_user_sgpr_dispatch_ptr 0
		.amdhsa_user_sgpr_queue_ptr 0
		.amdhsa_user_sgpr_kernarg_segment_ptr 1
		.amdhsa_user_sgpr_dispatch_id 0
		.amdhsa_user_sgpr_kernarg_preload_length 0
		.amdhsa_user_sgpr_kernarg_preload_offset 0
		.amdhsa_user_sgpr_private_segment_size 0
		.amdhsa_uses_dynamic_stack 0
		.amdhsa_enable_private_segment 0
		.amdhsa_system_sgpr_workgroup_id_x 1
		.amdhsa_system_sgpr_workgroup_id_y 0
		.amdhsa_system_sgpr_workgroup_id_z 0
		.amdhsa_system_sgpr_workgroup_info 0
		.amdhsa_system_vgpr_workitem_id 0
		.amdhsa_next_free_vgpr 26
		.amdhsa_next_free_sgpr 58
		.amdhsa_accum_offset 28
		.amdhsa_reserve_vcc 1
		.amdhsa_float_round_mode_32 0
		.amdhsa_float_round_mode_16_64 0
		.amdhsa_float_denorm_mode_32 3
		.amdhsa_float_denorm_mode_16_64 3
		.amdhsa_dx10_clamp 1
		.amdhsa_ieee_mode 1
		.amdhsa_fp16_overflow 0
		.amdhsa_tg_split 0
		.amdhsa_exception_fp_ieee_invalid_op 0
		.amdhsa_exception_fp_denorm_src 0
		.amdhsa_exception_fp_ieee_div_zero 0
		.amdhsa_exception_fp_ieee_overflow 0
		.amdhsa_exception_fp_ieee_underflow 0
		.amdhsa_exception_fp_ieee_inexact 0
		.amdhsa_exception_int_div_zero 0
	.end_amdhsa_kernel
	.text
.Lfunc_end26:
	.size	naive_conv_ab_packed_fwd_nhwc_int8_t_int32_t_float_0, .Lfunc_end26-naive_conv_ab_packed_fwd_nhwc_int8_t_int32_t_float_0
                                        ; -- End function
	.section	.AMDGPU.csdata,"",@progbits
; Kernel info:
; codeLenInByte = 1336
; NumSgprs: 64
; NumVgprs: 26
; NumAgprs: 0
; TotalNumVgprs: 26
; ScratchSize: 0
; MemoryBound: 0
; FloatMode: 240
; IeeeMode: 1
; LDSByteSize: 0 bytes/workgroup (compile time only)
; SGPRBlocks: 7
; VGPRBlocks: 3
; NumSGPRsForWavesPerEU: 64
; NumVGPRsForWavesPerEU: 26
; AccumOffset: 28
; Occupancy: 8
; WaveLimiterHint : 0
; COMPUTE_PGM_RSRC2:SCRATCH_EN: 0
; COMPUTE_PGM_RSRC2:USER_SGPR: 2
; COMPUTE_PGM_RSRC2:TRAP_HANDLER: 0
; COMPUTE_PGM_RSRC2:TGID_X_EN: 1
; COMPUTE_PGM_RSRC2:TGID_Y_EN: 0
; COMPUTE_PGM_RSRC2:TGID_Z_EN: 0
; COMPUTE_PGM_RSRC2:TIDIG_COMP_CNT: 0
; COMPUTE_PGM_RSRC3_GFX90A:ACCUM_OFFSET: 6
; COMPUTE_PGM_RSRC3_GFX90A:TG_SPLIT: 0
	.text
	.protected	naive_conv_ab_nonpacked_fwd_nhwc_int8_t_int32_t_float_0 ; -- Begin function naive_conv_ab_nonpacked_fwd_nhwc_int8_t_int32_t_float_0
	.globl	naive_conv_ab_nonpacked_fwd_nhwc_int8_t_int32_t_float_0
	.p2align	8
	.type	naive_conv_ab_nonpacked_fwd_nhwc_int8_t_int32_t_float_0,@function
naive_conv_ab_nonpacked_fwd_nhwc_int8_t_int32_t_float_0: ; @naive_conv_ab_nonpacked_fwd_nhwc_int8_t_int32_t_float_0
; %bb.0:
	s_load_dwordx16 s[4:19], s[0:1], 0xa0
	s_abs_i32 s20, s2
	s_waitcnt lgkmcnt(0)
	s_abs_i32 s3, s9
	v_cvt_f32_u32_e32 v1, s3
	s_sub_i32 s21, 0, s3
	v_rcp_iflag_f32_e32 v1, v1
	s_nop 0
	v_mul_f32_e32 v1, 0x4f7ffffe, v1
	v_cvt_u32_f32_e32 v1, v1
	s_nop 0
	v_readfirstlane_b32 s22, v1
	s_mul_i32 s21, s21, s22
	s_mul_hi_u32 s21, s22, s21
	s_add_i32 s22, s22, s21
	s_mul_hi_u32 s21, s20, s22
	s_mul_i32 s22, s21, s3
	s_sub_i32 s20, s20, s22
	s_add_i32 s23, s21, 1
	s_sub_i32 s22, s20, s3
	s_cmp_ge_u32 s20, s3
	s_cselect_b32 s21, s23, s21
	s_cselect_b32 s20, s22, s20
	s_add_i32 s22, s21, 1
	s_cmp_ge_u32 s20, s3
	s_cselect_b32 s28, s22, s21
	s_abs_i32 s3, s6
	v_cvt_f32_u32_e32 v1, s3
	s_mul_i32 s6, s19, s7
	s_mul_i32 s19, s6, s10
	v_cmp_gt_i32_e32 vcc, s19, v0
	v_rcp_iflag_f32_e32 v1, v1
	s_nop 0
	v_mul_f32_e32 v1, 0x4f7ffffe, v1
	v_cvt_u32_f32_e32 v1, v1
	s_nop 0
	v_readfirstlane_b32 s10, v1
	s_and_saveexec_b64 s[20:21], vcc
	s_cbranch_execz .LBB27_18
; %bb.1:
	s_xor_b32 s29, s2, s9
	s_ashr_i32 s29, s29, 31
	s_xor_b32 s28, s28, s29
	s_sub_i32 s33, s28, s29
	s_sub_i32 s28, 0, s3
	s_mul_i32 s28, s28, s10
	s_mul_hi_u32 s28, s10, s28
	s_abs_i32 s63, s33
	s_add_i32 s10, s10, s28
	s_mul_hi_u32 s10, s63, s10
	s_ashr_i32 s62, s33, 31
	s_mul_i32 s33, s33, s9
	s_mul_i32 s10, s10, s3
	s_sub_i32 s9, s2, s33
	s_sub_i32 s2, s63, s10
	;; [unrolled: 1-line block ×3, first 2 shown]
	s_cmp_ge_u32 s2, s3
	s_cselect_b32 s2, s10, s2
	s_sub_i32 s10, s2, s3
	s_cmp_ge_u32 s2, s3
	s_cselect_b32 s2, s10, s2
	s_xor_b32 s2, s2, s62
	s_load_dwordx8 s[20:27], s[0:1], 0x0
	s_load_dwordx2 s[34:35], s[0:1], 0x20
	s_load_dwordx16 s[36:51], s[0:1], 0x28
	s_load_dwordx2 s[60:61], s[0:1], 0x98
	s_load_dwordx4 s[28:31], s[0:1], 0x88
	s_load_dwordx8 s[52:59], s[0:1], 0x68
	s_sub_i32 s2, s2, s62
	s_ashr_i32 s3, s2, 31
	s_waitcnt lgkmcnt(0)
	s_mul_i32 s10, s44, s3
	s_mul_hi_u32 s33, s44, s2
	s_add_i32 s10, s33, s10
	s_mul_i32 s33, s45, s2
	s_add_i32 s65, s10, s33
	s_mul_i32 s3, s60, s3
	s_mul_hi_u32 s10, s60, s2
	s_add_i32 s3, s10, s3
	s_mul_i32 s10, s61, s2
	s_add_i32 s3, s3, s10
	s_ashr_i32 s10, s9, 31
	s_mul_i32 s10, s30, s10
	s_mul_hi_u32 s33, s30, s9
	s_mul_i32 s66, s44, s2
	s_mul_i32 s2, s60, s2
	s_add_i32 s10, s33, s10
	s_mul_i32 s31, s31, s9
	s_add_i32 s31, s10, s31
	s_lshl_b64 s[2:3], s[2:3], 2
	s_mul_i32 s30, s30, s9
	s_add_u32 s10, s34, s2
	s_addc_u32 s33, s35, s3
	s_lshl_b64 s[2:3], s[30:31], 2
	s_add_u32 s2, s10, s2
	s_addc_u32 s3, s33, s3
	s_cmp_lt_i32 s17, 1
	s_mul_i32 s9, s9, s11
	s_cselect_b64 s[10:11], -1, 0
	s_sub_i32 s9, s9, s15
	s_cmp_gt_i32 s18, 0
	s_cselect_b64 s[30:31], -1, 0
	s_cmp_gt_i32 s8, 0
	s_cselect_b64 s[34:35], -1, 0
	s_abs_i32 s15, s6
	v_cmp_neq_f64_e64 s[60:61], s[24:25], 1.0
	v_cmp_neq_f64_e64 s[62:63], s[26:27], 0
	v_cvt_f32_u32_e32 v1, s15
	s_or_b64 s[60:61], s[60:61], s[62:63]
	s_abs_i32 s62, s7
	v_cvt_f32_u32_e32 v2, s62
	v_rcp_iflag_f32_e32 v1, v1
	s_load_dword s0, s[0:1], 0xec
	s_ashr_i32 s63, s6, 31
	v_rcp_iflag_f32_e32 v2, v2
	v_mul_f32_e32 v1, 0x4f7ffffe, v1
	v_cvt_u32_f32_e32 v1, v1
	s_waitcnt lgkmcnt(0)
	s_and_b32 s33, s0, 0xffff
	v_mul_f32_e32 v2, 0x4f7ffffe, v2
	v_cvt_u32_f32_e32 v2, v2
	s_sub_i32 s0, 0, s15
	v_mul_lo_u32 v3, s0, v1
	v_mul_hi_u32 v3, v1, v3
	s_sub_i32 s0, 0, s62
	v_add_u32_e32 v21, v1, v3
	s_ashr_i32 s64, s7, 31
	v_mul_lo_u32 v1, s0, v2
	v_mul_hi_u32 v1, v2, v1
	s_add_u32 s20, s20, s66
	s_mov_b64 s[44:45], 0
	v_cvt_i32_f64_e32 v5, s[24:25]
	v_cvt_i32_f64_e32 v20, s[26:27]
	v_add_u32_e32 v22, v2, v1
	s_addc_u32 s21, s21, s65
	s_branch .LBB27_3
.LBB27_2:                               ;   in Loop: Header=BB27_3 Depth=1
	v_cvt_f32_i32_e32 v1, v6
	v_add_u32_e32 v0, s33, v0
	v_cmp_le_i32_e32 vcc, s19, v0
	s_or_b64 s[44:45], vcc, s[44:45]
	global_store_dword v[2:3], v1, off
	s_andn2_b64 exec, exec, s[44:45]
	s_cbranch_execz .LBB27_18
.LBB27_3:                               ; =>This Loop Header: Depth=1
                                        ;     Child Loop BB27_8 Depth 2
                                        ;       Child Loop BB27_11 Depth 3
                                        ;         Child Loop BB27_14 Depth 4
	v_sub_u32_e32 v2, 0, v0
	v_max_i32_e32 v2, v0, v2
	v_mul_hi_u32 v3, v2, v21
	v_mul_lo_u32 v4, v3, s15
	v_sub_u32_e32 v2, v2, v4
	v_add_u32_e32 v4, 1, v3
	v_cmp_le_u32_e32 vcc, s15, v2
	v_ashrrev_i32_e32 v1, 31, v0
	v_xor_b32_e32 v1, s63, v1
	v_cndmask_b32_e32 v3, v3, v4, vcc
	v_subrev_u32_e32 v4, s15, v2
	v_cndmask_b32_e32 v2, v2, v4, vcc
	v_add_u32_e32 v4, 1, v3
	v_cmp_le_u32_e32 vcc, s15, v2
	s_nop 1
	v_cndmask_b32_e32 v2, v3, v4, vcc
	v_xor_b32_e32 v2, v2, v1
	v_sub_u32_e32 v7, v2, v1
	v_mul_lo_u32 v1, v7, s6
	v_sub_u32_e32 v8, v0, v1
	v_sub_u32_e32 v2, 0, v8
	v_max_i32_e32 v2, v8, v2
	v_mul_hi_u32 v3, v2, v22
	v_mul_lo_u32 v4, v3, s62
	v_sub_u32_e32 v2, v2, v4
	v_add_u32_e32 v4, 1, v3
	v_cmp_le_u32_e32 vcc, s62, v2
	v_ashrrev_i32_e32 v9, 31, v8
	v_xor_b32_e32 v1, s64, v9
	v_cndmask_b32_e32 v3, v3, v4, vcc
	v_subrev_u32_e32 v4, s62, v2
	v_cndmask_b32_e32 v2, v2, v4, vcc
	v_add_u32_e32 v4, 1, v3
	v_cmp_le_u32_e32 vcc, s62, v2
	s_nop 1
	v_cndmask_b32_e32 v2, v3, v4, vcc
	v_xor_b32_e32 v2, v2, v1
	v_sub_u32_e32 v4, v2, v1
	v_mul_lo_u32 v10, v4, s7
	v_sub_u32_e32 v2, v8, v10
	s_andn2_b64 vcc, exec, s[10:11]
	v_ashrrev_i32_e32 v3, 31, v4
	v_ashrrev_i32_e32 v1, 31, v2
	s_cbranch_vccnz .LBB27_5
; %bb.4:                                ;   in Loop: Header=BB27_3 Depth=1
	s_mov_b32 s24, 0
	v_mov_b32_e32 v6, s24
	s_cbranch_execz .LBB27_6
	s_branch .LBB27_16
.LBB27_5:                               ;   in Loop: Header=BB27_3 Depth=1
                                        ; implicit-def: $sgpr24
	v_mov_b32_e32 v6, s24
.LBB27_6:                               ;   in Loop: Header=BB27_3 Depth=1
	v_mul_lo_u32 v6, v7, s12
	v_subrev_u32_e32 v23, s16, v6
	v_mul_lo_u32 v6, s55, v4
	v_mul_lo_u32 v11, s54, v3
	v_mad_u64_u32 v[12:13], s[0:1], s54, v4, 0
	v_add3_u32 v13, v13, v11, v6
	v_ashrrev_i32_e32 v6, 31, v10
	v_sub_co_u32_e32 v10, vcc, v8, v10
	s_mov_b32 s65, 0
	s_nop 0
	v_subb_co_u32_e32 v6, vcc, v9, v6, vcc
	v_mad_u64_u32 v[8:9], s[0:1], s52, v10, v[12:13]
	v_mul_lo_u32 v6, s52, v6
	v_mul_lo_u32 v10, s53, v10
	v_add3_u32 v9, v10, v9, v6
	v_mov_b64_e32 v[10:11], s[20:21]
	v_mad_u64_u32 v[10:11], s[0:1], s38, v4, v[10:11]
	v_mul_lo_u32 v6, s39, v4
	v_mul_lo_u32 v12, s38, v3
	v_lshl_add_u64 v[8:9], s[22:23], 0, v[8:9]
	v_add3_u32 v11, v6, v11, v12
	v_mov_b32_e32 v6, 0
	s_mov_b32 s66, s9
	s_branch .LBB27_8
.LBB27_7:                               ;   in Loop: Header=BB27_8 Depth=2
	s_add_i32 s65, s65, 1
	s_add_i32 s66, s66, s13
	s_cmp_eq_u32 s65, s17
	v_lshl_add_u64 v[8:9], v[8:9], 0, s[50:51]
	s_cbranch_scc1 .LBB27_16
.LBB27_8:                               ;   Parent Loop BB27_3 Depth=1
                                        ; =>  This Loop Header: Depth=2
                                        ;       Child Loop BB27_11 Depth 3
                                        ;         Child Loop BB27_14 Depth 4
	s_andn2_b64 vcc, exec, s[30:31]
	s_cbranch_vccnz .LBB27_7
; %bb.9:                                ;   in Loop: Header=BB27_8 Depth=2
	s_mul_i32 s0, s65, s13
	s_add_i32 s24, s0, s9
	s_cmp_lt_i32 s24, 0
	s_cselect_b64 s[0:1], -1, 0
	s_cmp_ge_i32 s24, s4
	s_cselect_b64 s[24:25], -1, 0
	v_mov_b32_e32 v12, s66
	s_or_b64 s[24:25], s[0:1], s[24:25]
	v_mad_u64_u32 v[12:13], s[0:1], s42, v12, v[10:11]
	s_mul_i32 s0, s43, s66
	s_mov_b32 s67, 0
	v_add_u32_e32 v13, s0, v13
	v_mov_b32_e32 v24, v23
	v_mov_b64_e32 v[14:15], v[8:9]
	s_branch .LBB27_11
.LBB27_10:                              ;   in Loop: Header=BB27_11 Depth=3
	s_add_i32 s67, s67, 1
	v_lshl_add_u64 v[14:15], v[14:15], 0, s[48:49]
	s_cmp_eq_u32 s67, s18
	v_add_u32_e32 v24, s14, v24
	s_cbranch_scc1 .LBB27_7
.LBB27_11:                              ;   Parent Loop BB27_3 Depth=1
                                        ;     Parent Loop BB27_8 Depth=2
                                        ; =>    This Loop Header: Depth=3
                                        ;         Child Loop BB27_14 Depth 4
	s_andn2_b64 vcc, exec, s[34:35]
	s_cbranch_vccnz .LBB27_10
; %bb.12:                               ;   in Loop: Header=BB27_11 Depth=3
	v_mad_u64_u32 v[16:17], s[0:1], s40, v24, v[12:13]
	v_mov_b32_e32 v18, v17
	v_mad_u64_u32 v[18:19], s[0:1], s41, v24, v[18:19]
	s_mul_i32 s0, s67, s14
	v_mov_b32_e32 v17, v18
	v_add_u32_e32 v18, s0, v23
	v_cmp_gt_i32_e32 vcc, 0, v18
	v_cmp_le_i32_e64 s[0:1], s5, v18
	s_or_b64 s[0:1], vcc, s[0:1]
	s_or_b64 s[0:1], s[24:25], s[0:1]
	s_xor_b64 s[0:1], s[0:1], -1
	v_mov_b64_e32 v[18:19], v[14:15]
	s_mov_b32 s68, s8
	s_branch .LBB27_14
.LBB27_13:                              ;   in Loop: Header=BB27_14 Depth=4
	s_or_b64 exec, exec, s[26:27]
	s_add_i32 s68, s68, -1
	v_lshl_add_u64 v[18:19], v[18:19], 0, s[46:47]
	s_cmp_eq_u32 s68, 0
	v_lshl_add_u64 v[16:17], v[16:17], 0, s[36:37]
	s_cbranch_scc1 .LBB27_10
.LBB27_14:                              ;   Parent Loop BB27_3 Depth=1
                                        ;     Parent Loop BB27_8 Depth=2
                                        ;       Parent Loop BB27_11 Depth=3
                                        ; =>      This Inner Loop Header: Depth=4
	s_and_saveexec_b64 s[26:27], s[0:1]
	s_cbranch_execz .LBB27_13
; %bb.15:                               ;   in Loop: Header=BB27_14 Depth=4
	global_load_sbyte v25, v[16:17], off
	global_load_sbyte v26, v[18:19], off
	s_waitcnt vmcnt(0)
	v_mad_i32_i24 v6, v26, v25, v6
	s_branch .LBB27_13
.LBB27_16:                              ;   in Loop: Header=BB27_3 Depth=1
	v_ashrrev_i32_e32 v8, 31, v7
	v_mul_lo_u32 v10, s29, v7
	v_mul_lo_u32 v11, s28, v8
	v_mad_u64_u32 v[8:9], s[0:1], s28, v7, 0
	v_add3_u32 v9, v9, v11, v10
	v_mul_lo_u32 v3, v3, s58
	v_mul_lo_u32 v7, v4, s59
	v_mad_u64_u32 v[10:11], s[0:1], v4, s58, 0
	v_add3_u32 v11, v11, v7, v3
	v_mul_lo_u32 v1, v1, s56
	v_mul_lo_u32 v4, v2, s57
	v_mad_u64_u32 v[2:3], s[0:1], v2, s56, 0
	v_lshl_add_u64 v[10:11], v[10:11], 2, s[2:3]
	v_add3_u32 v3, v3, v4, v1
	v_lshl_add_u64 v[8:9], v[8:9], 2, v[10:11]
	s_andn2_b64 vcc, exec, s[60:61]
	v_lshl_add_u64 v[2:3], v[2:3], 2, v[8:9]
	s_cbranch_vccnz .LBB27_2
; %bb.17:                               ;   in Loop: Header=BB27_3 Depth=1
	global_load_dword v1, v[2:3], off
	v_mul_lo_u32 v4, v6, v5
	s_waitcnt vmcnt(0)
	v_cvt_i32_f32_e32 v1, v1
	v_mad_u64_u32 v[6:7], s[0:1], v1, v20, v[4:5]
	s_branch .LBB27_2
.LBB27_18:
	s_endpgm
	.section	.rodata,"a",@progbits
	.p2align	6, 0x0
	.amdhsa_kernel naive_conv_ab_nonpacked_fwd_nhwc_int8_t_int32_t_float_0
		.amdhsa_group_segment_fixed_size 0
		.amdhsa_private_segment_fixed_size 0
		.amdhsa_kernarg_size 480
		.amdhsa_user_sgpr_count 2
		.amdhsa_user_sgpr_dispatch_ptr 0
		.amdhsa_user_sgpr_queue_ptr 0
		.amdhsa_user_sgpr_kernarg_segment_ptr 1
		.amdhsa_user_sgpr_dispatch_id 0
		.amdhsa_user_sgpr_kernarg_preload_length 0
		.amdhsa_user_sgpr_kernarg_preload_offset 0
		.amdhsa_user_sgpr_private_segment_size 0
		.amdhsa_uses_dynamic_stack 0
		.amdhsa_enable_private_segment 0
		.amdhsa_system_sgpr_workgroup_id_x 1
		.amdhsa_system_sgpr_workgroup_id_y 0
		.amdhsa_system_sgpr_workgroup_id_z 0
		.amdhsa_system_sgpr_workgroup_info 0
		.amdhsa_system_vgpr_workitem_id 0
		.amdhsa_next_free_vgpr 27
		.amdhsa_next_free_sgpr 69
		.amdhsa_accum_offset 28
		.amdhsa_reserve_vcc 1
		.amdhsa_float_round_mode_32 0
		.amdhsa_float_round_mode_16_64 0
		.amdhsa_float_denorm_mode_32 3
		.amdhsa_float_denorm_mode_16_64 3
		.amdhsa_dx10_clamp 1
		.amdhsa_ieee_mode 1
		.amdhsa_fp16_overflow 0
		.amdhsa_tg_split 0
		.amdhsa_exception_fp_ieee_invalid_op 0
		.amdhsa_exception_fp_denorm_src 0
		.amdhsa_exception_fp_ieee_div_zero 0
		.amdhsa_exception_fp_ieee_overflow 0
		.amdhsa_exception_fp_ieee_underflow 0
		.amdhsa_exception_fp_ieee_inexact 0
		.amdhsa_exception_int_div_zero 0
	.end_amdhsa_kernel
	.text
.Lfunc_end27:
	.size	naive_conv_ab_nonpacked_fwd_nhwc_int8_t_int32_t_float_0, .Lfunc_end27-naive_conv_ab_nonpacked_fwd_nhwc_int8_t_int32_t_float_0
                                        ; -- End function
	.section	.AMDGPU.csdata,"",@progbits
; Kernel info:
; codeLenInByte = 1460
; NumSgprs: 75
; NumVgprs: 27
; NumAgprs: 0
; TotalNumVgprs: 27
; ScratchSize: 0
; MemoryBound: 0
; FloatMode: 240
; IeeeMode: 1
; LDSByteSize: 0 bytes/workgroup (compile time only)
; SGPRBlocks: 9
; VGPRBlocks: 3
; NumSGPRsForWavesPerEU: 75
; NumVGPRsForWavesPerEU: 27
; AccumOffset: 28
; Occupancy: 8
; WaveLimiterHint : 0
; COMPUTE_PGM_RSRC2:SCRATCH_EN: 0
; COMPUTE_PGM_RSRC2:USER_SGPR: 2
; COMPUTE_PGM_RSRC2:TRAP_HANDLER: 0
; COMPUTE_PGM_RSRC2:TGID_X_EN: 1
; COMPUTE_PGM_RSRC2:TGID_Y_EN: 0
; COMPUTE_PGM_RSRC2:TGID_Z_EN: 0
; COMPUTE_PGM_RSRC2:TIDIG_COMP_CNT: 0
; COMPUTE_PGM_RSRC3_GFX90A:ACCUM_OFFSET: 6
; COMPUTE_PGM_RSRC3_GFX90A:TG_SPLIT: 0
	.text
	.protected	naive_conv_ab_packed_bwd_nchw_float_double_float_0 ; -- Begin function naive_conv_ab_packed_bwd_nchw_float_double_float_0
	.globl	naive_conv_ab_packed_bwd_nchw_float_double_float_0
	.p2align	8
	.type	naive_conv_ab_packed_bwd_nchw_float_double_float_0,@function
naive_conv_ab_packed_bwd_nchw_float_double_float_0: ; @naive_conv_ab_packed_bwd_nchw_float_double_float_0
; %bb.0:
	s_load_dwordx16 s[4:19], s[0:1], 0xa0
	s_abs_i32 s3, s2
	s_waitcnt lgkmcnt(0)
	s_abs_i32 s20, s8
	v_cvt_f32_u32_e32 v1, s20
	s_sub_i32 s21, 0, s20
	s_mul_i32 s30, s8, s6
	v_rcp_iflag_f32_e32 v1, v1
	s_nop 0
	v_mul_f32_e32 v1, 0x4f7ffffe, v1
	v_cvt_u32_f32_e32 v1, v1
	s_nop 0
	v_readfirstlane_b32 s22, v1
	s_mul_i32 s21, s21, s22
	s_mul_hi_u32 s21, s22, s21
	s_add_i32 s22, s22, s21
	s_mul_hi_u32 s21, s3, s22
	s_mul_i32 s22, s21, s20
	s_sub_i32 s22, s3, s22
	s_add_i32 s23, s21, 1
	s_sub_i32 s24, s22, s20
	s_cmp_ge_u32 s22, s20
	s_cselect_b32 s21, s23, s21
	s_cselect_b32 s22, s24, s22
	s_add_i32 s23, s21, 1
	s_cmp_ge_u32 s22, s20
	s_cselect_b32 s31, s23, s21
	s_abs_i32 s29, s6
	s_abs_i32 s28, s30
	v_cvt_f32_u32_e32 v1, s29
	v_cvt_f32_u32_e32 v2, s28
	s_mul_i32 s6, s5, s4
	v_cmp_gt_i32_e32 vcc, s6, v0
	v_rcp_iflag_f32_e32 v1, v1
	v_rcp_iflag_f32_e32 v2, v2
	v_mul_f32_e32 v1, 0x4f7ffffe, v1
	v_mul_f32_e32 v2, 0x4f7ffffe, v2
	v_cvt_u32_f32_e32 v1, v1
	v_cvt_u32_f32_e32 v2, v2
	v_readfirstlane_b32 s34, v1
	v_readfirstlane_b32 s33, v2
	s_and_saveexec_b64 s[20:21], vcc
	s_cbranch_execz .LBB28_29
; %bb.1:
	s_ashr_i32 s35, s2, 31
	s_ashr_i32 s36, s8, 31
	s_xor_b32 s37, s35, s36
	s_sub_i32 s39, 0, s29
	s_xor_b32 s31, s31, s37
	s_mul_i32 s39, s39, s34
	s_sub_i32 s31, s31, s37
	s_mul_hi_u32 s39, s34, s39
	s_abs_i32 s38, s31
	s_add_i32 s34, s34, s39
	s_mul_hi_u32 s34, s38, s34
	s_sub_i32 s39, 0, s28
	s_ashr_i32 s37, s31, 31
	s_mul_i32 s39, s39, s33
	s_mul_i32 s31, s31, s8
	;; [unrolled: 1-line block ×3, first 2 shown]
	s_mul_hi_u32 s39, s33, s39
	s_sub_i32 s40, s2, s31
	s_sub_i32 s2, s38, s34
	s_ashr_i32 s30, s30, 31
	s_add_i32 s33, s33, s39
	s_sub_i32 s31, s2, s29
	s_cmp_ge_u32 s2, s29
	s_cselect_b32 s2, s31, s2
	s_sub_i32 s31, s2, s29
	s_cmp_ge_u32 s2, s29
	s_cselect_b32 s2, s31, s2
	s_mul_hi_u32 s33, s3, s33
	s_xor_b32 s2, s2, s37
	s_sub_i32 s29, s2, s37
	s_xor_b32 s2, s35, s30
	s_mul_i32 s30, s33, s28
	s_sub_i32 s3, s3, s30
	s_add_i32 s30, s33, 1
	s_sub_i32 s31, s3, s28
	s_cmp_ge_u32 s3, s28
	s_cselect_b32 s30, s30, s33
	s_cselect_b32 s3, s31, s3
	s_add_i32 s31, s30, 1
	s_cmp_ge_u32 s3, s28
	s_cselect_b32 s3, s31, s30
	s_mul_i32 s39, s19, s7
	s_mul_i32 s19, s19, s8
	s_xor_b32 s3, s3, s2
	s_sub_i32 s28, s3, s2
	s_mul_i32 s3, s29, s19
	s_ashr_i32 s33, s5, 31
	s_ashr_i32 s37, s40, 31
	s_mul_hi_i32 s2, s29, s19
	s_add_u32 s3, s3, s40
	s_mul_i32 s30, s28, s8
	s_addc_u32 s2, s2, s37
	s_mul_hi_i32 s19, s28, s8
	s_add_u32 s30, s3, s30
	s_load_dwordx8 s[20:27], s[0:1], 0x0
	s_addc_u32 s2, s2, s19
	s_mul_hi_i32 s3, s5, s4
	s_mul_i32 s2, s6, s2
	s_mul_hi_u32 s4, s6, s30
	s_add_i32 s2, s4, s2
	s_mul_i32 s3, s3, s30
	s_add_i32 s3, s2, s3
	s_mul_i32 s2, s6, s30
	s_lshl_b64 s[2:3], s[2:3], 2
	s_waitcnt lgkmcnt(0)
	s_add_u32 s2, s20, s2
	s_mul_i32 s20, s28, s7
	s_addc_u32 s3, s21, s3
	s_mul_hi_i32 s4, s28, s7
	s_mul_i32 s19, s20, s36
	s_mul_hi_u32 s21, s20, s8
	s_add_i32 s19, s21, s19
	s_mul_i32 s21, s4, s8
	s_add_i32 s41, s19, s21
	s_ashr_i32 s19, s18, 31
	s_mul_hi_i32 s21, s29, s39
	s_mul_i32 s29, s29, s39
	s_ashr_i32 s50, s9, 31
	s_ashr_i32 s52, s10, 31
	s_add_u32 s28, s20, s29
	s_mul_i32 s42, s20, s8
	s_mov_b32 s51, s9
	s_addc_u32 s4, s4, s21
	s_mul_hi_i32 s20, s10, s9
	s_mul_i32 s9, s10, s9
	s_mul_i32 s4, s9, s4
	s_mul_hi_u32 s21, s9, s28
	s_add_i32 s4, s21, s4
	s_mul_i32 s29, s20, s28
	s_load_dwordx2 s[20:21], s[0:1], 0x20
	s_add_i32 s29, s4, s29
	s_mul_i32 s28, s9, s28
	s_load_dword s9, s[0:1], 0xec
	s_lshl_b64 s[28:29], s[28:29], 2
	s_waitcnt lgkmcnt(0)
	s_add_u32 s0, s20, s28
	s_addc_u32 s1, s21, s29
	s_cmp_gt_i32 s7, 0
	s_cselect_b64 s[20:21], -1, 0
	s_cmp_gt_i32 s17, 0
	s_cselect_b64 s[28:29], -1, 0
	;; [unrolled: 2-line block ×3, first 2 shown]
	s_abs_i32 s53, s5
	v_cvt_f32_u32_e32 v1, s53
	s_and_b32 s55, s9, 0xffff
	s_abs_i32 s56, s11
	s_sub_i32 s9, 0, s53
	v_rcp_iflag_f32_e32 v1, v1
	v_cvt_f32_u32_e32 v2, s56
	s_abs_i32 s57, s12
	v_cmp_neq_f64_e64 s[34:35], s[24:25], 1.0
	v_mul_f32_e32 v1, 0x4f7ffffe, v1
	v_cvt_u32_f32_e32 v1, v1
	v_rcp_iflag_f32_e32 v2, v2
	v_cmp_neq_f64_e64 s[38:39], s[26:27], 0
	s_or_b64 s[34:35], s[34:35], s[38:39]
	v_mul_lo_u32 v3, s9, v1
	v_mul_hi_u32 v3, v1, v3
	v_add_u32_e32 v1, v1, v3
	v_cvt_f32_u32_e32 v3, s57
	v_mul_f32_e32 v2, 0x4f7ffffe, v2
	v_cvt_u32_f32_e32 v2, v2
	s_sub_i32 s9, 0, s56
	v_rcp_iflag_f32_e32 v3, v3
	s_ashr_i32 s58, s11, 31
	v_mul_lo_u32 v4, s9, v2
	v_mul_hi_u32 v4, v2, v4
	v_mul_f32_e32 v3, 0x4f7ffffe, v3
	v_cvt_u32_f32_e32 v3, v3
	s_ashr_i32 s12, s12, 31
	s_sub_i32 s9, 0, s57
	v_add_u32_e32 v10, v2, v4
	v_mul_lo_u32 v2, s9, v3
	s_add_u32 s9, s42, s40
	s_mov_b32 s54, s10
	s_addc_u32 s10, s41, s37
	s_mul_i32 s37, s18, s17
	s_mov_b32 s49, s17
	s_mul_i32 s10, s37, s10
	s_mul_hi_u32 s11, s37, s9
	s_mul_hi_i32 s17, s18, s17
	s_add_i32 s10, s11, s10
	s_mul_i32 s11, s17, s9
	s_add_i32 s11, s10, s11
	s_mul_i32 s10, s37, s9
	s_lshl_b64 s[10:11], s[10:11], 2
	s_add_u32 s10, s22, s10
	s_mul_i32 s9, s37, s36
	s_mul_hi_u32 s22, s37, s8
	s_addc_u32 s11, s23, s11
	s_add_i32 s9, s22, s9
	s_mul_i32 s17, s17, s8
	v_mul_hi_u32 v2, v3, v2
	s_add_i32 s9, s9, s17
	s_mul_i32 s8, s37, s8
	s_mov_b32 s48, s5
	s_mov_b64 s[4:5], 0
	v_add_u32_e32 v11, v3, v2
	s_lshl_b64 s[8:9], s[8:9], 2
	s_lshl_b64 s[22:23], s[18:19], 2
	s_branch .LBB28_3
.LBB28_2:                               ;   in Loop: Header=BB28_3 Depth=1
	v_add_u32_e32 v0, s55, v0
	v_cmp_le_i32_e32 vcc, s6, v0
	v_cvt_f32_f64_e32 v2, v[2:3]
	s_or_b64 s[4:5], vcc, s[4:5]
	global_store_dword v[4:5], v2, off
	s_andn2_b64 exec, exec, s[4:5]
	s_cbranch_execz .LBB28_29
.LBB28_3:                               ; =>This Loop Header: Depth=1
                                        ;     Child Loop BB28_6 Depth 2
                                        ;       Child Loop BB28_9 Depth 3
                                        ;         Child Loop BB28_18 Depth 4
	v_sub_u32_e32 v3, 0, v0
	v_max_i32_e32 v3, v0, v3
	v_mul_hi_u32 v4, v3, v1
	v_mul_lo_u32 v5, v4, s53
	v_sub_u32_e32 v3, v3, v5
	v_add_u32_e32 v5, 1, v4
	v_cmp_le_u32_e32 vcc, s53, v3
	v_ashrrev_i32_e32 v2, 31, v0
	v_xor_b32_e32 v2, s33, v2
	v_cndmask_b32_e32 v4, v4, v5, vcc
	v_subrev_u32_e32 v5, s53, v3
	v_cndmask_b32_e32 v3, v3, v5, vcc
	v_add_u32_e32 v5, 1, v4
	v_cmp_le_u32_e32 vcc, s53, v3
	s_nop 1
	v_cndmask_b32_e32 v3, v4, v5, vcc
	v_xor_b32_e32 v3, v3, v2
	v_sub_u32_e32 v5, v3, v2
	v_mul_lo_u32 v2, v5, s48
	s_andn2_b64 vcc, exec, s[20:21]
	v_sub_u32_e32 v4, v0, v2
	s_cbranch_vccnz .LBB28_26
; %bb.4:                                ;   in Loop: Header=BB28_3 Depth=1
	v_add_u32_e32 v12, s15, v5
	v_add_u32_e32 v13, s16, v4
	s_mov_b32 s17, 0
	v_mov_b64_e32 v[2:3], 0
	s_mov_b64 s[36:37], s[10:11]
	s_branch .LBB28_6
.LBB28_5:                               ;   in Loop: Header=BB28_6 Depth=2
	s_add_i32 s17, s17, 1
	s_add_u32 s36, s36, s8
	s_addc_u32 s37, s37, s9
	s_cmp_eq_u32 s17, s7
	s_cbranch_scc1 .LBB28_27
.LBB28_6:                               ;   Parent Loop BB28_3 Depth=1
                                        ; =>  This Loop Header: Depth=2
                                        ;       Child Loop BB28_9 Depth 3
                                        ;         Child Loop BB28_18 Depth 4
	s_andn2_b64 vcc, exec, s[28:29]
	s_cbranch_vccnz .LBB28_5
; %bb.7:                                ;   in Loop: Header=BB28_6 Depth=2
	s_mul_i32 s19, s17, s50
	s_mul_hi_u32 s38, s17, s51
	s_add_i32 s39, s38, s19
	s_mul_i32 s38, s17, s51
	s_mov_b32 s19, 0
	s_mov_b64 s[40:41], s[36:37]
	s_branch .LBB28_9
.LBB28_8:                               ;   in Loop: Header=BB28_9 Depth=3
	s_add_i32 s19, s19, 1
	s_add_u32 s40, s40, s22
	s_addc_u32 s41, s41, s23
	s_cmp_eq_u32 s19, s49
	s_cbranch_scc1 .LBB28_5
.LBB28_9:                               ;   Parent Loop BB28_3 Depth=1
                                        ;     Parent Loop BB28_6 Depth=2
                                        ; =>    This Loop Header: Depth=3
                                        ;         Child Loop BB28_18 Depth 4
	s_mul_i32 s42, s19, s13
	v_subrev_u32_e32 v14, s42, v12
	v_cmp_lt_i32_e32 vcc, -1, v14
	s_mov_b64 s[42:43], 0
                                        ; implicit-def: $sgpr46
                                        ; implicit-def: $vgpr6
                                        ; implicit-def: $vgpr7
                                        ; implicit-def: $vgpr8
                                        ; implicit-def: $vgpr9
	s_and_saveexec_b64 s[44:45], vcc
	s_xor_b64 s[44:45], exec, s[44:45]
	s_cbranch_execnz .LBB28_13
; %bb.10:                               ;   in Loop: Header=BB28_9 Depth=3
	s_andn2_saveexec_b64 s[44:45], s[44:45]
	s_cbranch_execnz .LBB28_14
.LBB28_11:                              ;   in Loop: Header=BB28_9 Depth=3
	s_or_b64 exec, exec, s[44:45]
	v_mov_b32_e32 v14, s46
	s_and_saveexec_b64 s[44:45], s[42:43]
	s_cbranch_execnz .LBB28_15
.LBB28_12:                              ;   in Loop: Header=BB28_9 Depth=3
	s_or_b64 exec, exec, s[44:45]
	s_andn2_b64 vcc, exec, s[30:31]
	s_cbranch_vccz .LBB28_16
	s_branch .LBB28_8
.LBB28_13:                              ;   in Loop: Header=BB28_9 Depth=3
	v_sub_u32_e32 v7, 0, v14
	v_max_i32_e32 v8, v14, v7
	v_mul_hi_u32 v7, v8, v10
	v_mul_lo_u32 v9, v7, s56
	v_sub_u32_e32 v8, v8, v9
	v_subrev_u32_e32 v9, s56, v8
	v_cmp_le_u32_e32 vcc, s56, v8
	v_ashrrev_i32_e32 v6, 31, v14
	s_mov_b32 s46, 1
	v_cndmask_b32_e32 v14, v8, v9, vcc
	v_subrev_u32_e32 v15, s56, v14
	v_cmp_le_u32_e32 vcc, s56, v14
	s_nop 1
	v_cndmask_b32_e32 v14, v14, v15, vcc
	v_xor_b32_e32 v14, v14, v6
	v_sub_u32_e32 v14, v14, v6
	v_cmp_ne_u32_e32 vcc, 0, v14
	s_and_b64 s[42:43], vcc, exec
                                        ; implicit-def: $vgpr14
	s_andn2_saveexec_b64 s[44:45], s[44:45]
	s_cbranch_execz .LBB28_11
.LBB28_14:                              ;   in Loop: Header=BB28_9 Depth=3
	v_sub_u32_e32 v7, 0, v14
	v_max_i32_e32 v8, v14, v7
	v_mul_hi_u32 v7, v8, v10
	v_mul_lo_u32 v9, v7, s56
	v_sub_u32_e32 v8, v8, v9
	v_ashrrev_i32_e32 v6, 31, v14
	v_subrev_u32_e32 v9, s56, v8
	s_or_b64 s[42:43], s[42:43], exec
	s_or_b64 exec, exec, s[44:45]
	v_mov_b32_e32 v14, s46
	s_and_saveexec_b64 s[44:45], s[42:43]
	s_cbranch_execz .LBB28_12
.LBB28_15:                              ;   in Loop: Header=BB28_9 Depth=3
	v_mov_b32_e32 v14, 0
	s_or_b64 exec, exec, s[44:45]
	s_andn2_b64 vcc, exec, s[30:31]
	s_cbranch_vccnz .LBB28_8
.LBB28_16:                              ;   in Loop: Header=BB28_9 Depth=3
	v_add_u32_e32 v15, 1, v7
	v_cmp_le_u32_e32 vcc, s56, v8
	v_xor_b32_e32 v6, s58, v6
	s_mov_b32 s59, s18
	v_cndmask_b32_e32 v7, v7, v15, vcc
	v_cndmask_b32_e32 v8, v8, v9, vcc
	v_add_u32_e32 v9, 1, v7
	v_cmp_le_u32_e32 vcc, s56, v8
	v_mov_b32_e32 v15, v13
	s_nop 0
	v_cndmask_b32_e32 v7, v7, v9, vcc
	v_xor_b32_e32 v7, v7, v6
	v_sub_u32_e32 v6, v7, v6
	v_ashrrev_i32_e32 v7, 31, v6
	v_cmp_gt_i32_e32 vcc, s51, v6
	v_lshl_add_u64 v[6:7], s[38:39], 0, v[6:7]
	v_mul_lo_u32 v8, v7, s54
	v_mul_lo_u32 v9, v6, s52
	v_mad_u64_u32 v[6:7], s[42:43], v6, s54, 0
	v_add3_u32 v7, v7, v9, v8
	v_cndmask_b32_e32 v14, 0, v14, vcc
	v_lshl_add_u64 v[6:7], v[6:7], 2, s[0:1]
	s_mov_b64 s[42:43], s[40:41]
	s_branch .LBB28_18
.LBB28_17:                              ;   in Loop: Header=BB28_18 Depth=4
	s_or_b64 exec, exec, s[44:45]
	s_add_i32 s59, s59, -1
	s_add_u32 s42, s42, 4
	s_addc_u32 s43, s43, 0
	s_cmp_eq_u32 s59, 0
	v_subrev_u32_e32 v15, s14, v15
	s_cbranch_scc1 .LBB28_8
.LBB28_18:                              ;   Parent Loop BB28_3 Depth=1
                                        ;     Parent Loop BB28_6 Depth=2
                                        ;       Parent Loop BB28_9 Depth=3
                                        ; =>      This Inner Loop Header: Depth=4
	v_cmp_lt_i32_e32 vcc, -1, v15
	s_mov_b64 s[44:45], 0
	v_sub_u32_e32 v18, 0, v15
                                        ; implicit-def: $sgpr60
                                        ; implicit-def: $vgpr8
                                        ; implicit-def: $vgpr9
                                        ; implicit-def: $vgpr16
                                        ; implicit-def: $vgpr17
	s_and_saveexec_b64 s[46:47], vcc
	s_xor_b64 s[46:47], exec, s[46:47]
	s_cbranch_execnz .LBB28_24
; %bb.19:                               ;   in Loop: Header=BB28_18 Depth=4
	s_andn2_saveexec_b64 s[46:47], s[46:47]
	s_cbranch_execnz .LBB28_25
.LBB28_20:                              ;   in Loop: Header=BB28_18 Depth=4
	s_or_b64 exec, exec, s[46:47]
	v_mov_b32_e32 v18, s60
	s_and_saveexec_b64 s[46:47], s[44:45]
.LBB28_21:                              ;   in Loop: Header=BB28_18 Depth=4
	v_mov_b32_e32 v18, 0
.LBB28_22:                              ;   in Loop: Header=BB28_18 Depth=4
	s_or_b64 exec, exec, s[46:47]
	v_add_u32_e32 v19, 1, v9
	v_cmp_le_u32_e32 vcc, s57, v16
	v_xor_b32_e32 v8, s12, v8
	s_nop 0
	v_cndmask_b32_e32 v9, v9, v19, vcc
	v_cndmask_b32_e32 v16, v16, v17, vcc
	v_add_u32_e32 v17, 1, v9
	v_cmp_le_u32_e32 vcc, s57, v16
	s_nop 1
	v_cndmask_b32_e32 v9, v9, v17, vcc
	v_xor_b32_e32 v9, v9, v8
	v_sub_u32_e32 v8, v9, v8
	v_cmp_gt_i32_e32 vcc, s54, v8
	s_nop 1
	v_cndmask_b32_e32 v9, 0, v18, vcc
	v_and_b32_e32 v9, v9, v14
	v_cmp_ne_u32_e32 vcc, 0, v9
	s_and_saveexec_b64 s[44:45], vcc
	s_cbranch_execz .LBB28_17
; %bb.23:                               ;   in Loop: Header=BB28_18 Depth=4
	v_ashrrev_i32_e32 v9, 31, v8
	v_lshl_add_u64 v[8:9], v[8:9], 2, v[6:7]
	global_load_dword v8, v[8:9], off
	s_load_dword s46, s[42:43], 0x0
	s_waitcnt lgkmcnt(0)
	v_cvt_f64_f32_e32 v[16:17], s46
	s_waitcnt vmcnt(0)
	v_cvt_f64_f32_e32 v[8:9], v8
	v_fmac_f64_e32 v[2:3], v[8:9], v[16:17]
	s_branch .LBB28_17
.LBB28_24:                              ;   in Loop: Header=BB28_18 Depth=4
	v_max_i32_e32 v16, v15, v18
	v_mul_hi_u32 v9, v16, v11
	v_mul_lo_u32 v17, v9, s57
	v_sub_u32_e32 v16, v16, v17
	v_subrev_u32_e32 v17, s57, v16
	v_cmp_le_u32_e32 vcc, s57, v16
	v_ashrrev_i32_e32 v8, 31, v15
	s_mov_b32 s60, 1
	v_cndmask_b32_e32 v18, v16, v17, vcc
	v_subrev_u32_e32 v19, s57, v18
	v_cmp_le_u32_e32 vcc, s57, v18
	s_nop 1
	v_cndmask_b32_e32 v18, v18, v19, vcc
	v_xor_b32_e32 v18, v18, v8
	v_sub_u32_e32 v18, v18, v8
	v_cmp_ne_u32_e32 vcc, 0, v18
	s_and_b64 s[44:45], vcc, exec
                                        ; implicit-def: $vgpr18
	s_andn2_saveexec_b64 s[46:47], s[46:47]
	s_cbranch_execz .LBB28_20
.LBB28_25:                              ;   in Loop: Header=BB28_18 Depth=4
	v_max_i32_e32 v16, v15, v18
	v_mul_hi_u32 v9, v16, v11
	v_mul_lo_u32 v17, v9, s57
	v_sub_u32_e32 v16, v16, v17
	v_ashrrev_i32_e32 v8, 31, v15
	v_subrev_u32_e32 v17, s57, v16
	s_or_b64 s[44:45], s[44:45], exec
	s_or_b64 exec, exec, s[46:47]
	v_mov_b32_e32 v18, s60
	s_and_saveexec_b64 s[46:47], s[44:45]
	s_cbranch_execnz .LBB28_21
	s_branch .LBB28_22
.LBB28_26:                              ;   in Loop: Header=BB28_3 Depth=1
	v_mov_b64_e32 v[2:3], 0
.LBB28_27:                              ;   in Loop: Header=BB28_3 Depth=1
	v_mad_i64_i32 v[6:7], s[36:37], v5, s48, 0
	v_ashrrev_i32_e32 v5, 31, v4
	v_lshl_add_u64 v[6:7], v[6:7], 2, s[2:3]
	s_andn2_b64 vcc, exec, s[34:35]
	v_lshl_add_u64 v[4:5], v[4:5], 2, v[6:7]
	s_cbranch_vccnz .LBB28_2
; %bb.28:                               ;   in Loop: Header=BB28_3 Depth=1
	global_load_dword v6, v[4:5], off
	s_waitcnt vmcnt(0)
	v_cvt_f64_f32_e32 v[6:7], v6
	v_mul_f64 v[6:7], v[6:7], s[26:27]
	v_fmac_f64_e32 v[6:7], s[24:25], v[2:3]
	v_mov_b64_e32 v[2:3], v[6:7]
	s_branch .LBB28_2
.LBB28_29:
	s_endpgm
	.section	.rodata,"a",@progbits
	.p2align	6, 0x0
	.amdhsa_kernel naive_conv_ab_packed_bwd_nchw_float_double_float_0
		.amdhsa_group_segment_fixed_size 0
		.amdhsa_private_segment_fixed_size 0
		.amdhsa_kernarg_size 480
		.amdhsa_user_sgpr_count 2
		.amdhsa_user_sgpr_dispatch_ptr 0
		.amdhsa_user_sgpr_queue_ptr 0
		.amdhsa_user_sgpr_kernarg_segment_ptr 1
		.amdhsa_user_sgpr_dispatch_id 0
		.amdhsa_user_sgpr_kernarg_preload_length 0
		.amdhsa_user_sgpr_kernarg_preload_offset 0
		.amdhsa_user_sgpr_private_segment_size 0
		.amdhsa_uses_dynamic_stack 0
		.amdhsa_enable_private_segment 0
		.amdhsa_system_sgpr_workgroup_id_x 1
		.amdhsa_system_sgpr_workgroup_id_y 0
		.amdhsa_system_sgpr_workgroup_id_z 0
		.amdhsa_system_sgpr_workgroup_info 0
		.amdhsa_system_vgpr_workitem_id 0
		.amdhsa_next_free_vgpr 20
		.amdhsa_next_free_sgpr 61
		.amdhsa_accum_offset 20
		.amdhsa_reserve_vcc 1
		.amdhsa_float_round_mode_32 0
		.amdhsa_float_round_mode_16_64 0
		.amdhsa_float_denorm_mode_32 3
		.amdhsa_float_denorm_mode_16_64 3
		.amdhsa_dx10_clamp 1
		.amdhsa_ieee_mode 1
		.amdhsa_fp16_overflow 0
		.amdhsa_tg_split 0
		.amdhsa_exception_fp_ieee_invalid_op 0
		.amdhsa_exception_fp_denorm_src 0
		.amdhsa_exception_fp_ieee_div_zero 0
		.amdhsa_exception_fp_ieee_overflow 0
		.amdhsa_exception_fp_ieee_underflow 0
		.amdhsa_exception_fp_ieee_inexact 0
		.amdhsa_exception_int_div_zero 0
	.end_amdhsa_kernel
	.text
.Lfunc_end28:
	.size	naive_conv_ab_packed_bwd_nchw_float_double_float_0, .Lfunc_end28-naive_conv_ab_packed_bwd_nchw_float_double_float_0
                                        ; -- End function
	.section	.AMDGPU.csdata,"",@progbits
; Kernel info:
; codeLenInByte = 1904
; NumSgprs: 67
; NumVgprs: 20
; NumAgprs: 0
; TotalNumVgprs: 20
; ScratchSize: 0
; MemoryBound: 0
; FloatMode: 240
; IeeeMode: 1
; LDSByteSize: 0 bytes/workgroup (compile time only)
; SGPRBlocks: 8
; VGPRBlocks: 2
; NumSGPRsForWavesPerEU: 67
; NumVGPRsForWavesPerEU: 20
; AccumOffset: 20
; Occupancy: 8
; WaveLimiterHint : 0
; COMPUTE_PGM_RSRC2:SCRATCH_EN: 0
; COMPUTE_PGM_RSRC2:USER_SGPR: 2
; COMPUTE_PGM_RSRC2:TRAP_HANDLER: 0
; COMPUTE_PGM_RSRC2:TGID_X_EN: 1
; COMPUTE_PGM_RSRC2:TGID_Y_EN: 0
; COMPUTE_PGM_RSRC2:TGID_Z_EN: 0
; COMPUTE_PGM_RSRC2:TIDIG_COMP_CNT: 0
; COMPUTE_PGM_RSRC3_GFX90A:ACCUM_OFFSET: 4
; COMPUTE_PGM_RSRC3_GFX90A:TG_SPLIT: 0
	.text
	.protected	naive_conv_ab_nonpacked_bwd_nchw_float_double_float_0 ; -- Begin function naive_conv_ab_nonpacked_bwd_nchw_float_double_float_0
	.globl	naive_conv_ab_nonpacked_bwd_nchw_float_double_float_0
	.p2align	8
	.type	naive_conv_ab_nonpacked_bwd_nchw_float_double_float_0,@function
naive_conv_ab_nonpacked_bwd_nchw_float_double_float_0: ; @naive_conv_ab_nonpacked_bwd_nchw_float_double_float_0
; %bb.0:
	s_load_dwordx8 s[20:27], s[0:1], 0xa0
	s_abs_i32 s3, s2
	s_waitcnt lgkmcnt(0)
	s_abs_i32 s5, s24
	v_cvt_f32_u32_e32 v1, s5
	s_sub_i32 s6, 0, s5
	s_mul_i32 s4, s24, s22
	s_mul_i32 s20, s21, s20
	v_rcp_iflag_f32_e32 v1, v1
	v_cmp_gt_i32_e32 vcc, s20, v0
	v_mul_f32_e32 v1, 0x4f7ffffe, v1
	v_cvt_u32_f32_e32 v1, v1
	s_nop 0
	v_readfirstlane_b32 s7, v1
	s_mul_i32 s6, s6, s7
	s_mul_hi_u32 s6, s7, s6
	s_add_i32 s7, s7, s6
	s_mul_hi_u32 s6, s3, s7
	s_mul_i32 s7, s6, s5
	s_sub_i32 s7, s3, s7
	s_add_i32 s8, s6, 1
	s_sub_i32 s9, s7, s5
	s_cmp_ge_u32 s7, s5
	s_cselect_b32 s6, s8, s6
	s_cselect_b32 s7, s9, s7
	s_add_i32 s8, s6, 1
	s_cmp_ge_u32 s7, s5
	s_cselect_b32 s5, s8, s6
	s_abs_i32 s33, s22
	s_abs_i32 s22, s4
	v_cvt_f32_u32_e32 v1, s33
	v_cvt_f32_u32_e32 v2, s22
	v_rcp_iflag_f32_e32 v1, v1
	v_rcp_iflag_f32_e32 v2, v2
	v_mul_f32_e32 v1, 0x4f7ffffe, v1
	v_mul_f32_e32 v2, 0x4f7ffffe, v2
	v_cvt_u32_f32_e32 v1, v1
	v_cvt_u32_f32_e32 v2, v2
	v_readfirstlane_b32 s7, v1
	v_readfirstlane_b32 s6, v2
	s_and_saveexec_b64 s[8:9], vcc
	s_cbranch_execz .LBB29_29
; %bb.1:
	s_load_dwordx8 s[36:43], s[0:1], 0x0
	s_load_dwordx2 s[34:35], s[0:1], 0x20
	s_load_dwordx8 s[44:51], s[0:1], 0xc0
	s_waitcnt lgkmcnt(0)
	s_ashr_i32 s51, s2, 31
	s_ashr_i32 s8, s24, 31
	s_xor_b32 s8, s51, s8
	s_xor_b32 s5, s5, s8
	s_sub_i32 s62, s5, s8
	s_sub_i32 s5, 0, s33
	s_mul_i32 s5, s5, s7
	s_mul_hi_u32 s5, s7, s5
	s_abs_i32 s64, s62
	s_add_i32 s7, s7, s5
	s_mul_hi_u32 s65, s64, s7
	s_ashr_i32 s66, s4, 31
	s_sub_i32 s4, 0, s22
	s_ashr_i32 s63, s62, 31
	s_mul_i32 s4, s4, s6
	s_mul_i32 s62, s62, s24
	;; [unrolled: 1-line block ×3, first 2 shown]
	s_mul_hi_u32 s4, s6, s4
	s_sub_i32 s62, s2, s62
	s_sub_i32 s2, s64, s65
	s_add_i32 s6, s6, s4
	s_sub_i32 s24, s2, s33
	s_cmp_ge_u32 s2, s33
	s_cselect_b32 s2, s24, s2
	s_sub_i32 s24, s2, s33
	s_mul_hi_u32 s67, s3, s6
	s_cmp_ge_u32 s2, s33
	s_cselect_b32 s2, s24, s2
	s_mul_i32 s33, s67, s22
	s_xor_b32 s2, s2, s63
	s_sub_i32 s3, s3, s33
	s_sub_i32 s24, s2, s63
	s_xor_b32 s2, s51, s66
	s_add_i32 s33, s67, 1
	s_sub_i32 s51, s3, s22
	s_cmp_ge_u32 s3, s22
	s_cselect_b32 s33, s33, s67
	s_cselect_b32 s3, s51, s3
	s_add_i32 s51, s33, 1
	s_cmp_ge_u32 s3, s22
	s_load_dwordx16 s[4:19], s[0:1], 0x28
	s_load_dwordx2 s[60:61], s[0:1], 0x98
	s_load_dwordx4 s[28:31], s[0:1], 0x88
	s_load_dwordx8 s[52:59], s[0:1], 0x68
	s_cselect_b32 s3, s51, s33
	s_xor_b32 s3, s3, s2
	s_ashr_i32 s22, s24, 31
	s_sub_i32 s63, s3, s2
	s_waitcnt lgkmcnt(0)
	s_mul_i32 s2, s12, s22
	s_mul_hi_u32 s3, s12, s24
	s_add_i32 s2, s3, s2
	s_mul_i32 s3, s13, s24
	s_ashr_i32 s66, s63, 31
	s_add_i32 s3, s2, s3
	s_mul_i32 s2, s12, s24
	s_mul_i32 s12, s10, s66
	s_mul_hi_u32 s13, s10, s63
	s_add_i32 s12, s13, s12
	s_mul_i32 s11, s11, s63
	s_ashr_i32 s67, s62, 31
	s_add_i32 s11, s12, s11
	s_mul_i32 s12, s8, s67
	s_mul_hi_u32 s13, s8, s62
	s_add_i32 s12, s13, s12
	s_mul_i32 s9, s9, s62
	s_add_i32 s9, s12, s9
	s_lshl_b64 s[2:3], s[2:3], 2
	s_mul_i32 s10, s10, s63
	s_add_u32 s12, s36, s2
	s_addc_u32 s13, s37, s3
	s_lshl_b64 s[2:3], s[10:11], 2
	s_mul_i32 s8, s8, s62
	s_add_u32 s10, s12, s2
	s_addc_u32 s11, s13, s3
	s_lshl_b64 s[2:3], s[8:9], 2
	s_add_u32 s2, s10, s2
	s_mul_i32 s8, s60, s22
	s_mul_hi_u32 s9, s60, s24
	s_addc_u32 s3, s11, s3
	s_add_i32 s8, s9, s8
	s_mul_i32 s9, s61, s24
	s_mul_i32 s10, s30, s66
	s_mul_hi_u32 s11, s30, s63
	s_add_i32 s9, s8, s9
	s_mul_i32 s8, s60, s24
	s_add_i32 s10, s11, s10
	s_mul_i32 s11, s31, s63
	s_add_i32 s11, s10, s11
	s_lshl_b64 s[8:9], s[8:9], 2
	s_mul_i32 s10, s30, s63
	s_add_u32 s12, s34, s8
	s_addc_u32 s13, s35, s9
	s_lshl_b64 s[8:9], s[10:11], 2
	s_add_u32 s22, s12, s8
	s_addc_u32 s24, s13, s9
	s_cmp_gt_i32 s23, 0
	s_cselect_b64 s[8:9], -1, 0
	s_cmp_gt_i32 s49, 0
	s_cselect_b64 s[10:11], -1, 0
	s_cmp_gt_i32 s50, 0
	s_load_dword s33, s[0:1], 0xec
	s_cselect_b64 s[0:1], -1, 0
	v_cmp_neq_f64_e64 s[12:13], s[40:41], 1.0
	v_cmp_neq_f64_e64 s[30:31], s[42:43], 0
	s_abs_i32 s64, s21
	s_or_b64 s[12:13], s[12:13], s[30:31]
	s_ashr_i32 s65, s27, 31
	s_abs_i32 s27, s27
	s_mul_i32 s30, s18, s67
	s_mul_hi_u32 s31, s18, s62
	v_cvt_f32_u32_e32 v1, s64
	s_add_i32 s30, s31, s30
	s_mul_i32 s19, s19, s62
	v_cvt_f32_u32_e32 v2, s27
	s_add_i32 s19, s30, s19
	s_mul_i32 s30, s54, s66
	s_ashr_i32 s66, s44, 31
	s_abs_i32 s44, s44
	v_cvt_f32_u32_e32 v3, s44
	v_rcp_iflag_f32_e32 v1, v1
	v_rcp_iflag_f32_e32 v2, v2
	s_mul_hi_u32 s31, s54, s63
	v_rcp_iflag_f32_e32 v3, v3
	v_mul_f32_e32 v1, 0x4f7ffffe, v1
	v_cvt_u32_f32_e32 v1, v1
	v_mul_f32_e32 v2, 0x4f7ffffe, v2
	v_cvt_u32_f32_e32 v2, v2
	v_mul_f32_e32 v3, 0x4f7ffffe, v3
	s_sub_i32 s34, 0, s64
	s_add_i32 s30, s31, s30
	s_mul_i32 s31, s55, s63
	v_cvt_u32_f32_e32 v3, v3
	s_sub_i32 s35, 0, s27
	s_mul_i32 s18, s18, s62
	s_add_i32 s31, s30, s31
	s_mul_i32 s30, s54, s63
	v_mul_lo_u32 v4, s34, v1
	s_waitcnt lgkmcnt(0)
	s_and_b32 s33, s33, 0xffff
	s_ashr_i32 s51, s21, 31
	s_lshl_b64 s[18:19], s[18:19], 2
	s_lshl_b64 s[30:31], s[30:31], 2
	s_sub_i32 s36, 0, s44
	v_mul_lo_u32 v5, s35, v2
	v_mul_hi_u32 v4, v1, v4
	s_add_u32 s30, s18, s30
	v_add_u32_e32 v1, v1, v4
	v_mul_hi_u32 v4, v2, v5
	s_addc_u32 s31, s19, s31
	v_add_u32_e32 v6, v2, v4
	v_mul_lo_u32 v2, s36, v3
	v_mul_hi_u32 v2, v3, v2
	s_add_u32 s30, s38, s30
	s_mov_b64 s[18:19], 0
	v_add_u32_e32 v7, v3, v2
	s_addc_u32 s31, s39, s31
	s_lshl_b64 s[34:35], s[52:53], 2
	s_lshl_b64 s[16:17], s[16:17], 2
	;; [unrolled: 1-line block ×3, first 2 shown]
	s_branch .LBB29_3
.LBB29_2:                               ;   in Loop: Header=BB29_3 Depth=1
	v_add_u32_e32 v0, s33, v0
	v_cmp_le_i32_e32 vcc, s20, v0
	v_cvt_f32_f64_e32 v2, v[2:3]
	s_or_b64 s[18:19], vcc, s[18:19]
	global_store_dword v[4:5], v2, off
	s_andn2_b64 exec, exec, s[18:19]
	s_cbranch_execz .LBB29_29
.LBB29_3:                               ; =>This Loop Header: Depth=1
                                        ;     Child Loop BB29_6 Depth 2
                                        ;       Child Loop BB29_9 Depth 3
                                        ;         Child Loop BB29_18 Depth 4
	v_sub_u32_e32 v3, 0, v0
	v_max_i32_e32 v3, v0, v3
	v_mul_hi_u32 v4, v3, v1
	v_mul_lo_u32 v5, v4, s64
	v_sub_u32_e32 v3, v3, v5
	v_add_u32_e32 v5, 1, v4
	v_cmp_le_u32_e32 vcc, s64, v3
	v_ashrrev_i32_e32 v2, 31, v0
	v_xor_b32_e32 v2, s51, v2
	v_cndmask_b32_e32 v4, v4, v5, vcc
	v_subrev_u32_e32 v5, s64, v3
	v_cndmask_b32_e32 v3, v3, v5, vcc
	v_add_u32_e32 v5, 1, v4
	v_cmp_le_u32_e32 vcc, s64, v3
	s_nop 1
	v_cndmask_b32_e32 v3, v4, v5, vcc
	v_xor_b32_e32 v3, v3, v2
	v_sub_u32_e32 v9, v3, v2
	v_mul_lo_u32 v2, v9, s21
	s_andn2_b64 vcc, exec, s[8:9]
	v_sub_u32_e32 v8, v0, v2
	s_cbranch_vccnz .LBB29_26
; %bb.4:                                ;   in Loop: Header=BB29_3 Depth=1
	v_add_u32_e32 v10, s47, v9
	v_add_u32_e32 v11, s48, v8
	s_mov_b32 s67, 0
	v_mov_b64_e32 v[2:3], 0
	s_mov_b64 s[36:37], s[30:31]
	s_branch .LBB29_6
.LBB29_5:                               ;   in Loop: Header=BB29_6 Depth=2
	s_add_i32 s67, s67, 1
	s_add_u32 s36, s36, s34
	s_addc_u32 s37, s37, s35
	s_cmp_eq_u32 s67, s23
	s_cbranch_scc1 .LBB29_27
.LBB29_6:                               ;   Parent Loop BB29_3 Depth=1
                                        ; =>  This Loop Header: Depth=2
                                        ;       Child Loop BB29_9 Depth 3
                                        ;         Child Loop BB29_18 Depth 4
	s_andn2_b64 vcc, exec, s[10:11]
	s_cbranch_vccnz .LBB29_5
; %bb.7:                                ;   in Loop: Header=BB29_6 Depth=2
	s_mul_i32 s38, s29, s67
	s_mul_hi_u32 s39, s28, s67
	s_add_i32 s39, s39, s38
	s_mul_i32 s38, s28, s67
	s_lshl_b64 s[38:39], s[38:39], 2
	s_add_u32 s38, s22, s38
	s_addc_u32 s39, s24, s39
	s_mov_b32 s68, 0
	s_mov_b64 s[52:53], s[36:37]
	s_branch .LBB29_9
.LBB29_8:                               ;   in Loop: Header=BB29_9 Depth=3
	s_add_i32 s68, s68, 1
	s_add_u32 s52, s52, s16
	s_addc_u32 s53, s53, s17
	s_cmp_eq_u32 s68, s49
	s_cbranch_scc1 .LBB29_5
.LBB29_9:                               ;   Parent Loop BB29_3 Depth=1
                                        ;     Parent Loop BB29_6 Depth=2
                                        ; =>    This Loop Header: Depth=3
                                        ;         Child Loop BB29_18 Depth 4
	s_mul_i32 s54, s68, s45
	v_subrev_u32_e32 v14, s54, v10
	v_cmp_lt_i32_e32 vcc, -1, v14
	s_mov_b64 s[54:55], 0
                                        ; implicit-def: $sgpr62
                                        ; implicit-def: $vgpr4
                                        ; implicit-def: $vgpr5
                                        ; implicit-def: $vgpr12
                                        ; implicit-def: $vgpr13
	s_and_saveexec_b64 s[60:61], vcc
	s_xor_b64 s[60:61], exec, s[60:61]
	s_cbranch_execnz .LBB29_13
; %bb.10:                               ;   in Loop: Header=BB29_9 Depth=3
	s_andn2_saveexec_b64 s[60:61], s[60:61]
	s_cbranch_execnz .LBB29_14
.LBB29_11:                              ;   in Loop: Header=BB29_9 Depth=3
	s_or_b64 exec, exec, s[60:61]
	v_mov_b32_e32 v14, s62
	s_and_saveexec_b64 s[60:61], s[54:55]
	s_cbranch_execnz .LBB29_15
.LBB29_12:                              ;   in Loop: Header=BB29_9 Depth=3
	s_or_b64 exec, exec, s[60:61]
	s_andn2_b64 vcc, exec, s[0:1]
	s_cbranch_vccz .LBB29_16
	s_branch .LBB29_8
.LBB29_13:                              ;   in Loop: Header=BB29_9 Depth=3
	v_sub_u32_e32 v5, 0, v14
	v_max_i32_e32 v12, v14, v5
	v_mul_hi_u32 v5, v12, v6
	v_mul_lo_u32 v13, v5, s27
	v_sub_u32_e32 v12, v12, v13
	v_subrev_u32_e32 v13, s27, v12
	v_cmp_le_u32_e32 vcc, s27, v12
	v_ashrrev_i32_e32 v4, 31, v14
	s_mov_b32 s62, 1
	v_cndmask_b32_e32 v14, v12, v13, vcc
	v_subrev_u32_e32 v15, s27, v14
	v_cmp_le_u32_e32 vcc, s27, v14
	s_nop 1
	v_cndmask_b32_e32 v14, v14, v15, vcc
	v_xor_b32_e32 v14, v14, v4
	v_sub_u32_e32 v14, v14, v4
	v_cmp_ne_u32_e32 vcc, 0, v14
	s_and_b64 s[54:55], vcc, exec
                                        ; implicit-def: $vgpr14
	s_andn2_saveexec_b64 s[60:61], s[60:61]
	s_cbranch_execz .LBB29_11
.LBB29_14:                              ;   in Loop: Header=BB29_9 Depth=3
	v_sub_u32_e32 v5, 0, v14
	v_max_i32_e32 v12, v14, v5
	v_mul_hi_u32 v5, v12, v6
	v_mul_lo_u32 v13, v5, s27
	v_sub_u32_e32 v12, v12, v13
	v_ashrrev_i32_e32 v4, 31, v14
	v_subrev_u32_e32 v13, s27, v12
	s_or_b64 s[54:55], s[54:55], exec
	s_or_b64 exec, exec, s[60:61]
	v_mov_b32_e32 v14, s62
	s_and_saveexec_b64 s[60:61], s[54:55]
	s_cbranch_execz .LBB29_12
.LBB29_15:                              ;   in Loop: Header=BB29_9 Depth=3
	v_mov_b32_e32 v14, 0
	s_or_b64 exec, exec, s[60:61]
	s_andn2_b64 vcc, exec, s[0:1]
	s_cbranch_vccnz .LBB29_8
.LBB29_16:                              ;   in Loop: Header=BB29_9 Depth=3
	v_add_u32_e32 v15, 1, v5
	v_cmp_le_u32_e32 vcc, s27, v12
	v_xor_b32_e32 v4, s65, v4
	s_mov_b32 s69, s50
	v_cndmask_b32_e32 v5, v5, v15, vcc
	v_cndmask_b32_e32 v12, v12, v13, vcc
	v_add_u32_e32 v13, 1, v5
	v_cmp_le_u32_e32 vcc, s27, v12
	s_nop 1
	v_cndmask_b32_e32 v5, v5, v13, vcc
	v_xor_b32_e32 v5, v5, v4
	v_sub_u32_e32 v4, v5, v4
	v_cmp_gt_i32_e32 vcc, s25, v4
	v_ashrrev_i32_e32 v5, 31, v4
	v_mul_lo_u32 v13, s58, v5
	v_cndmask_b32_e32 v12, 0, v14, vcc
	v_mul_lo_u32 v14, s59, v4
	v_mad_u64_u32 v[4:5], s[54:55], s58, v4, 0
	v_add3_u32 v5, v5, v13, v14
	v_lshl_add_u64 v[4:5], v[4:5], 2, s[38:39]
	s_mov_b64 s[54:55], s[52:53]
	v_mov_b32_e32 v13, v11
	s_branch .LBB29_18
.LBB29_17:                              ;   in Loop: Header=BB29_18 Depth=4
	s_or_b64 exec, exec, s[60:61]
	s_add_i32 s69, s69, -1
	s_add_u32 s54, s54, s14
	s_addc_u32 s55, s55, s15
	s_cmp_eq_u32 s69, 0
	v_subrev_u32_e32 v13, s46, v13
	s_cbranch_scc1 .LBB29_8
.LBB29_18:                              ;   Parent Loop BB29_3 Depth=1
                                        ;     Parent Loop BB29_6 Depth=2
                                        ;       Parent Loop BB29_9 Depth=3
                                        ; =>      This Inner Loop Header: Depth=4
	v_cmp_lt_i32_e32 vcc, -1, v13
	s_mov_b64 s[60:61], 0
	v_sub_u32_e32 v18, 0, v13
                                        ; implicit-def: $sgpr70
                                        ; implicit-def: $vgpr14
                                        ; implicit-def: $vgpr15
                                        ; implicit-def: $vgpr16
                                        ; implicit-def: $vgpr17
	s_and_saveexec_b64 s[62:63], vcc
	s_xor_b64 s[62:63], exec, s[62:63]
	s_cbranch_execnz .LBB29_24
; %bb.19:                               ;   in Loop: Header=BB29_18 Depth=4
	s_andn2_saveexec_b64 s[62:63], s[62:63]
	s_cbranch_execnz .LBB29_25
.LBB29_20:                              ;   in Loop: Header=BB29_18 Depth=4
	s_or_b64 exec, exec, s[62:63]
	v_mov_b32_e32 v18, s70
	s_and_saveexec_b64 s[62:63], s[60:61]
.LBB29_21:                              ;   in Loop: Header=BB29_18 Depth=4
	v_mov_b32_e32 v18, 0
.LBB29_22:                              ;   in Loop: Header=BB29_18 Depth=4
	s_or_b64 exec, exec, s[62:63]
	v_add_u32_e32 v19, 1, v15
	v_cmp_le_u32_e32 vcc, s44, v16
	v_xor_b32_e32 v14, s66, v14
	s_nop 0
	v_cndmask_b32_e32 v15, v15, v19, vcc
	v_cndmask_b32_e32 v16, v16, v17, vcc
	v_add_u32_e32 v17, 1, v15
	v_cmp_le_u32_e32 vcc, s44, v16
	s_nop 1
	v_cndmask_b32_e32 v15, v15, v17, vcc
	v_xor_b32_e32 v15, v15, v14
	v_sub_u32_e32 v14, v15, v14
	v_cmp_gt_i32_e32 vcc, s26, v14
	s_nop 1
	v_cndmask_b32_e32 v15, 0, v18, vcc
	v_and_b32_e32 v15, v15, v12
	v_cmp_ne_u32_e32 vcc, 0, v15
	s_and_saveexec_b64 s[60:61], vcc
	s_cbranch_execz .LBB29_17
; %bb.23:                               ;   in Loop: Header=BB29_18 Depth=4
	v_ashrrev_i32_e32 v15, 31, v14
	v_mul_lo_u32 v16, s57, v14
	v_mul_lo_u32 v17, s56, v15
	v_mad_u64_u32 v[14:15], s[62:63], s56, v14, 0
	v_add3_u32 v15, v15, v17, v16
	v_lshl_add_u64 v[14:15], v[14:15], 2, v[4:5]
	global_load_dword v14, v[14:15], off
	s_load_dword s62, s[54:55], 0x0
	s_waitcnt lgkmcnt(0)
	v_cvt_f64_f32_e32 v[16:17], s62
	s_waitcnt vmcnt(0)
	v_cvt_f64_f32_e32 v[14:15], v14
	v_fmac_f64_e32 v[2:3], v[14:15], v[16:17]
	s_branch .LBB29_17
.LBB29_24:                              ;   in Loop: Header=BB29_18 Depth=4
	v_max_i32_e32 v16, v13, v18
	v_mul_hi_u32 v15, v16, v7
	v_mul_lo_u32 v17, v15, s44
	v_sub_u32_e32 v16, v16, v17
	v_subrev_u32_e32 v17, s44, v16
	v_cmp_le_u32_e32 vcc, s44, v16
	v_ashrrev_i32_e32 v14, 31, v13
	s_mov_b32 s70, 1
	v_cndmask_b32_e32 v18, v16, v17, vcc
	v_subrev_u32_e32 v19, s44, v18
	v_cmp_le_u32_e32 vcc, s44, v18
	s_nop 1
	v_cndmask_b32_e32 v18, v18, v19, vcc
	v_xor_b32_e32 v18, v18, v14
	v_sub_u32_e32 v18, v18, v14
	v_cmp_ne_u32_e32 vcc, 0, v18
	s_and_b64 s[60:61], vcc, exec
                                        ; implicit-def: $vgpr18
	s_andn2_saveexec_b64 s[62:63], s[62:63]
	s_cbranch_execz .LBB29_20
.LBB29_25:                              ;   in Loop: Header=BB29_18 Depth=4
	v_max_i32_e32 v16, v13, v18
	v_mul_hi_u32 v15, v16, v7
	v_mul_lo_u32 v17, v15, s44
	v_sub_u32_e32 v16, v16, v17
	v_ashrrev_i32_e32 v14, 31, v13
	v_subrev_u32_e32 v17, s44, v16
	s_or_b64 s[60:61], s[60:61], exec
	s_or_b64 exec, exec, s[62:63]
	v_mov_b32_e32 v18, s70
	s_and_saveexec_b64 s[62:63], s[60:61]
	s_cbranch_execnz .LBB29_21
	s_branch .LBB29_22
.LBB29_26:                              ;   in Loop: Header=BB29_3 Depth=1
	v_mov_b64_e32 v[2:3], 0
.LBB29_27:                              ;   in Loop: Header=BB29_3 Depth=1
	v_ashrrev_i32_e32 v4, 31, v9
	v_mul_lo_u32 v10, s7, v9
	v_mul_lo_u32 v11, s6, v4
	v_mad_u64_u32 v[4:5], s[36:37], s6, v9, 0
	v_ashrrev_i32_e32 v9, 31, v8
	v_add3_u32 v5, v5, v11, v10
	v_mul_lo_u32 v10, s5, v8
	v_mul_lo_u32 v11, s4, v9
	v_mad_u64_u32 v[8:9], s[36:37], s4, v8, 0
	v_add3_u32 v9, v9, v11, v10
	v_lshl_add_u64 v[4:5], v[4:5], 2, s[2:3]
	s_andn2_b64 vcc, exec, s[12:13]
	v_lshl_add_u64 v[4:5], v[8:9], 2, v[4:5]
	s_cbranch_vccnz .LBB29_2
; %bb.28:                               ;   in Loop: Header=BB29_3 Depth=1
	global_load_dword v8, v[4:5], off
	s_waitcnt vmcnt(0)
	v_cvt_f64_f32_e32 v[8:9], v8
	v_mul_f64 v[8:9], v[8:9], s[42:43]
	v_fmac_f64_e32 v[8:9], s[40:41], v[2:3]
	v_mov_b64_e32 v[2:3], v[8:9]
	s_branch .LBB29_2
.LBB29_29:
	s_endpgm
	.section	.rodata,"a",@progbits
	.p2align	6, 0x0
	.amdhsa_kernel naive_conv_ab_nonpacked_bwd_nchw_float_double_float_0
		.amdhsa_group_segment_fixed_size 0
		.amdhsa_private_segment_fixed_size 0
		.amdhsa_kernarg_size 480
		.amdhsa_user_sgpr_count 2
		.amdhsa_user_sgpr_dispatch_ptr 0
		.amdhsa_user_sgpr_queue_ptr 0
		.amdhsa_user_sgpr_kernarg_segment_ptr 1
		.amdhsa_user_sgpr_dispatch_id 0
		.amdhsa_user_sgpr_kernarg_preload_length 0
		.amdhsa_user_sgpr_kernarg_preload_offset 0
		.amdhsa_user_sgpr_private_segment_size 0
		.amdhsa_uses_dynamic_stack 0
		.amdhsa_enable_private_segment 0
		.amdhsa_system_sgpr_workgroup_id_x 1
		.amdhsa_system_sgpr_workgroup_id_y 0
		.amdhsa_system_sgpr_workgroup_id_z 0
		.amdhsa_system_sgpr_workgroup_info 0
		.amdhsa_system_vgpr_workitem_id 0
		.amdhsa_next_free_vgpr 20
		.amdhsa_next_free_sgpr 71
		.amdhsa_accum_offset 20
		.amdhsa_reserve_vcc 1
		.amdhsa_float_round_mode_32 0
		.amdhsa_float_round_mode_16_64 0
		.amdhsa_float_denorm_mode_32 3
		.amdhsa_float_denorm_mode_16_64 3
		.amdhsa_dx10_clamp 1
		.amdhsa_ieee_mode 1
		.amdhsa_fp16_overflow 0
		.amdhsa_tg_split 0
		.amdhsa_exception_fp_ieee_invalid_op 0
		.amdhsa_exception_fp_denorm_src 0
		.amdhsa_exception_fp_ieee_div_zero 0
		.amdhsa_exception_fp_ieee_overflow 0
		.amdhsa_exception_fp_ieee_underflow 0
		.amdhsa_exception_fp_ieee_inexact 0
		.amdhsa_exception_int_div_zero 0
	.end_amdhsa_kernel
	.text
.Lfunc_end29:
	.size	naive_conv_ab_nonpacked_bwd_nchw_float_double_float_0, .Lfunc_end29-naive_conv_ab_nonpacked_bwd_nchw_float_double_float_0
                                        ; -- End function
	.section	.AMDGPU.csdata,"",@progbits
; Kernel info:
; codeLenInByte = 2028
; NumSgprs: 77
; NumVgprs: 20
; NumAgprs: 0
; TotalNumVgprs: 20
; ScratchSize: 0
; MemoryBound: 0
; FloatMode: 240
; IeeeMode: 1
; LDSByteSize: 0 bytes/workgroup (compile time only)
; SGPRBlocks: 9
; VGPRBlocks: 2
; NumSGPRsForWavesPerEU: 77
; NumVGPRsForWavesPerEU: 20
; AccumOffset: 20
; Occupancy: 8
; WaveLimiterHint : 0
; COMPUTE_PGM_RSRC2:SCRATCH_EN: 0
; COMPUTE_PGM_RSRC2:USER_SGPR: 2
; COMPUTE_PGM_RSRC2:TRAP_HANDLER: 0
; COMPUTE_PGM_RSRC2:TGID_X_EN: 1
; COMPUTE_PGM_RSRC2:TGID_Y_EN: 0
; COMPUTE_PGM_RSRC2:TGID_Z_EN: 0
; COMPUTE_PGM_RSRC2:TIDIG_COMP_CNT: 0
; COMPUTE_PGM_RSRC3_GFX90A:ACCUM_OFFSET: 4
; COMPUTE_PGM_RSRC3_GFX90A:TG_SPLIT: 0
	.text
	.protected	naive_conv_ab_packed_bwd_nchw_float_double_float_1 ; -- Begin function naive_conv_ab_packed_bwd_nchw_float_double_float_1
	.globl	naive_conv_ab_packed_bwd_nchw_float_double_float_1
	.p2align	8
	.type	naive_conv_ab_packed_bwd_nchw_float_double_float_1,@function
naive_conv_ab_packed_bwd_nchw_float_double_float_1: ; @naive_conv_ab_packed_bwd_nchw_float_double_float_1
; %bb.0:
	s_load_dwordx16 s[4:19], s[0:1], 0xa0
	s_abs_i32 s3, s2
	s_waitcnt lgkmcnt(0)
	s_abs_i32 s20, s8
	v_cvt_f32_u32_e32 v1, s20
	s_sub_i32 s21, 0, s20
	s_mul_i32 s30, s8, s6
	v_rcp_iflag_f32_e32 v1, v1
	s_nop 0
	v_mul_f32_e32 v1, 0x4f7ffffe, v1
	v_cvt_u32_f32_e32 v1, v1
	s_nop 0
	v_readfirstlane_b32 s22, v1
	s_mul_i32 s21, s21, s22
	s_mul_hi_u32 s21, s22, s21
	s_add_i32 s22, s22, s21
	s_mul_hi_u32 s21, s3, s22
	s_mul_i32 s22, s21, s20
	s_sub_i32 s22, s3, s22
	s_add_i32 s23, s21, 1
	s_sub_i32 s24, s22, s20
	s_cmp_ge_u32 s22, s20
	s_cselect_b32 s21, s23, s21
	s_cselect_b32 s22, s24, s22
	s_add_i32 s23, s21, 1
	s_cmp_ge_u32 s22, s20
	s_cselect_b32 s31, s23, s21
	s_abs_i32 s29, s6
	s_abs_i32 s28, s30
	v_cvt_f32_u32_e32 v1, s29
	v_cvt_f32_u32_e32 v2, s28
	s_mul_i32 s6, s5, s4
	v_cmp_gt_i32_e32 vcc, s6, v0
	v_rcp_iflag_f32_e32 v1, v1
	v_rcp_iflag_f32_e32 v2, v2
	v_mul_f32_e32 v1, 0x4f7ffffe, v1
	v_mul_f32_e32 v2, 0x4f7ffffe, v2
	v_cvt_u32_f32_e32 v1, v1
	v_cvt_u32_f32_e32 v2, v2
	v_readfirstlane_b32 s34, v1
	v_readfirstlane_b32 s33, v2
	s_and_saveexec_b64 s[20:21], vcc
	s_cbranch_execz .LBB30_29
; %bb.1:
	s_ashr_i32 s35, s2, 31
	s_ashr_i32 s36, s8, 31
	s_xor_b32 s37, s35, s36
	s_sub_i32 s39, 0, s29
	s_xor_b32 s31, s31, s37
	s_mul_i32 s39, s39, s34
	s_sub_i32 s31, s31, s37
	s_mul_hi_u32 s39, s34, s39
	s_abs_i32 s38, s31
	s_add_i32 s34, s34, s39
	s_mul_hi_u32 s34, s38, s34
	s_sub_i32 s39, 0, s28
	s_ashr_i32 s37, s31, 31
	s_mul_i32 s39, s39, s33
	s_mul_i32 s31, s31, s8
	;; [unrolled: 1-line block ×3, first 2 shown]
	s_mul_hi_u32 s39, s33, s39
	s_sub_i32 s40, s2, s31
	s_sub_i32 s2, s38, s34
	s_ashr_i32 s30, s30, 31
	s_add_i32 s33, s33, s39
	s_sub_i32 s31, s2, s29
	s_cmp_ge_u32 s2, s29
	s_cselect_b32 s2, s31, s2
	s_sub_i32 s31, s2, s29
	s_cmp_ge_u32 s2, s29
	s_cselect_b32 s2, s31, s2
	s_mul_hi_u32 s33, s3, s33
	s_xor_b32 s2, s2, s37
	s_sub_i32 s29, s2, s37
	s_xor_b32 s2, s35, s30
	s_mul_i32 s30, s33, s28
	s_sub_i32 s3, s3, s30
	s_add_i32 s30, s33, 1
	s_sub_i32 s31, s3, s28
	s_cmp_ge_u32 s3, s28
	s_cselect_b32 s30, s30, s33
	s_cselect_b32 s3, s31, s3
	s_add_i32 s31, s30, 1
	s_cmp_ge_u32 s3, s28
	s_cselect_b32 s3, s31, s30
	s_mul_i32 s39, s19, s7
	s_mul_i32 s19, s19, s8
	s_xor_b32 s3, s3, s2
	s_sub_i32 s28, s3, s2
	s_mul_i32 s3, s29, s19
	s_ashr_i32 s33, s5, 31
	s_ashr_i32 s37, s40, 31
	s_mul_hi_i32 s2, s29, s19
	s_add_u32 s3, s3, s40
	s_mul_i32 s30, s28, s8
	s_addc_u32 s2, s2, s37
	s_mul_hi_i32 s19, s28, s8
	s_add_u32 s30, s3, s30
	s_load_dwordx8 s[20:27], s[0:1], 0x0
	s_addc_u32 s2, s2, s19
	s_mul_hi_i32 s3, s5, s4
	s_mul_i32 s2, s6, s2
	s_mul_hi_u32 s4, s6, s30
	s_add_i32 s2, s4, s2
	s_mul_i32 s3, s3, s30
	s_add_i32 s3, s2, s3
	s_mul_i32 s2, s6, s30
	s_lshl_b64 s[2:3], s[2:3], 2
	s_waitcnt lgkmcnt(0)
	s_add_u32 s2, s20, s2
	s_mul_i32 s20, s28, s7
	s_addc_u32 s3, s21, s3
	s_mul_hi_i32 s4, s28, s7
	s_mul_i32 s19, s20, s36
	s_mul_hi_u32 s21, s20, s8
	s_add_i32 s19, s21, s19
	s_mul_i32 s21, s4, s8
	s_add_i32 s41, s19, s21
	s_ashr_i32 s19, s18, 31
	s_mul_hi_i32 s21, s29, s39
	s_mul_i32 s29, s29, s39
	s_ashr_i32 s50, s9, 31
	s_ashr_i32 s52, s10, 31
	s_add_u32 s28, s20, s29
	s_mul_i32 s42, s20, s8
	s_mov_b32 s51, s9
	s_addc_u32 s4, s4, s21
	s_mul_hi_i32 s20, s10, s9
	s_mul_i32 s9, s10, s9
	s_mul_i32 s4, s9, s4
	s_mul_hi_u32 s21, s9, s28
	s_add_i32 s4, s21, s4
	s_mul_i32 s29, s20, s28
	s_load_dwordx2 s[20:21], s[0:1], 0x20
	s_add_i32 s29, s4, s29
	s_mul_i32 s28, s9, s28
	s_load_dword s9, s[0:1], 0xec
	s_lshl_b64 s[28:29], s[28:29], 2
	s_waitcnt lgkmcnt(0)
	s_add_u32 s0, s20, s28
	s_addc_u32 s1, s21, s29
	s_cmp_gt_i32 s7, 0
	s_cselect_b64 s[20:21], -1, 0
	s_cmp_gt_i32 s17, 0
	s_cselect_b64 s[28:29], -1, 0
	;; [unrolled: 2-line block ×3, first 2 shown]
	s_abs_i32 s53, s5
	v_cvt_f32_u32_e32 v1, s53
	s_and_b32 s55, s9, 0xffff
	s_abs_i32 s56, s11
	s_sub_i32 s9, 0, s53
	v_rcp_iflag_f32_e32 v1, v1
	v_cvt_f32_u32_e32 v2, s56
	s_abs_i32 s57, s12
	v_cmp_neq_f64_e64 s[34:35], s[24:25], 1.0
	v_mul_f32_e32 v1, 0x4f7ffffe, v1
	v_cvt_u32_f32_e32 v1, v1
	v_rcp_iflag_f32_e32 v2, v2
	v_cmp_neq_f64_e64 s[38:39], s[26:27], 0
	s_or_b64 s[34:35], s[34:35], s[38:39]
	v_mul_lo_u32 v3, s9, v1
	v_mul_hi_u32 v3, v1, v3
	v_add_u32_e32 v1, v1, v3
	v_cvt_f32_u32_e32 v3, s57
	v_mul_f32_e32 v2, 0x4f7ffffe, v2
	v_cvt_u32_f32_e32 v2, v2
	s_sub_i32 s9, 0, s56
	v_rcp_iflag_f32_e32 v3, v3
	s_ashr_i32 s58, s11, 31
	v_mul_lo_u32 v4, s9, v2
	v_mul_hi_u32 v4, v2, v4
	v_mul_f32_e32 v3, 0x4f7ffffe, v3
	v_cvt_u32_f32_e32 v3, v3
	s_ashr_i32 s12, s12, 31
	s_sub_i32 s9, 0, s57
	v_add_u32_e32 v10, v2, v4
	v_mul_lo_u32 v2, s9, v3
	s_add_u32 s9, s42, s40
	s_mov_b32 s54, s10
	s_addc_u32 s10, s41, s37
	s_mul_i32 s37, s18, s17
	s_mov_b32 s49, s17
	s_mul_i32 s10, s37, s10
	s_mul_hi_u32 s11, s37, s9
	s_mul_hi_i32 s17, s18, s17
	s_add_i32 s10, s11, s10
	s_mul_i32 s11, s17, s9
	s_add_i32 s11, s10, s11
	s_mul_i32 s10, s37, s9
	s_lshl_b64 s[10:11], s[10:11], 2
	s_add_u32 s10, s22, s10
	s_mul_i32 s9, s37, s36
	s_mul_hi_u32 s22, s37, s8
	s_addc_u32 s11, s23, s11
	s_add_i32 s9, s22, s9
	s_mul_i32 s17, s17, s8
	v_mul_hi_u32 v2, v3, v2
	s_add_i32 s9, s9, s17
	s_mul_i32 s8, s37, s8
	s_mov_b32 s48, s5
	s_mov_b64 s[4:5], 0
	v_add_u32_e32 v11, v3, v2
	s_lshl_b64 s[8:9], s[8:9], 2
	s_lshl_b64 s[22:23], s[18:19], 2
	s_branch .LBB30_3
.LBB30_2:                               ;   in Loop: Header=BB30_3 Depth=1
	v_add_u32_e32 v0, s55, v0
	v_cmp_le_i32_e32 vcc, s6, v0
	v_cvt_f32_f64_e32 v2, v[2:3]
	s_or_b64 s[4:5], vcc, s[4:5]
	global_store_dword v[4:5], v2, off
	s_andn2_b64 exec, exec, s[4:5]
	s_cbranch_execz .LBB30_29
.LBB30_3:                               ; =>This Loop Header: Depth=1
                                        ;     Child Loop BB30_6 Depth 2
                                        ;       Child Loop BB30_9 Depth 3
                                        ;         Child Loop BB30_18 Depth 4
	v_sub_u32_e32 v3, 0, v0
	v_max_i32_e32 v3, v0, v3
	v_mul_hi_u32 v4, v3, v1
	v_mul_lo_u32 v5, v4, s53
	v_sub_u32_e32 v3, v3, v5
	v_add_u32_e32 v5, 1, v4
	v_cmp_le_u32_e32 vcc, s53, v3
	v_ashrrev_i32_e32 v2, 31, v0
	v_xor_b32_e32 v2, s33, v2
	v_cndmask_b32_e32 v4, v4, v5, vcc
	v_subrev_u32_e32 v5, s53, v3
	v_cndmask_b32_e32 v3, v3, v5, vcc
	v_add_u32_e32 v5, 1, v4
	v_cmp_le_u32_e32 vcc, s53, v3
	s_nop 1
	v_cndmask_b32_e32 v3, v4, v5, vcc
	v_xor_b32_e32 v3, v3, v2
	v_sub_u32_e32 v5, v3, v2
	v_mul_lo_u32 v2, v5, s48
	s_andn2_b64 vcc, exec, s[20:21]
	v_sub_u32_e32 v4, v0, v2
	s_cbranch_vccnz .LBB30_26
; %bb.4:                                ;   in Loop: Header=BB30_3 Depth=1
	v_add_u32_e32 v12, s15, v5
	v_add_u32_e32 v13, s16, v4
	s_mov_b32 s17, 0
	v_mov_b64_e32 v[2:3], 0
	s_mov_b64 s[36:37], s[10:11]
	s_branch .LBB30_6
.LBB30_5:                               ;   in Loop: Header=BB30_6 Depth=2
	s_add_i32 s17, s17, 1
	s_add_u32 s36, s36, s8
	s_addc_u32 s37, s37, s9
	s_cmp_eq_u32 s17, s7
	s_cbranch_scc1 .LBB30_27
.LBB30_6:                               ;   Parent Loop BB30_3 Depth=1
                                        ; =>  This Loop Header: Depth=2
                                        ;       Child Loop BB30_9 Depth 3
                                        ;         Child Loop BB30_18 Depth 4
	s_andn2_b64 vcc, exec, s[28:29]
	s_cbranch_vccnz .LBB30_5
; %bb.7:                                ;   in Loop: Header=BB30_6 Depth=2
	s_mul_i32 s19, s17, s50
	s_mul_hi_u32 s38, s17, s51
	s_add_i32 s39, s38, s19
	s_mul_i32 s38, s17, s51
	s_mov_b32 s19, 0
	s_mov_b64 s[40:41], s[36:37]
	s_branch .LBB30_9
.LBB30_8:                               ;   in Loop: Header=BB30_9 Depth=3
	s_add_i32 s19, s19, 1
	s_add_u32 s40, s40, s22
	s_addc_u32 s41, s41, s23
	s_cmp_eq_u32 s19, s49
	s_cbranch_scc1 .LBB30_5
.LBB30_9:                               ;   Parent Loop BB30_3 Depth=1
                                        ;     Parent Loop BB30_6 Depth=2
                                        ; =>    This Loop Header: Depth=3
                                        ;         Child Loop BB30_18 Depth 4
	s_mul_i32 s42, s19, s13
	v_subrev_u32_e32 v14, s42, v12
	v_cmp_lt_i32_e32 vcc, -1, v14
	s_mov_b64 s[42:43], 0
                                        ; implicit-def: $sgpr46
                                        ; implicit-def: $vgpr6
                                        ; implicit-def: $vgpr7
                                        ; implicit-def: $vgpr8
                                        ; implicit-def: $vgpr9
	s_and_saveexec_b64 s[44:45], vcc
	s_xor_b64 s[44:45], exec, s[44:45]
	s_cbranch_execnz .LBB30_13
; %bb.10:                               ;   in Loop: Header=BB30_9 Depth=3
	s_andn2_saveexec_b64 s[44:45], s[44:45]
	s_cbranch_execnz .LBB30_14
.LBB30_11:                              ;   in Loop: Header=BB30_9 Depth=3
	s_or_b64 exec, exec, s[44:45]
	v_mov_b32_e32 v14, s46
	s_and_saveexec_b64 s[44:45], s[42:43]
	s_cbranch_execnz .LBB30_15
.LBB30_12:                              ;   in Loop: Header=BB30_9 Depth=3
	s_or_b64 exec, exec, s[44:45]
	s_andn2_b64 vcc, exec, s[30:31]
	s_cbranch_vccz .LBB30_16
	s_branch .LBB30_8
.LBB30_13:                              ;   in Loop: Header=BB30_9 Depth=3
	v_sub_u32_e32 v7, 0, v14
	v_max_i32_e32 v8, v14, v7
	v_mul_hi_u32 v7, v8, v10
	v_mul_lo_u32 v9, v7, s56
	v_sub_u32_e32 v8, v8, v9
	v_subrev_u32_e32 v9, s56, v8
	v_cmp_le_u32_e32 vcc, s56, v8
	v_ashrrev_i32_e32 v6, 31, v14
	s_mov_b32 s46, 1
	v_cndmask_b32_e32 v14, v8, v9, vcc
	v_subrev_u32_e32 v15, s56, v14
	v_cmp_le_u32_e32 vcc, s56, v14
	s_nop 1
	v_cndmask_b32_e32 v14, v14, v15, vcc
	v_xor_b32_e32 v14, v14, v6
	v_sub_u32_e32 v14, v14, v6
	v_cmp_ne_u32_e32 vcc, 0, v14
	s_and_b64 s[42:43], vcc, exec
                                        ; implicit-def: $vgpr14
	s_andn2_saveexec_b64 s[44:45], s[44:45]
	s_cbranch_execz .LBB30_11
.LBB30_14:                              ;   in Loop: Header=BB30_9 Depth=3
	v_sub_u32_e32 v7, 0, v14
	v_max_i32_e32 v8, v14, v7
	v_mul_hi_u32 v7, v8, v10
	v_mul_lo_u32 v9, v7, s56
	v_sub_u32_e32 v8, v8, v9
	v_ashrrev_i32_e32 v6, 31, v14
	v_subrev_u32_e32 v9, s56, v8
	s_or_b64 s[42:43], s[42:43], exec
	s_or_b64 exec, exec, s[44:45]
	v_mov_b32_e32 v14, s46
	s_and_saveexec_b64 s[44:45], s[42:43]
	s_cbranch_execz .LBB30_12
.LBB30_15:                              ;   in Loop: Header=BB30_9 Depth=3
	v_mov_b32_e32 v14, 0
	s_or_b64 exec, exec, s[44:45]
	s_andn2_b64 vcc, exec, s[30:31]
	s_cbranch_vccnz .LBB30_8
.LBB30_16:                              ;   in Loop: Header=BB30_9 Depth=3
	v_add_u32_e32 v15, 1, v7
	v_cmp_le_u32_e32 vcc, s56, v8
	v_xor_b32_e32 v6, s58, v6
	s_mov_b32 s59, s18
	v_cndmask_b32_e32 v7, v7, v15, vcc
	v_cndmask_b32_e32 v8, v8, v9, vcc
	v_add_u32_e32 v9, 1, v7
	v_cmp_le_u32_e32 vcc, s56, v8
	v_mov_b32_e32 v15, v13
	s_nop 0
	v_cndmask_b32_e32 v7, v7, v9, vcc
	v_xor_b32_e32 v7, v7, v6
	v_sub_u32_e32 v6, v7, v6
	v_ashrrev_i32_e32 v7, 31, v6
	v_cmp_gt_i32_e32 vcc, s51, v6
	v_lshl_add_u64 v[6:7], s[38:39], 0, v[6:7]
	v_mul_lo_u32 v8, v7, s54
	v_mul_lo_u32 v9, v6, s52
	v_mad_u64_u32 v[6:7], s[42:43], v6, s54, 0
	v_add3_u32 v7, v7, v9, v8
	v_cndmask_b32_e32 v14, 0, v14, vcc
	v_lshl_add_u64 v[6:7], v[6:7], 2, s[0:1]
	s_mov_b64 s[42:43], s[40:41]
	s_branch .LBB30_18
.LBB30_17:                              ;   in Loop: Header=BB30_18 Depth=4
	s_or_b64 exec, exec, s[44:45]
	s_add_i32 s59, s59, -1
	s_add_u32 s42, s42, 4
	s_addc_u32 s43, s43, 0
	s_cmp_eq_u32 s59, 0
	v_subrev_u32_e32 v15, s14, v15
	s_cbranch_scc1 .LBB30_8
.LBB30_18:                              ;   Parent Loop BB30_3 Depth=1
                                        ;     Parent Loop BB30_6 Depth=2
                                        ;       Parent Loop BB30_9 Depth=3
                                        ; =>      This Inner Loop Header: Depth=4
	v_cmp_lt_i32_e32 vcc, -1, v15
	s_mov_b64 s[44:45], 0
	v_sub_u32_e32 v18, 0, v15
                                        ; implicit-def: $sgpr60
                                        ; implicit-def: $vgpr8
                                        ; implicit-def: $vgpr9
                                        ; implicit-def: $vgpr16
                                        ; implicit-def: $vgpr17
	s_and_saveexec_b64 s[46:47], vcc
	s_xor_b64 s[46:47], exec, s[46:47]
	s_cbranch_execnz .LBB30_24
; %bb.19:                               ;   in Loop: Header=BB30_18 Depth=4
	s_andn2_saveexec_b64 s[46:47], s[46:47]
	s_cbranch_execnz .LBB30_25
.LBB30_20:                              ;   in Loop: Header=BB30_18 Depth=4
	s_or_b64 exec, exec, s[46:47]
	v_mov_b32_e32 v18, s60
	s_and_saveexec_b64 s[46:47], s[44:45]
.LBB30_21:                              ;   in Loop: Header=BB30_18 Depth=4
	v_mov_b32_e32 v18, 0
.LBB30_22:                              ;   in Loop: Header=BB30_18 Depth=4
	s_or_b64 exec, exec, s[46:47]
	v_add_u32_e32 v19, 1, v9
	v_cmp_le_u32_e32 vcc, s57, v16
	v_xor_b32_e32 v8, s12, v8
	s_nop 0
	v_cndmask_b32_e32 v9, v9, v19, vcc
	v_cndmask_b32_e32 v16, v16, v17, vcc
	v_add_u32_e32 v17, 1, v9
	v_cmp_le_u32_e32 vcc, s57, v16
	s_nop 1
	v_cndmask_b32_e32 v9, v9, v17, vcc
	v_xor_b32_e32 v9, v9, v8
	v_sub_u32_e32 v8, v9, v8
	v_cmp_gt_i32_e32 vcc, s54, v8
	s_nop 1
	v_cndmask_b32_e32 v9, 0, v18, vcc
	v_and_b32_e32 v9, v9, v14
	v_cmp_ne_u32_e32 vcc, 0, v9
	s_and_saveexec_b64 s[44:45], vcc
	s_cbranch_execz .LBB30_17
; %bb.23:                               ;   in Loop: Header=BB30_18 Depth=4
	v_ashrrev_i32_e32 v9, 31, v8
	v_lshl_add_u64 v[8:9], v[8:9], 2, v[6:7]
	global_load_dword v8, v[8:9], off
	s_load_dword s46, s[42:43], 0x0
	s_waitcnt lgkmcnt(0)
	s_and_b32 s46, s46, 0xffffe000
	s_waitcnt vmcnt(0)
	v_and_b32_e32 v16, 0xffffe000, v8
	v_cvt_f64_f32_e32 v[8:9], s46
	v_cvt_f64_f32_e32 v[16:17], v16
	v_fmac_f64_e32 v[2:3], v[16:17], v[8:9]
	s_branch .LBB30_17
.LBB30_24:                              ;   in Loop: Header=BB30_18 Depth=4
	v_max_i32_e32 v16, v15, v18
	v_mul_hi_u32 v9, v16, v11
	v_mul_lo_u32 v17, v9, s57
	v_sub_u32_e32 v16, v16, v17
	v_subrev_u32_e32 v17, s57, v16
	v_cmp_le_u32_e32 vcc, s57, v16
	v_ashrrev_i32_e32 v8, 31, v15
	s_mov_b32 s60, 1
	v_cndmask_b32_e32 v18, v16, v17, vcc
	v_subrev_u32_e32 v19, s57, v18
	v_cmp_le_u32_e32 vcc, s57, v18
	s_nop 1
	v_cndmask_b32_e32 v18, v18, v19, vcc
	v_xor_b32_e32 v18, v18, v8
	v_sub_u32_e32 v18, v18, v8
	v_cmp_ne_u32_e32 vcc, 0, v18
	s_and_b64 s[44:45], vcc, exec
                                        ; implicit-def: $vgpr18
	s_andn2_saveexec_b64 s[46:47], s[46:47]
	s_cbranch_execz .LBB30_20
.LBB30_25:                              ;   in Loop: Header=BB30_18 Depth=4
	v_max_i32_e32 v16, v15, v18
	v_mul_hi_u32 v9, v16, v11
	v_mul_lo_u32 v17, v9, s57
	v_sub_u32_e32 v16, v16, v17
	v_ashrrev_i32_e32 v8, 31, v15
	v_subrev_u32_e32 v17, s57, v16
	s_or_b64 s[44:45], s[44:45], exec
	s_or_b64 exec, exec, s[46:47]
	v_mov_b32_e32 v18, s60
	s_and_saveexec_b64 s[46:47], s[44:45]
	s_cbranch_execnz .LBB30_21
	s_branch .LBB30_22
.LBB30_26:                              ;   in Loop: Header=BB30_3 Depth=1
	v_mov_b64_e32 v[2:3], 0
.LBB30_27:                              ;   in Loop: Header=BB30_3 Depth=1
	v_mad_i64_i32 v[6:7], s[36:37], v5, s48, 0
	v_ashrrev_i32_e32 v5, 31, v4
	v_lshl_add_u64 v[6:7], v[6:7], 2, s[2:3]
	s_andn2_b64 vcc, exec, s[34:35]
	v_lshl_add_u64 v[4:5], v[4:5], 2, v[6:7]
	s_cbranch_vccnz .LBB30_2
; %bb.28:                               ;   in Loop: Header=BB30_3 Depth=1
	global_load_dword v6, v[4:5], off
	s_waitcnt vmcnt(0)
	v_cvt_f64_f32_e32 v[6:7], v6
	v_mul_f64 v[6:7], v[6:7], s[26:27]
	v_fmac_f64_e32 v[6:7], s[24:25], v[2:3]
	v_mov_b64_e32 v[2:3], v[6:7]
	s_branch .LBB30_2
.LBB30_29:
	s_endpgm
	.section	.rodata,"a",@progbits
	.p2align	6, 0x0
	.amdhsa_kernel naive_conv_ab_packed_bwd_nchw_float_double_float_1
		.amdhsa_group_segment_fixed_size 0
		.amdhsa_private_segment_fixed_size 0
		.amdhsa_kernarg_size 480
		.amdhsa_user_sgpr_count 2
		.amdhsa_user_sgpr_dispatch_ptr 0
		.amdhsa_user_sgpr_queue_ptr 0
		.amdhsa_user_sgpr_kernarg_segment_ptr 1
		.amdhsa_user_sgpr_dispatch_id 0
		.amdhsa_user_sgpr_kernarg_preload_length 0
		.amdhsa_user_sgpr_kernarg_preload_offset 0
		.amdhsa_user_sgpr_private_segment_size 0
		.amdhsa_uses_dynamic_stack 0
		.amdhsa_enable_private_segment 0
		.amdhsa_system_sgpr_workgroup_id_x 1
		.amdhsa_system_sgpr_workgroup_id_y 0
		.amdhsa_system_sgpr_workgroup_id_z 0
		.amdhsa_system_sgpr_workgroup_info 0
		.amdhsa_system_vgpr_workitem_id 0
		.amdhsa_next_free_vgpr 20
		.amdhsa_next_free_sgpr 61
		.amdhsa_accum_offset 20
		.amdhsa_reserve_vcc 1
		.amdhsa_float_round_mode_32 0
		.amdhsa_float_round_mode_16_64 0
		.amdhsa_float_denorm_mode_32 3
		.amdhsa_float_denorm_mode_16_64 3
		.amdhsa_dx10_clamp 1
		.amdhsa_ieee_mode 1
		.amdhsa_fp16_overflow 0
		.amdhsa_tg_split 0
		.amdhsa_exception_fp_ieee_invalid_op 0
		.amdhsa_exception_fp_denorm_src 0
		.amdhsa_exception_fp_ieee_div_zero 0
		.amdhsa_exception_fp_ieee_overflow 0
		.amdhsa_exception_fp_ieee_underflow 0
		.amdhsa_exception_fp_ieee_inexact 0
		.amdhsa_exception_int_div_zero 0
	.end_amdhsa_kernel
	.text
.Lfunc_end30:
	.size	naive_conv_ab_packed_bwd_nchw_float_double_float_1, .Lfunc_end30-naive_conv_ab_packed_bwd_nchw_float_double_float_1
                                        ; -- End function
	.section	.AMDGPU.csdata,"",@progbits
; Kernel info:
; codeLenInByte = 1920
; NumSgprs: 67
; NumVgprs: 20
; NumAgprs: 0
; TotalNumVgprs: 20
; ScratchSize: 0
; MemoryBound: 0
; FloatMode: 240
; IeeeMode: 1
; LDSByteSize: 0 bytes/workgroup (compile time only)
; SGPRBlocks: 8
; VGPRBlocks: 2
; NumSGPRsForWavesPerEU: 67
; NumVGPRsForWavesPerEU: 20
; AccumOffset: 20
; Occupancy: 8
; WaveLimiterHint : 0
; COMPUTE_PGM_RSRC2:SCRATCH_EN: 0
; COMPUTE_PGM_RSRC2:USER_SGPR: 2
; COMPUTE_PGM_RSRC2:TRAP_HANDLER: 0
; COMPUTE_PGM_RSRC2:TGID_X_EN: 1
; COMPUTE_PGM_RSRC2:TGID_Y_EN: 0
; COMPUTE_PGM_RSRC2:TGID_Z_EN: 0
; COMPUTE_PGM_RSRC2:TIDIG_COMP_CNT: 0
; COMPUTE_PGM_RSRC3_GFX90A:ACCUM_OFFSET: 4
; COMPUTE_PGM_RSRC3_GFX90A:TG_SPLIT: 0
	.text
	.protected	naive_conv_ab_nonpacked_bwd_nchw_float_double_float_1 ; -- Begin function naive_conv_ab_nonpacked_bwd_nchw_float_double_float_1
	.globl	naive_conv_ab_nonpacked_bwd_nchw_float_double_float_1
	.p2align	8
	.type	naive_conv_ab_nonpacked_bwd_nchw_float_double_float_1,@function
naive_conv_ab_nonpacked_bwd_nchw_float_double_float_1: ; @naive_conv_ab_nonpacked_bwd_nchw_float_double_float_1
; %bb.0:
	s_load_dwordx8 s[20:27], s[0:1], 0xa0
	s_abs_i32 s3, s2
	s_waitcnt lgkmcnt(0)
	s_abs_i32 s5, s24
	v_cvt_f32_u32_e32 v1, s5
	s_sub_i32 s6, 0, s5
	s_mul_i32 s4, s24, s22
	s_mul_i32 s20, s21, s20
	v_rcp_iflag_f32_e32 v1, v1
	v_cmp_gt_i32_e32 vcc, s20, v0
	v_mul_f32_e32 v1, 0x4f7ffffe, v1
	v_cvt_u32_f32_e32 v1, v1
	s_nop 0
	v_readfirstlane_b32 s7, v1
	s_mul_i32 s6, s6, s7
	s_mul_hi_u32 s6, s7, s6
	s_add_i32 s7, s7, s6
	s_mul_hi_u32 s6, s3, s7
	s_mul_i32 s7, s6, s5
	s_sub_i32 s7, s3, s7
	s_add_i32 s8, s6, 1
	s_sub_i32 s9, s7, s5
	s_cmp_ge_u32 s7, s5
	s_cselect_b32 s6, s8, s6
	s_cselect_b32 s7, s9, s7
	s_add_i32 s8, s6, 1
	s_cmp_ge_u32 s7, s5
	s_cselect_b32 s5, s8, s6
	s_abs_i32 s33, s22
	s_abs_i32 s22, s4
	v_cvt_f32_u32_e32 v1, s33
	v_cvt_f32_u32_e32 v2, s22
	v_rcp_iflag_f32_e32 v1, v1
	v_rcp_iflag_f32_e32 v2, v2
	v_mul_f32_e32 v1, 0x4f7ffffe, v1
	v_mul_f32_e32 v2, 0x4f7ffffe, v2
	v_cvt_u32_f32_e32 v1, v1
	v_cvt_u32_f32_e32 v2, v2
	v_readfirstlane_b32 s7, v1
	v_readfirstlane_b32 s6, v2
	s_and_saveexec_b64 s[8:9], vcc
	s_cbranch_execz .LBB31_29
; %bb.1:
	s_load_dwordx8 s[36:43], s[0:1], 0x0
	s_load_dwordx2 s[34:35], s[0:1], 0x20
	s_load_dwordx8 s[44:51], s[0:1], 0xc0
	s_waitcnt lgkmcnt(0)
	s_ashr_i32 s51, s2, 31
	s_ashr_i32 s8, s24, 31
	s_xor_b32 s8, s51, s8
	s_xor_b32 s5, s5, s8
	s_sub_i32 s62, s5, s8
	s_sub_i32 s5, 0, s33
	s_mul_i32 s5, s5, s7
	s_mul_hi_u32 s5, s7, s5
	s_abs_i32 s64, s62
	s_add_i32 s7, s7, s5
	s_mul_hi_u32 s65, s64, s7
	s_ashr_i32 s66, s4, 31
	s_sub_i32 s4, 0, s22
	s_ashr_i32 s63, s62, 31
	s_mul_i32 s4, s4, s6
	s_mul_i32 s62, s62, s24
	;; [unrolled: 1-line block ×3, first 2 shown]
	s_mul_hi_u32 s4, s6, s4
	s_sub_i32 s62, s2, s62
	s_sub_i32 s2, s64, s65
	s_add_i32 s6, s6, s4
	s_sub_i32 s24, s2, s33
	s_cmp_ge_u32 s2, s33
	s_cselect_b32 s2, s24, s2
	s_sub_i32 s24, s2, s33
	s_mul_hi_u32 s67, s3, s6
	s_cmp_ge_u32 s2, s33
	s_cselect_b32 s2, s24, s2
	s_mul_i32 s33, s67, s22
	s_xor_b32 s2, s2, s63
	s_sub_i32 s3, s3, s33
	s_sub_i32 s24, s2, s63
	s_xor_b32 s2, s51, s66
	s_add_i32 s33, s67, 1
	s_sub_i32 s51, s3, s22
	s_cmp_ge_u32 s3, s22
	s_cselect_b32 s33, s33, s67
	s_cselect_b32 s3, s51, s3
	s_add_i32 s51, s33, 1
	s_cmp_ge_u32 s3, s22
	s_load_dwordx16 s[4:19], s[0:1], 0x28
	s_load_dwordx2 s[60:61], s[0:1], 0x98
	s_load_dwordx4 s[28:31], s[0:1], 0x88
	s_load_dwordx8 s[52:59], s[0:1], 0x68
	s_cselect_b32 s3, s51, s33
	s_xor_b32 s3, s3, s2
	s_ashr_i32 s22, s24, 31
	s_sub_i32 s63, s3, s2
	s_waitcnt lgkmcnt(0)
	s_mul_i32 s2, s12, s22
	s_mul_hi_u32 s3, s12, s24
	s_add_i32 s2, s3, s2
	s_mul_i32 s3, s13, s24
	s_ashr_i32 s66, s63, 31
	s_add_i32 s3, s2, s3
	s_mul_i32 s2, s12, s24
	s_mul_i32 s12, s10, s66
	s_mul_hi_u32 s13, s10, s63
	s_add_i32 s12, s13, s12
	s_mul_i32 s11, s11, s63
	s_ashr_i32 s67, s62, 31
	s_add_i32 s11, s12, s11
	s_mul_i32 s12, s8, s67
	s_mul_hi_u32 s13, s8, s62
	s_add_i32 s12, s13, s12
	s_mul_i32 s9, s9, s62
	s_add_i32 s9, s12, s9
	s_lshl_b64 s[2:3], s[2:3], 2
	s_mul_i32 s10, s10, s63
	s_add_u32 s12, s36, s2
	s_addc_u32 s13, s37, s3
	s_lshl_b64 s[2:3], s[10:11], 2
	s_mul_i32 s8, s8, s62
	s_add_u32 s10, s12, s2
	s_addc_u32 s11, s13, s3
	s_lshl_b64 s[2:3], s[8:9], 2
	s_add_u32 s2, s10, s2
	s_mul_i32 s8, s60, s22
	s_mul_hi_u32 s9, s60, s24
	s_addc_u32 s3, s11, s3
	s_add_i32 s8, s9, s8
	s_mul_i32 s9, s61, s24
	s_mul_i32 s10, s30, s66
	s_mul_hi_u32 s11, s30, s63
	s_add_i32 s9, s8, s9
	s_mul_i32 s8, s60, s24
	s_add_i32 s10, s11, s10
	s_mul_i32 s11, s31, s63
	s_add_i32 s11, s10, s11
	s_lshl_b64 s[8:9], s[8:9], 2
	s_mul_i32 s10, s30, s63
	s_add_u32 s12, s34, s8
	s_addc_u32 s13, s35, s9
	s_lshl_b64 s[8:9], s[10:11], 2
	s_add_u32 s22, s12, s8
	s_addc_u32 s24, s13, s9
	s_cmp_gt_i32 s23, 0
	s_cselect_b64 s[8:9], -1, 0
	s_cmp_gt_i32 s49, 0
	s_cselect_b64 s[10:11], -1, 0
	s_cmp_gt_i32 s50, 0
	s_load_dword s33, s[0:1], 0xec
	s_cselect_b64 s[0:1], -1, 0
	v_cmp_neq_f64_e64 s[12:13], s[40:41], 1.0
	v_cmp_neq_f64_e64 s[30:31], s[42:43], 0
	s_abs_i32 s64, s21
	s_or_b64 s[12:13], s[12:13], s[30:31]
	s_ashr_i32 s65, s27, 31
	s_abs_i32 s27, s27
	s_mul_i32 s30, s18, s67
	s_mul_hi_u32 s31, s18, s62
	v_cvt_f32_u32_e32 v1, s64
	s_add_i32 s30, s31, s30
	s_mul_i32 s19, s19, s62
	v_cvt_f32_u32_e32 v2, s27
	s_add_i32 s19, s30, s19
	s_mul_i32 s30, s54, s66
	s_ashr_i32 s66, s44, 31
	s_abs_i32 s44, s44
	v_cvt_f32_u32_e32 v3, s44
	v_rcp_iflag_f32_e32 v1, v1
	v_rcp_iflag_f32_e32 v2, v2
	s_mul_hi_u32 s31, s54, s63
	v_rcp_iflag_f32_e32 v3, v3
	v_mul_f32_e32 v1, 0x4f7ffffe, v1
	v_cvt_u32_f32_e32 v1, v1
	v_mul_f32_e32 v2, 0x4f7ffffe, v2
	v_cvt_u32_f32_e32 v2, v2
	v_mul_f32_e32 v3, 0x4f7ffffe, v3
	s_sub_i32 s34, 0, s64
	s_add_i32 s30, s31, s30
	s_mul_i32 s31, s55, s63
	v_cvt_u32_f32_e32 v3, v3
	s_sub_i32 s35, 0, s27
	s_mul_i32 s18, s18, s62
	s_add_i32 s31, s30, s31
	s_mul_i32 s30, s54, s63
	v_mul_lo_u32 v4, s34, v1
	s_waitcnt lgkmcnt(0)
	s_and_b32 s33, s33, 0xffff
	s_ashr_i32 s51, s21, 31
	s_lshl_b64 s[18:19], s[18:19], 2
	s_lshl_b64 s[30:31], s[30:31], 2
	s_sub_i32 s36, 0, s44
	v_mul_lo_u32 v5, s35, v2
	v_mul_hi_u32 v4, v1, v4
	s_add_u32 s30, s18, s30
	v_add_u32_e32 v1, v1, v4
	v_mul_hi_u32 v4, v2, v5
	s_addc_u32 s31, s19, s31
	v_add_u32_e32 v6, v2, v4
	v_mul_lo_u32 v2, s36, v3
	v_mul_hi_u32 v2, v3, v2
	s_add_u32 s30, s38, s30
	s_mov_b64 s[18:19], 0
	v_add_u32_e32 v7, v3, v2
	s_addc_u32 s31, s39, s31
	s_lshl_b64 s[34:35], s[52:53], 2
	s_lshl_b64 s[16:17], s[16:17], 2
	;; [unrolled: 1-line block ×3, first 2 shown]
	s_branch .LBB31_3
.LBB31_2:                               ;   in Loop: Header=BB31_3 Depth=1
	v_add_u32_e32 v0, s33, v0
	v_cmp_le_i32_e32 vcc, s20, v0
	v_cvt_f32_f64_e32 v2, v[2:3]
	s_or_b64 s[18:19], vcc, s[18:19]
	global_store_dword v[4:5], v2, off
	s_andn2_b64 exec, exec, s[18:19]
	s_cbranch_execz .LBB31_29
.LBB31_3:                               ; =>This Loop Header: Depth=1
                                        ;     Child Loop BB31_6 Depth 2
                                        ;       Child Loop BB31_9 Depth 3
                                        ;         Child Loop BB31_18 Depth 4
	v_sub_u32_e32 v3, 0, v0
	v_max_i32_e32 v3, v0, v3
	v_mul_hi_u32 v4, v3, v1
	v_mul_lo_u32 v5, v4, s64
	v_sub_u32_e32 v3, v3, v5
	v_add_u32_e32 v5, 1, v4
	v_cmp_le_u32_e32 vcc, s64, v3
	v_ashrrev_i32_e32 v2, 31, v0
	v_xor_b32_e32 v2, s51, v2
	v_cndmask_b32_e32 v4, v4, v5, vcc
	v_subrev_u32_e32 v5, s64, v3
	v_cndmask_b32_e32 v3, v3, v5, vcc
	v_add_u32_e32 v5, 1, v4
	v_cmp_le_u32_e32 vcc, s64, v3
	s_nop 1
	v_cndmask_b32_e32 v3, v4, v5, vcc
	v_xor_b32_e32 v3, v3, v2
	v_sub_u32_e32 v9, v3, v2
	v_mul_lo_u32 v2, v9, s21
	s_andn2_b64 vcc, exec, s[8:9]
	v_sub_u32_e32 v8, v0, v2
	s_cbranch_vccnz .LBB31_26
; %bb.4:                                ;   in Loop: Header=BB31_3 Depth=1
	v_add_u32_e32 v10, s47, v9
	v_add_u32_e32 v11, s48, v8
	s_mov_b32 s67, 0
	v_mov_b64_e32 v[2:3], 0
	s_mov_b64 s[36:37], s[30:31]
	s_branch .LBB31_6
.LBB31_5:                               ;   in Loop: Header=BB31_6 Depth=2
	s_add_i32 s67, s67, 1
	s_add_u32 s36, s36, s34
	s_addc_u32 s37, s37, s35
	s_cmp_eq_u32 s67, s23
	s_cbranch_scc1 .LBB31_27
.LBB31_6:                               ;   Parent Loop BB31_3 Depth=1
                                        ; =>  This Loop Header: Depth=2
                                        ;       Child Loop BB31_9 Depth 3
                                        ;         Child Loop BB31_18 Depth 4
	s_andn2_b64 vcc, exec, s[10:11]
	s_cbranch_vccnz .LBB31_5
; %bb.7:                                ;   in Loop: Header=BB31_6 Depth=2
	s_mul_i32 s38, s29, s67
	s_mul_hi_u32 s39, s28, s67
	s_add_i32 s39, s39, s38
	s_mul_i32 s38, s28, s67
	s_lshl_b64 s[38:39], s[38:39], 2
	s_add_u32 s38, s22, s38
	s_addc_u32 s39, s24, s39
	s_mov_b32 s68, 0
	s_mov_b64 s[52:53], s[36:37]
	s_branch .LBB31_9
.LBB31_8:                               ;   in Loop: Header=BB31_9 Depth=3
	s_add_i32 s68, s68, 1
	s_add_u32 s52, s52, s16
	s_addc_u32 s53, s53, s17
	s_cmp_eq_u32 s68, s49
	s_cbranch_scc1 .LBB31_5
.LBB31_9:                               ;   Parent Loop BB31_3 Depth=1
                                        ;     Parent Loop BB31_6 Depth=2
                                        ; =>    This Loop Header: Depth=3
                                        ;         Child Loop BB31_18 Depth 4
	s_mul_i32 s54, s68, s45
	v_subrev_u32_e32 v14, s54, v10
	v_cmp_lt_i32_e32 vcc, -1, v14
	s_mov_b64 s[54:55], 0
                                        ; implicit-def: $sgpr62
                                        ; implicit-def: $vgpr4
                                        ; implicit-def: $vgpr5
                                        ; implicit-def: $vgpr12
                                        ; implicit-def: $vgpr13
	s_and_saveexec_b64 s[60:61], vcc
	s_xor_b64 s[60:61], exec, s[60:61]
	s_cbranch_execnz .LBB31_13
; %bb.10:                               ;   in Loop: Header=BB31_9 Depth=3
	s_andn2_saveexec_b64 s[60:61], s[60:61]
	s_cbranch_execnz .LBB31_14
.LBB31_11:                              ;   in Loop: Header=BB31_9 Depth=3
	s_or_b64 exec, exec, s[60:61]
	v_mov_b32_e32 v14, s62
	s_and_saveexec_b64 s[60:61], s[54:55]
	s_cbranch_execnz .LBB31_15
.LBB31_12:                              ;   in Loop: Header=BB31_9 Depth=3
	s_or_b64 exec, exec, s[60:61]
	s_andn2_b64 vcc, exec, s[0:1]
	s_cbranch_vccz .LBB31_16
	s_branch .LBB31_8
.LBB31_13:                              ;   in Loop: Header=BB31_9 Depth=3
	v_sub_u32_e32 v5, 0, v14
	v_max_i32_e32 v12, v14, v5
	v_mul_hi_u32 v5, v12, v6
	v_mul_lo_u32 v13, v5, s27
	v_sub_u32_e32 v12, v12, v13
	v_subrev_u32_e32 v13, s27, v12
	v_cmp_le_u32_e32 vcc, s27, v12
	v_ashrrev_i32_e32 v4, 31, v14
	s_mov_b32 s62, 1
	v_cndmask_b32_e32 v14, v12, v13, vcc
	v_subrev_u32_e32 v15, s27, v14
	v_cmp_le_u32_e32 vcc, s27, v14
	s_nop 1
	v_cndmask_b32_e32 v14, v14, v15, vcc
	v_xor_b32_e32 v14, v14, v4
	v_sub_u32_e32 v14, v14, v4
	v_cmp_ne_u32_e32 vcc, 0, v14
	s_and_b64 s[54:55], vcc, exec
                                        ; implicit-def: $vgpr14
	s_andn2_saveexec_b64 s[60:61], s[60:61]
	s_cbranch_execz .LBB31_11
.LBB31_14:                              ;   in Loop: Header=BB31_9 Depth=3
	v_sub_u32_e32 v5, 0, v14
	v_max_i32_e32 v12, v14, v5
	v_mul_hi_u32 v5, v12, v6
	v_mul_lo_u32 v13, v5, s27
	v_sub_u32_e32 v12, v12, v13
	v_ashrrev_i32_e32 v4, 31, v14
	v_subrev_u32_e32 v13, s27, v12
	s_or_b64 s[54:55], s[54:55], exec
	s_or_b64 exec, exec, s[60:61]
	v_mov_b32_e32 v14, s62
	s_and_saveexec_b64 s[60:61], s[54:55]
	s_cbranch_execz .LBB31_12
.LBB31_15:                              ;   in Loop: Header=BB31_9 Depth=3
	v_mov_b32_e32 v14, 0
	s_or_b64 exec, exec, s[60:61]
	s_andn2_b64 vcc, exec, s[0:1]
	s_cbranch_vccnz .LBB31_8
.LBB31_16:                              ;   in Loop: Header=BB31_9 Depth=3
	v_add_u32_e32 v15, 1, v5
	v_cmp_le_u32_e32 vcc, s27, v12
	v_xor_b32_e32 v4, s65, v4
	s_mov_b32 s69, s50
	v_cndmask_b32_e32 v5, v5, v15, vcc
	v_cndmask_b32_e32 v12, v12, v13, vcc
	v_add_u32_e32 v13, 1, v5
	v_cmp_le_u32_e32 vcc, s27, v12
	s_nop 1
	v_cndmask_b32_e32 v5, v5, v13, vcc
	v_xor_b32_e32 v5, v5, v4
	v_sub_u32_e32 v4, v5, v4
	v_cmp_gt_i32_e32 vcc, s25, v4
	v_ashrrev_i32_e32 v5, 31, v4
	v_mul_lo_u32 v13, s58, v5
	v_cndmask_b32_e32 v12, 0, v14, vcc
	v_mul_lo_u32 v14, s59, v4
	v_mad_u64_u32 v[4:5], s[54:55], s58, v4, 0
	v_add3_u32 v5, v5, v13, v14
	v_lshl_add_u64 v[4:5], v[4:5], 2, s[38:39]
	s_mov_b64 s[54:55], s[52:53]
	v_mov_b32_e32 v13, v11
	s_branch .LBB31_18
.LBB31_17:                              ;   in Loop: Header=BB31_18 Depth=4
	s_or_b64 exec, exec, s[60:61]
	s_add_i32 s69, s69, -1
	s_add_u32 s54, s54, s14
	s_addc_u32 s55, s55, s15
	s_cmp_eq_u32 s69, 0
	v_subrev_u32_e32 v13, s46, v13
	s_cbranch_scc1 .LBB31_8
.LBB31_18:                              ;   Parent Loop BB31_3 Depth=1
                                        ;     Parent Loop BB31_6 Depth=2
                                        ;       Parent Loop BB31_9 Depth=3
                                        ; =>      This Inner Loop Header: Depth=4
	v_cmp_lt_i32_e32 vcc, -1, v13
	s_mov_b64 s[60:61], 0
	v_sub_u32_e32 v18, 0, v13
                                        ; implicit-def: $sgpr70
                                        ; implicit-def: $vgpr14
                                        ; implicit-def: $vgpr15
                                        ; implicit-def: $vgpr16
                                        ; implicit-def: $vgpr17
	s_and_saveexec_b64 s[62:63], vcc
	s_xor_b64 s[62:63], exec, s[62:63]
	s_cbranch_execnz .LBB31_24
; %bb.19:                               ;   in Loop: Header=BB31_18 Depth=4
	s_andn2_saveexec_b64 s[62:63], s[62:63]
	s_cbranch_execnz .LBB31_25
.LBB31_20:                              ;   in Loop: Header=BB31_18 Depth=4
	s_or_b64 exec, exec, s[62:63]
	v_mov_b32_e32 v18, s70
	s_and_saveexec_b64 s[62:63], s[60:61]
.LBB31_21:                              ;   in Loop: Header=BB31_18 Depth=4
	v_mov_b32_e32 v18, 0
.LBB31_22:                              ;   in Loop: Header=BB31_18 Depth=4
	s_or_b64 exec, exec, s[62:63]
	v_add_u32_e32 v19, 1, v15
	v_cmp_le_u32_e32 vcc, s44, v16
	v_xor_b32_e32 v14, s66, v14
	s_nop 0
	v_cndmask_b32_e32 v15, v15, v19, vcc
	v_cndmask_b32_e32 v16, v16, v17, vcc
	v_add_u32_e32 v17, 1, v15
	v_cmp_le_u32_e32 vcc, s44, v16
	s_nop 1
	v_cndmask_b32_e32 v15, v15, v17, vcc
	v_xor_b32_e32 v15, v15, v14
	v_sub_u32_e32 v14, v15, v14
	v_cmp_gt_i32_e32 vcc, s26, v14
	s_nop 1
	v_cndmask_b32_e32 v15, 0, v18, vcc
	v_and_b32_e32 v15, v15, v12
	v_cmp_ne_u32_e32 vcc, 0, v15
	s_and_saveexec_b64 s[60:61], vcc
	s_cbranch_execz .LBB31_17
; %bb.23:                               ;   in Loop: Header=BB31_18 Depth=4
	v_ashrrev_i32_e32 v15, 31, v14
	v_mul_lo_u32 v16, s57, v14
	v_mul_lo_u32 v17, s56, v15
	v_mad_u64_u32 v[14:15], s[62:63], s56, v14, 0
	v_add3_u32 v15, v15, v17, v16
	v_lshl_add_u64 v[14:15], v[14:15], 2, v[4:5]
	global_load_dword v14, v[14:15], off
	s_load_dword s62, s[54:55], 0x0
	s_waitcnt lgkmcnt(0)
	s_and_b32 s62, s62, 0xffffe000
	v_cvt_f64_f32_e32 v[16:17], s62
	s_waitcnt vmcnt(0)
	v_and_b32_e32 v14, 0xffffe000, v14
	v_cvt_f64_f32_e32 v[14:15], v14
	v_fmac_f64_e32 v[2:3], v[14:15], v[16:17]
	s_branch .LBB31_17
.LBB31_24:                              ;   in Loop: Header=BB31_18 Depth=4
	v_max_i32_e32 v16, v13, v18
	v_mul_hi_u32 v15, v16, v7
	v_mul_lo_u32 v17, v15, s44
	v_sub_u32_e32 v16, v16, v17
	v_subrev_u32_e32 v17, s44, v16
	v_cmp_le_u32_e32 vcc, s44, v16
	v_ashrrev_i32_e32 v14, 31, v13
	s_mov_b32 s70, 1
	v_cndmask_b32_e32 v18, v16, v17, vcc
	v_subrev_u32_e32 v19, s44, v18
	v_cmp_le_u32_e32 vcc, s44, v18
	s_nop 1
	v_cndmask_b32_e32 v18, v18, v19, vcc
	v_xor_b32_e32 v18, v18, v14
	v_sub_u32_e32 v18, v18, v14
	v_cmp_ne_u32_e32 vcc, 0, v18
	s_and_b64 s[60:61], vcc, exec
                                        ; implicit-def: $vgpr18
	s_andn2_saveexec_b64 s[62:63], s[62:63]
	s_cbranch_execz .LBB31_20
.LBB31_25:                              ;   in Loop: Header=BB31_18 Depth=4
	v_max_i32_e32 v16, v13, v18
	v_mul_hi_u32 v15, v16, v7
	v_mul_lo_u32 v17, v15, s44
	v_sub_u32_e32 v16, v16, v17
	v_ashrrev_i32_e32 v14, 31, v13
	v_subrev_u32_e32 v17, s44, v16
	s_or_b64 s[60:61], s[60:61], exec
	s_or_b64 exec, exec, s[62:63]
	v_mov_b32_e32 v18, s70
	s_and_saveexec_b64 s[62:63], s[60:61]
	s_cbranch_execnz .LBB31_21
	s_branch .LBB31_22
.LBB31_26:                              ;   in Loop: Header=BB31_3 Depth=1
	v_mov_b64_e32 v[2:3], 0
.LBB31_27:                              ;   in Loop: Header=BB31_3 Depth=1
	v_ashrrev_i32_e32 v4, 31, v9
	v_mul_lo_u32 v10, s7, v9
	v_mul_lo_u32 v11, s6, v4
	v_mad_u64_u32 v[4:5], s[36:37], s6, v9, 0
	v_ashrrev_i32_e32 v9, 31, v8
	v_add3_u32 v5, v5, v11, v10
	v_mul_lo_u32 v10, s5, v8
	v_mul_lo_u32 v11, s4, v9
	v_mad_u64_u32 v[8:9], s[36:37], s4, v8, 0
	v_add3_u32 v9, v9, v11, v10
	v_lshl_add_u64 v[4:5], v[4:5], 2, s[2:3]
	s_andn2_b64 vcc, exec, s[12:13]
	v_lshl_add_u64 v[4:5], v[8:9], 2, v[4:5]
	s_cbranch_vccnz .LBB31_2
; %bb.28:                               ;   in Loop: Header=BB31_3 Depth=1
	global_load_dword v8, v[4:5], off
	s_waitcnt vmcnt(0)
	v_cvt_f64_f32_e32 v[8:9], v8
	v_mul_f64 v[8:9], v[8:9], s[42:43]
	v_fmac_f64_e32 v[8:9], s[40:41], v[2:3]
	v_mov_b64_e32 v[2:3], v[8:9]
	s_branch .LBB31_2
.LBB31_29:
	s_endpgm
	.section	.rodata,"a",@progbits
	.p2align	6, 0x0
	.amdhsa_kernel naive_conv_ab_nonpacked_bwd_nchw_float_double_float_1
		.amdhsa_group_segment_fixed_size 0
		.amdhsa_private_segment_fixed_size 0
		.amdhsa_kernarg_size 480
		.amdhsa_user_sgpr_count 2
		.amdhsa_user_sgpr_dispatch_ptr 0
		.amdhsa_user_sgpr_queue_ptr 0
		.amdhsa_user_sgpr_kernarg_segment_ptr 1
		.amdhsa_user_sgpr_dispatch_id 0
		.amdhsa_user_sgpr_kernarg_preload_length 0
		.amdhsa_user_sgpr_kernarg_preload_offset 0
		.amdhsa_user_sgpr_private_segment_size 0
		.amdhsa_uses_dynamic_stack 0
		.amdhsa_enable_private_segment 0
		.amdhsa_system_sgpr_workgroup_id_x 1
		.amdhsa_system_sgpr_workgroup_id_y 0
		.amdhsa_system_sgpr_workgroup_id_z 0
		.amdhsa_system_sgpr_workgroup_info 0
		.amdhsa_system_vgpr_workitem_id 0
		.amdhsa_next_free_vgpr 20
		.amdhsa_next_free_sgpr 71
		.amdhsa_accum_offset 20
		.amdhsa_reserve_vcc 1
		.amdhsa_float_round_mode_32 0
		.amdhsa_float_round_mode_16_64 0
		.amdhsa_float_denorm_mode_32 3
		.amdhsa_float_denorm_mode_16_64 3
		.amdhsa_dx10_clamp 1
		.amdhsa_ieee_mode 1
		.amdhsa_fp16_overflow 0
		.amdhsa_tg_split 0
		.amdhsa_exception_fp_ieee_invalid_op 0
		.amdhsa_exception_fp_denorm_src 0
		.amdhsa_exception_fp_ieee_div_zero 0
		.amdhsa_exception_fp_ieee_overflow 0
		.amdhsa_exception_fp_ieee_underflow 0
		.amdhsa_exception_fp_ieee_inexact 0
		.amdhsa_exception_int_div_zero 0
	.end_amdhsa_kernel
	.text
.Lfunc_end31:
	.size	naive_conv_ab_nonpacked_bwd_nchw_float_double_float_1, .Lfunc_end31-naive_conv_ab_nonpacked_bwd_nchw_float_double_float_1
                                        ; -- End function
	.section	.AMDGPU.csdata,"",@progbits
; Kernel info:
; codeLenInByte = 2044
; NumSgprs: 77
; NumVgprs: 20
; NumAgprs: 0
; TotalNumVgprs: 20
; ScratchSize: 0
; MemoryBound: 0
; FloatMode: 240
; IeeeMode: 1
; LDSByteSize: 0 bytes/workgroup (compile time only)
; SGPRBlocks: 9
; VGPRBlocks: 2
; NumSGPRsForWavesPerEU: 77
; NumVGPRsForWavesPerEU: 20
; AccumOffset: 20
; Occupancy: 8
; WaveLimiterHint : 0
; COMPUTE_PGM_RSRC2:SCRATCH_EN: 0
; COMPUTE_PGM_RSRC2:USER_SGPR: 2
; COMPUTE_PGM_RSRC2:TRAP_HANDLER: 0
; COMPUTE_PGM_RSRC2:TGID_X_EN: 1
; COMPUTE_PGM_RSRC2:TGID_Y_EN: 0
; COMPUTE_PGM_RSRC2:TGID_Z_EN: 0
; COMPUTE_PGM_RSRC2:TIDIG_COMP_CNT: 0
; COMPUTE_PGM_RSRC3_GFX90A:ACCUM_OFFSET: 4
; COMPUTE_PGM_RSRC3_GFX90A:TG_SPLIT: 0
	.text
	.protected	naive_conv_ab_packed_bwd_nchw_half_double_half_0 ; -- Begin function naive_conv_ab_packed_bwd_nchw_half_double_half_0
	.globl	naive_conv_ab_packed_bwd_nchw_half_double_half_0
	.p2align	8
	.type	naive_conv_ab_packed_bwd_nchw_half_double_half_0,@function
naive_conv_ab_packed_bwd_nchw_half_double_half_0: ; @naive_conv_ab_packed_bwd_nchw_half_double_half_0
; %bb.0:
	s_load_dwordx16 s[4:19], s[0:1], 0xa0
	s_abs_i32 s3, s2
	s_waitcnt lgkmcnt(0)
	s_abs_i32 s20, s8
	v_cvt_f32_u32_e32 v1, s20
	s_sub_i32 s21, 0, s20
	s_mul_i32 s30, s8, s6
	v_rcp_iflag_f32_e32 v1, v1
	s_nop 0
	v_mul_f32_e32 v1, 0x4f7ffffe, v1
	v_cvt_u32_f32_e32 v1, v1
	s_nop 0
	v_readfirstlane_b32 s22, v1
	s_mul_i32 s21, s21, s22
	s_mul_hi_u32 s21, s22, s21
	s_add_i32 s22, s22, s21
	s_mul_hi_u32 s21, s3, s22
	s_mul_i32 s22, s21, s20
	s_sub_i32 s22, s3, s22
	s_add_i32 s23, s21, 1
	s_sub_i32 s24, s22, s20
	s_cmp_ge_u32 s22, s20
	s_cselect_b32 s21, s23, s21
	s_cselect_b32 s22, s24, s22
	s_add_i32 s23, s21, 1
	s_cmp_ge_u32 s22, s20
	s_cselect_b32 s31, s23, s21
	s_abs_i32 s29, s6
	s_abs_i32 s28, s30
	v_cvt_f32_u32_e32 v1, s29
	v_cvt_f32_u32_e32 v2, s28
	s_mul_i32 s6, s5, s4
	v_cmp_gt_i32_e32 vcc, s6, v0
	v_rcp_iflag_f32_e32 v1, v1
	v_rcp_iflag_f32_e32 v2, v2
	v_mul_f32_e32 v1, 0x4f7ffffe, v1
	v_mul_f32_e32 v2, 0x4f7ffffe, v2
	v_cvt_u32_f32_e32 v1, v1
	v_cvt_u32_f32_e32 v2, v2
	v_readfirstlane_b32 s34, v1
	v_readfirstlane_b32 s33, v2
	s_and_saveexec_b64 s[20:21], vcc
	s_cbranch_execz .LBB32_31
; %bb.1:
	s_ashr_i32 s35, s2, 31
	s_ashr_i32 s36, s8, 31
	s_xor_b32 s37, s35, s36
	s_sub_i32 s39, 0, s29
	s_xor_b32 s31, s31, s37
	s_mul_i32 s39, s39, s34
	s_sub_i32 s31, s31, s37
	s_mul_hi_u32 s39, s34, s39
	s_abs_i32 s38, s31
	s_add_i32 s34, s34, s39
	s_mul_hi_u32 s34, s38, s34
	s_sub_i32 s39, 0, s28
	s_ashr_i32 s37, s31, 31
	s_mul_i32 s39, s39, s33
	s_mul_i32 s31, s31, s8
	;; [unrolled: 1-line block ×3, first 2 shown]
	s_mul_hi_u32 s39, s33, s39
	s_sub_i32 s40, s2, s31
	s_sub_i32 s2, s38, s34
	s_ashr_i32 s30, s30, 31
	s_add_i32 s33, s33, s39
	s_sub_i32 s31, s2, s29
	s_cmp_ge_u32 s2, s29
	s_cselect_b32 s2, s31, s2
	s_sub_i32 s31, s2, s29
	s_cmp_ge_u32 s2, s29
	s_cselect_b32 s2, s31, s2
	s_mul_hi_u32 s33, s3, s33
	s_xor_b32 s2, s2, s37
	s_sub_i32 s29, s2, s37
	s_xor_b32 s2, s35, s30
	s_mul_i32 s30, s33, s28
	s_sub_i32 s3, s3, s30
	s_add_i32 s30, s33, 1
	s_sub_i32 s31, s3, s28
	s_cmp_ge_u32 s3, s28
	s_cselect_b32 s30, s30, s33
	s_cselect_b32 s3, s31, s3
	s_add_i32 s31, s30, 1
	s_cmp_ge_u32 s3, s28
	s_cselect_b32 s3, s31, s30
	s_mul_i32 s39, s19, s7
	s_mul_i32 s19, s19, s8
	s_xor_b32 s3, s3, s2
	s_sub_i32 s28, s3, s2
	s_mul_i32 s3, s29, s19
	s_ashr_i32 s33, s5, 31
	s_ashr_i32 s37, s40, 31
	s_mul_hi_i32 s2, s29, s19
	s_add_u32 s3, s3, s40
	s_mul_i32 s30, s28, s8
	s_addc_u32 s2, s2, s37
	s_mul_hi_i32 s19, s28, s8
	s_add_u32 s30, s3, s30
	s_load_dwordx8 s[20:27], s[0:1], 0x0
	s_addc_u32 s2, s2, s19
	s_mul_hi_i32 s3, s5, s4
	s_mul_i32 s2, s6, s2
	s_mul_hi_u32 s4, s6, s30
	s_add_i32 s2, s4, s2
	s_mul_i32 s3, s3, s30
	s_add_i32 s3, s2, s3
	s_mul_i32 s2, s6, s30
	s_lshl_b64 s[2:3], s[2:3], 1
	s_waitcnt lgkmcnt(0)
	s_add_u32 s2, s20, s2
	s_mul_i32 s20, s28, s7
	s_addc_u32 s3, s21, s3
	s_mul_hi_i32 s4, s28, s7
	s_mul_i32 s19, s20, s36
	s_mul_hi_u32 s21, s20, s8
	s_add_i32 s19, s21, s19
	s_mul_i32 s21, s4, s8
	s_add_i32 s41, s19, s21
	s_ashr_i32 s19, s18, 31
	s_mul_hi_i32 s21, s29, s39
	s_mul_i32 s29, s29, s39
	s_ashr_i32 s50, s9, 31
	s_ashr_i32 s52, s10, 31
	s_add_u32 s28, s20, s29
	s_mul_i32 s42, s20, s8
	s_mov_b32 s51, s9
	s_addc_u32 s4, s4, s21
	s_mul_hi_i32 s20, s10, s9
	s_mul_i32 s9, s10, s9
	s_mul_i32 s4, s9, s4
	s_mul_hi_u32 s21, s9, s28
	s_add_i32 s4, s21, s4
	s_mul_i32 s29, s20, s28
	s_load_dwordx2 s[20:21], s[0:1], 0x20
	s_add_i32 s29, s4, s29
	s_mul_i32 s28, s9, s28
	s_load_dword s9, s[0:1], 0xec
	s_lshl_b64 s[28:29], s[28:29], 1
	s_waitcnt lgkmcnt(0)
	s_add_u32 s0, s20, s28
	s_addc_u32 s1, s21, s29
	s_cmp_gt_i32 s7, 0
	s_cselect_b64 s[20:21], -1, 0
	s_cmp_gt_i32 s17, 0
	s_cselect_b64 s[28:29], -1, 0
	;; [unrolled: 2-line block ×3, first 2 shown]
	s_abs_i32 s53, s5
	v_cvt_f32_u32_e32 v1, s53
	s_and_b32 s55, s9, 0xffff
	s_abs_i32 s56, s11
	s_sub_i32 s9, 0, s53
	v_rcp_iflag_f32_e32 v1, v1
	v_cvt_f32_u32_e32 v2, s56
	s_abs_i32 s57, s12
	v_cmp_neq_f64_e64 s[34:35], s[24:25], 1.0
	v_mul_f32_e32 v1, 0x4f7ffffe, v1
	v_cvt_u32_f32_e32 v1, v1
	v_rcp_iflag_f32_e32 v2, v2
	v_cmp_neq_f64_e64 s[38:39], s[26:27], 0
	s_or_b64 s[34:35], s[34:35], s[38:39]
	v_mul_lo_u32 v3, s9, v1
	v_mul_hi_u32 v3, v1, v3
	v_add_u32_e32 v1, v1, v3
	v_cvt_f32_u32_e32 v3, s57
	v_mul_f32_e32 v2, 0x4f7ffffe, v2
	v_cvt_u32_f32_e32 v2, v2
	s_sub_i32 s9, 0, s56
	v_rcp_iflag_f32_e32 v3, v3
	s_ashr_i32 s58, s11, 31
	v_mul_lo_u32 v4, s9, v2
	v_mul_hi_u32 v4, v2, v4
	v_mul_f32_e32 v3, 0x4f7ffffe, v3
	v_cvt_u32_f32_e32 v3, v3
	s_ashr_i32 s12, s12, 31
	s_sub_i32 s9, 0, s57
	v_add_u32_e32 v10, v2, v4
	v_mul_lo_u32 v2, s9, v3
	s_add_u32 s9, s42, s40
	s_mov_b32 s54, s10
	s_addc_u32 s10, s41, s37
	s_mul_i32 s37, s18, s17
	s_mov_b32 s49, s17
	s_mul_i32 s10, s37, s10
	s_mul_hi_u32 s11, s37, s9
	s_mul_hi_i32 s17, s18, s17
	s_add_i32 s10, s11, s10
	s_mul_i32 s11, s17, s9
	s_add_i32 s11, s10, s11
	s_mul_i32 s10, s37, s9
	s_lshl_b64 s[10:11], s[10:11], 1
	s_add_u32 s10, s22, s10
	s_mul_i32 s9, s37, s36
	s_mul_hi_u32 s22, s37, s8
	s_addc_u32 s11, s23, s11
	s_add_i32 s9, s22, s9
	s_mul_i32 s17, s17, s8
	v_mul_hi_u32 v2, v3, v2
	s_add_i32 s9, s9, s17
	s_mul_i32 s8, s37, s8
	s_mov_b32 s48, s5
	s_mov_b64 s[4:5], 0
	v_add_u32_e32 v11, v3, v2
	s_lshl_b64 s[8:9], s[8:9], 1
	s_lshl_b64 s[22:23], s[18:19], 1
	v_mov_b32_e32 v12, 0
	s_branch .LBB32_3
.LBB32_2:                               ;   in Loop: Header=BB32_3 Depth=1
	v_add_u32_e32 v0, s55, v0
	v_cmp_le_i32_e32 vcc, s6, v0
	s_or_b64 s[4:5], vcc, s[4:5]
	s_andn2_b64 exec, exec, s[4:5]
	s_cbranch_execz .LBB32_31
.LBB32_3:                               ; =>This Loop Header: Depth=1
                                        ;     Child Loop BB32_6 Depth 2
                                        ;       Child Loop BB32_9 Depth 3
                                        ;         Child Loop BB32_18 Depth 4
	v_sub_u32_e32 v3, 0, v0
	v_max_i32_e32 v3, v0, v3
	v_mul_hi_u32 v4, v3, v1
	v_mul_lo_u32 v5, v4, s53
	v_sub_u32_e32 v3, v3, v5
	v_add_u32_e32 v5, 1, v4
	v_cmp_le_u32_e32 vcc, s53, v3
	v_ashrrev_i32_e32 v2, 31, v0
	v_xor_b32_e32 v2, s33, v2
	v_cndmask_b32_e32 v4, v4, v5, vcc
	v_subrev_u32_e32 v5, s53, v3
	v_cndmask_b32_e32 v3, v3, v5, vcc
	v_add_u32_e32 v5, 1, v4
	v_cmp_le_u32_e32 vcc, s53, v3
	s_nop 1
	v_cndmask_b32_e32 v3, v4, v5, vcc
	v_xor_b32_e32 v3, v3, v2
	v_sub_u32_e32 v13, v3, v2
	v_mul_lo_u32 v2, v13, s48
	s_andn2_b64 vcc, exec, s[20:21]
	v_sub_u32_e32 v4, v0, v2
	s_cbranch_vccnz .LBB32_26
; %bb.4:                                ;   in Loop: Header=BB32_3 Depth=1
	v_add_u32_e32 v5, s15, v13
	v_add_u32_e32 v14, s16, v4
	s_mov_b32 s17, 0
	v_mov_b64_e32 v[2:3], 0
	s_mov_b64 s[36:37], s[10:11]
	s_branch .LBB32_6
.LBB32_5:                               ;   in Loop: Header=BB32_6 Depth=2
	s_add_i32 s17, s17, 1
	s_add_u32 s36, s36, s8
	s_addc_u32 s37, s37, s9
	s_cmp_eq_u32 s17, s7
	s_cbranch_scc1 .LBB32_27
.LBB32_6:                               ;   Parent Loop BB32_3 Depth=1
                                        ; =>  This Loop Header: Depth=2
                                        ;       Child Loop BB32_9 Depth 3
                                        ;         Child Loop BB32_18 Depth 4
	s_andn2_b64 vcc, exec, s[28:29]
	s_cbranch_vccnz .LBB32_5
; %bb.7:                                ;   in Loop: Header=BB32_6 Depth=2
	s_mul_i32 s19, s17, s50
	s_mul_hi_u32 s38, s17, s51
	s_add_i32 s39, s38, s19
	s_mul_i32 s38, s17, s51
	s_mov_b32 s19, 0
	s_mov_b64 s[40:41], s[36:37]
	s_branch .LBB32_9
.LBB32_8:                               ;   in Loop: Header=BB32_9 Depth=3
	s_add_i32 s19, s19, 1
	s_add_u32 s40, s40, s22
	s_addc_u32 s41, s41, s23
	s_cmp_eq_u32 s19, s49
	s_cbranch_scc1 .LBB32_5
.LBB32_9:                               ;   Parent Loop BB32_3 Depth=1
                                        ;     Parent Loop BB32_6 Depth=2
                                        ; =>    This Loop Header: Depth=3
                                        ;         Child Loop BB32_18 Depth 4
	s_mul_i32 s42, s19, s13
	v_subrev_u32_e32 v15, s42, v5
	v_cmp_lt_i32_e32 vcc, -1, v15
	s_mov_b64 s[42:43], 0
                                        ; implicit-def: $sgpr46
                                        ; implicit-def: $vgpr6
                                        ; implicit-def: $vgpr7
                                        ; implicit-def: $vgpr8
                                        ; implicit-def: $vgpr9
	s_and_saveexec_b64 s[44:45], vcc
	s_xor_b64 s[44:45], exec, s[44:45]
	s_cbranch_execnz .LBB32_13
; %bb.10:                               ;   in Loop: Header=BB32_9 Depth=3
	s_andn2_saveexec_b64 s[44:45], s[44:45]
	s_cbranch_execnz .LBB32_14
.LBB32_11:                              ;   in Loop: Header=BB32_9 Depth=3
	s_or_b64 exec, exec, s[44:45]
	v_mov_b32_e32 v15, s46
	s_and_saveexec_b64 s[44:45], s[42:43]
	s_cbranch_execnz .LBB32_15
.LBB32_12:                              ;   in Loop: Header=BB32_9 Depth=3
	s_or_b64 exec, exec, s[44:45]
	s_andn2_b64 vcc, exec, s[30:31]
	s_cbranch_vccz .LBB32_16
	s_branch .LBB32_8
.LBB32_13:                              ;   in Loop: Header=BB32_9 Depth=3
	v_sub_u32_e32 v7, 0, v15
	v_max_i32_e32 v8, v15, v7
	v_mul_hi_u32 v7, v8, v10
	v_mul_lo_u32 v9, v7, s56
	v_sub_u32_e32 v8, v8, v9
	v_subrev_u32_e32 v9, s56, v8
	v_cmp_le_u32_e32 vcc, s56, v8
	v_ashrrev_i32_e32 v6, 31, v15
	s_mov_b32 s46, 1
	v_cndmask_b32_e32 v15, v8, v9, vcc
	v_subrev_u32_e32 v16, s56, v15
	v_cmp_le_u32_e32 vcc, s56, v15
	s_nop 1
	v_cndmask_b32_e32 v15, v15, v16, vcc
	v_xor_b32_e32 v15, v15, v6
	v_sub_u32_e32 v15, v15, v6
	v_cmp_ne_u32_e32 vcc, 0, v15
	s_and_b64 s[42:43], vcc, exec
                                        ; implicit-def: $vgpr15
	s_andn2_saveexec_b64 s[44:45], s[44:45]
	s_cbranch_execz .LBB32_11
.LBB32_14:                              ;   in Loop: Header=BB32_9 Depth=3
	v_sub_u32_e32 v7, 0, v15
	v_max_i32_e32 v8, v15, v7
	v_mul_hi_u32 v7, v8, v10
	v_mul_lo_u32 v9, v7, s56
	v_sub_u32_e32 v8, v8, v9
	v_ashrrev_i32_e32 v6, 31, v15
	v_subrev_u32_e32 v9, s56, v8
	s_or_b64 s[42:43], s[42:43], exec
	s_or_b64 exec, exec, s[44:45]
	v_mov_b32_e32 v15, s46
	s_and_saveexec_b64 s[44:45], s[42:43]
	s_cbranch_execz .LBB32_12
.LBB32_15:                              ;   in Loop: Header=BB32_9 Depth=3
	v_mov_b32_e32 v15, 0
	s_or_b64 exec, exec, s[44:45]
	s_andn2_b64 vcc, exec, s[30:31]
	s_cbranch_vccnz .LBB32_8
.LBB32_16:                              ;   in Loop: Header=BB32_9 Depth=3
	v_add_u32_e32 v16, 1, v7
	v_cmp_le_u32_e32 vcc, s56, v8
	v_xor_b32_e32 v6, s58, v6
	s_mov_b32 s59, s18
	v_cndmask_b32_e32 v7, v7, v16, vcc
	v_cndmask_b32_e32 v8, v8, v9, vcc
	v_add_u32_e32 v9, 1, v7
	v_cmp_le_u32_e32 vcc, s56, v8
	v_mov_b32_e32 v16, v14
	s_nop 0
	v_cndmask_b32_e32 v7, v7, v9, vcc
	v_xor_b32_e32 v7, v7, v6
	v_sub_u32_e32 v6, v7, v6
	v_ashrrev_i32_e32 v7, 31, v6
	v_cmp_gt_i32_e32 vcc, s51, v6
	v_lshl_add_u64 v[6:7], s[38:39], 0, v[6:7]
	v_mul_lo_u32 v8, v7, s54
	v_mul_lo_u32 v9, v6, s52
	v_mad_u64_u32 v[6:7], s[42:43], v6, s54, 0
	v_add3_u32 v7, v7, v9, v8
	v_cndmask_b32_e32 v15, 0, v15, vcc
	v_lshl_add_u64 v[6:7], v[6:7], 1, s[0:1]
	s_mov_b64 s[42:43], s[40:41]
	s_branch .LBB32_18
.LBB32_17:                              ;   in Loop: Header=BB32_18 Depth=4
	s_or_b64 exec, exec, s[44:45]
	s_add_i32 s59, s59, -1
	s_add_u32 s42, s42, 2
	s_addc_u32 s43, s43, 0
	s_cmp_eq_u32 s59, 0
	v_subrev_u32_e32 v16, s14, v16
	s_cbranch_scc1 .LBB32_8
.LBB32_18:                              ;   Parent Loop BB32_3 Depth=1
                                        ;     Parent Loop BB32_6 Depth=2
                                        ;       Parent Loop BB32_9 Depth=3
                                        ; =>      This Inner Loop Header: Depth=4
	v_cmp_lt_i32_e32 vcc, -1, v16
	s_mov_b64 s[44:45], 0
	v_sub_u32_e32 v19, 0, v16
                                        ; implicit-def: $sgpr60
                                        ; implicit-def: $vgpr8
                                        ; implicit-def: $vgpr9
                                        ; implicit-def: $vgpr17
                                        ; implicit-def: $vgpr18
	s_and_saveexec_b64 s[46:47], vcc
	s_xor_b64 s[46:47], exec, s[46:47]
	s_cbranch_execnz .LBB32_24
; %bb.19:                               ;   in Loop: Header=BB32_18 Depth=4
	s_andn2_saveexec_b64 s[46:47], s[46:47]
	s_cbranch_execnz .LBB32_25
.LBB32_20:                              ;   in Loop: Header=BB32_18 Depth=4
	s_or_b64 exec, exec, s[46:47]
	v_mov_b32_e32 v19, s60
	s_and_saveexec_b64 s[46:47], s[44:45]
.LBB32_21:                              ;   in Loop: Header=BB32_18 Depth=4
	v_mov_b32_e32 v19, 0
.LBB32_22:                              ;   in Loop: Header=BB32_18 Depth=4
	s_or_b64 exec, exec, s[46:47]
	v_add_u32_e32 v20, 1, v9
	v_cmp_le_u32_e32 vcc, s57, v17
	v_xor_b32_e32 v8, s12, v8
	s_nop 0
	v_cndmask_b32_e32 v9, v9, v20, vcc
	v_cndmask_b32_e32 v17, v17, v18, vcc
	v_add_u32_e32 v18, 1, v9
	v_cmp_le_u32_e32 vcc, s57, v17
	s_nop 1
	v_cndmask_b32_e32 v9, v9, v18, vcc
	v_xor_b32_e32 v9, v9, v8
	v_sub_u32_e32 v8, v9, v8
	v_cmp_gt_i32_e32 vcc, s54, v8
	s_nop 1
	v_cndmask_b32_e32 v9, 0, v19, vcc
	v_and_b32_e32 v9, v9, v15
	v_cmp_ne_u32_e32 vcc, 0, v9
	s_and_saveexec_b64 s[44:45], vcc
	s_cbranch_execz .LBB32_17
; %bb.23:                               ;   in Loop: Header=BB32_18 Depth=4
	v_ashrrev_i32_e32 v9, 31, v8
	v_lshl_add_u64 v[8:9], v[8:9], 1, v[6:7]
	global_load_ushort v8, v[8:9], off
	s_nop 0
	global_load_ushort v9, v12, s[42:43]
	s_waitcnt vmcnt(1)
	v_cvt_f32_f16_e32 v8, v8
	s_waitcnt vmcnt(0)
	v_cvt_f32_f16_e32 v17, v9
	v_cvt_f64_f32_e32 v[8:9], v8
	v_cvt_f64_f32_e32 v[18:19], v17
	v_fmac_f64_e32 v[2:3], v[8:9], v[18:19]
	s_branch .LBB32_17
.LBB32_24:                              ;   in Loop: Header=BB32_18 Depth=4
	v_max_i32_e32 v17, v16, v19
	v_mul_hi_u32 v9, v17, v11
	v_mul_lo_u32 v18, v9, s57
	v_sub_u32_e32 v17, v17, v18
	v_subrev_u32_e32 v18, s57, v17
	v_cmp_le_u32_e32 vcc, s57, v17
	v_ashrrev_i32_e32 v8, 31, v16
	s_mov_b32 s60, 1
	v_cndmask_b32_e32 v19, v17, v18, vcc
	v_subrev_u32_e32 v20, s57, v19
	v_cmp_le_u32_e32 vcc, s57, v19
	s_nop 1
	v_cndmask_b32_e32 v19, v19, v20, vcc
	v_xor_b32_e32 v19, v19, v8
	v_sub_u32_e32 v19, v19, v8
	v_cmp_ne_u32_e32 vcc, 0, v19
	s_and_b64 s[44:45], vcc, exec
                                        ; implicit-def: $vgpr19
	s_andn2_saveexec_b64 s[46:47], s[46:47]
	s_cbranch_execz .LBB32_20
.LBB32_25:                              ;   in Loop: Header=BB32_18 Depth=4
	v_max_i32_e32 v17, v16, v19
	v_mul_hi_u32 v9, v17, v11
	v_mul_lo_u32 v18, v9, s57
	v_sub_u32_e32 v17, v17, v18
	v_ashrrev_i32_e32 v8, 31, v16
	v_subrev_u32_e32 v18, s57, v17
	s_or_b64 s[44:45], s[44:45], exec
	s_or_b64 exec, exec, s[46:47]
	v_mov_b32_e32 v19, s60
	s_and_saveexec_b64 s[46:47], s[44:45]
	s_cbranch_execnz .LBB32_21
	s_branch .LBB32_22
.LBB32_26:                              ;   in Loop: Header=BB32_3 Depth=1
	v_mov_b64_e32 v[2:3], 0
.LBB32_27:                              ;   in Loop: Header=BB32_3 Depth=1
	v_ashrrev_i32_e32 v5, 31, v4
	v_mad_i64_i32 v[4:5], s[36:37], v13, s48, v[4:5]
	s_mov_b64 s[36:37], -1
	s_and_b64 vcc, exec, s[34:35]
	s_cbranch_vccz .LBB32_29
; %bb.28:                               ;   in Loop: Header=BB32_3 Depth=1
	v_lshl_add_u64 v[6:7], v[4:5], 1, s[2:3]
	global_load_ushort v8, v[6:7], off
	s_mov_b64 s[36:37], 0
	s_waitcnt vmcnt(0)
	v_cvt_f32_f16_e32 v8, v8
	v_cvt_f64_f32_e32 v[8:9], v8
	v_mul_f64 v[8:9], v[8:9], s[26:27]
	v_fmac_f64_e32 v[8:9], s[24:25], v[2:3]
	v_cvt_f32_f64_e32 v8, v[8:9]
	v_cvt_f16_f32_e32 v8, v8
	global_store_short v[6:7], v8, off
.LBB32_29:                              ;   in Loop: Header=BB32_3 Depth=1
	s_andn2_b64 vcc, exec, s[36:37]
	s_cbranch_vccnz .LBB32_2
; %bb.30:                               ;   in Loop: Header=BB32_3 Depth=1
	v_cvt_f32_f64_e32 v2, v[2:3]
	v_cvt_f16_f32_e32 v6, v2
	v_lshl_add_u64 v[2:3], v[4:5], 1, s[2:3]
	global_store_short v[2:3], v6, off
	s_branch .LBB32_2
.LBB32_31:
	s_endpgm
	.section	.rodata,"a",@progbits
	.p2align	6, 0x0
	.amdhsa_kernel naive_conv_ab_packed_bwd_nchw_half_double_half_0
		.amdhsa_group_segment_fixed_size 0
		.amdhsa_private_segment_fixed_size 0
		.amdhsa_kernarg_size 480
		.amdhsa_user_sgpr_count 2
		.amdhsa_user_sgpr_dispatch_ptr 0
		.amdhsa_user_sgpr_queue_ptr 0
		.amdhsa_user_sgpr_kernarg_segment_ptr 1
		.amdhsa_user_sgpr_dispatch_id 0
		.amdhsa_user_sgpr_kernarg_preload_length 0
		.amdhsa_user_sgpr_kernarg_preload_offset 0
		.amdhsa_user_sgpr_private_segment_size 0
		.amdhsa_uses_dynamic_stack 0
		.amdhsa_enable_private_segment 0
		.amdhsa_system_sgpr_workgroup_id_x 1
		.amdhsa_system_sgpr_workgroup_id_y 0
		.amdhsa_system_sgpr_workgroup_id_z 0
		.amdhsa_system_sgpr_workgroup_info 0
		.amdhsa_system_vgpr_workitem_id 0
		.amdhsa_next_free_vgpr 21
		.amdhsa_next_free_sgpr 61
		.amdhsa_accum_offset 24
		.amdhsa_reserve_vcc 1
		.amdhsa_float_round_mode_32 0
		.amdhsa_float_round_mode_16_64 0
		.amdhsa_float_denorm_mode_32 3
		.amdhsa_float_denorm_mode_16_64 3
		.amdhsa_dx10_clamp 1
		.amdhsa_ieee_mode 1
		.amdhsa_fp16_overflow 0
		.amdhsa_tg_split 0
		.amdhsa_exception_fp_ieee_invalid_op 0
		.amdhsa_exception_fp_denorm_src 0
		.amdhsa_exception_fp_ieee_div_zero 0
		.amdhsa_exception_fp_ieee_overflow 0
		.amdhsa_exception_fp_ieee_underflow 0
		.amdhsa_exception_fp_ieee_inexact 0
		.amdhsa_exception_int_div_zero 0
	.end_amdhsa_kernel
	.text
.Lfunc_end32:
	.size	naive_conv_ab_packed_bwd_nchw_half_double_half_0, .Lfunc_end32-naive_conv_ab_packed_bwd_nchw_half_double_half_0
                                        ; -- End function
	.section	.AMDGPU.csdata,"",@progbits
; Kernel info:
; codeLenInByte = 1956
; NumSgprs: 67
; NumVgprs: 21
; NumAgprs: 0
; TotalNumVgprs: 21
; ScratchSize: 0
; MemoryBound: 0
; FloatMode: 240
; IeeeMode: 1
; LDSByteSize: 0 bytes/workgroup (compile time only)
; SGPRBlocks: 8
; VGPRBlocks: 2
; NumSGPRsForWavesPerEU: 67
; NumVGPRsForWavesPerEU: 21
; AccumOffset: 24
; Occupancy: 8
; WaveLimiterHint : 0
; COMPUTE_PGM_RSRC2:SCRATCH_EN: 0
; COMPUTE_PGM_RSRC2:USER_SGPR: 2
; COMPUTE_PGM_RSRC2:TRAP_HANDLER: 0
; COMPUTE_PGM_RSRC2:TGID_X_EN: 1
; COMPUTE_PGM_RSRC2:TGID_Y_EN: 0
; COMPUTE_PGM_RSRC2:TGID_Z_EN: 0
; COMPUTE_PGM_RSRC2:TIDIG_COMP_CNT: 0
; COMPUTE_PGM_RSRC3_GFX90A:ACCUM_OFFSET: 5
; COMPUTE_PGM_RSRC3_GFX90A:TG_SPLIT: 0
	.text
	.protected	naive_conv_ab_nonpacked_bwd_nchw_half_double_half_0 ; -- Begin function naive_conv_ab_nonpacked_bwd_nchw_half_double_half_0
	.globl	naive_conv_ab_nonpacked_bwd_nchw_half_double_half_0
	.p2align	8
	.type	naive_conv_ab_nonpacked_bwd_nchw_half_double_half_0,@function
naive_conv_ab_nonpacked_bwd_nchw_half_double_half_0: ; @naive_conv_ab_nonpacked_bwd_nchw_half_double_half_0
; %bb.0:
	s_load_dwordx8 s[20:27], s[0:1], 0xa0
	s_abs_i32 s3, s2
	s_waitcnt lgkmcnt(0)
	s_abs_i32 s5, s24
	v_cvt_f32_u32_e32 v1, s5
	s_sub_i32 s6, 0, s5
	s_mul_i32 s4, s24, s22
	s_mul_i32 s20, s21, s20
	v_rcp_iflag_f32_e32 v1, v1
	v_cmp_gt_i32_e32 vcc, s20, v0
	v_mul_f32_e32 v1, 0x4f7ffffe, v1
	v_cvt_u32_f32_e32 v1, v1
	s_nop 0
	v_readfirstlane_b32 s7, v1
	s_mul_i32 s6, s6, s7
	s_mul_hi_u32 s6, s7, s6
	s_add_i32 s7, s7, s6
	s_mul_hi_u32 s6, s3, s7
	s_mul_i32 s7, s6, s5
	s_sub_i32 s7, s3, s7
	s_add_i32 s8, s6, 1
	s_sub_i32 s9, s7, s5
	s_cmp_ge_u32 s7, s5
	s_cselect_b32 s6, s8, s6
	s_cselect_b32 s7, s9, s7
	s_add_i32 s8, s6, 1
	s_cmp_ge_u32 s7, s5
	s_cselect_b32 s5, s8, s6
	s_abs_i32 s33, s22
	s_abs_i32 s22, s4
	v_cvt_f32_u32_e32 v1, s33
	v_cvt_f32_u32_e32 v2, s22
	v_rcp_iflag_f32_e32 v1, v1
	v_rcp_iflag_f32_e32 v2, v2
	v_mul_f32_e32 v1, 0x4f7ffffe, v1
	v_mul_f32_e32 v2, 0x4f7ffffe, v2
	v_cvt_u32_f32_e32 v1, v1
	v_cvt_u32_f32_e32 v2, v2
	v_readfirstlane_b32 s7, v1
	v_readfirstlane_b32 s6, v2
	s_and_saveexec_b64 s[8:9], vcc
	s_cbranch_execz .LBB33_31
; %bb.1:
	s_load_dwordx8 s[36:43], s[0:1], 0x0
	s_load_dwordx2 s[34:35], s[0:1], 0x20
	s_load_dwordx8 s[44:51], s[0:1], 0xc0
	s_waitcnt lgkmcnt(0)
	s_ashr_i32 s51, s2, 31
	s_ashr_i32 s8, s24, 31
	s_xor_b32 s8, s51, s8
	s_xor_b32 s5, s5, s8
	s_sub_i32 s62, s5, s8
	s_sub_i32 s5, 0, s33
	s_mul_i32 s5, s5, s7
	s_mul_hi_u32 s5, s7, s5
	s_abs_i32 s64, s62
	s_add_i32 s7, s7, s5
	s_mul_hi_u32 s65, s64, s7
	s_ashr_i32 s66, s4, 31
	s_sub_i32 s4, 0, s22
	s_ashr_i32 s63, s62, 31
	s_mul_i32 s4, s4, s6
	s_mul_i32 s62, s62, s24
	;; [unrolled: 1-line block ×3, first 2 shown]
	s_mul_hi_u32 s4, s6, s4
	s_sub_i32 s62, s2, s62
	s_sub_i32 s2, s64, s65
	s_add_i32 s6, s6, s4
	s_sub_i32 s24, s2, s33
	s_cmp_ge_u32 s2, s33
	s_cselect_b32 s2, s24, s2
	s_sub_i32 s24, s2, s33
	s_mul_hi_u32 s67, s3, s6
	s_cmp_ge_u32 s2, s33
	s_cselect_b32 s2, s24, s2
	s_mul_i32 s33, s67, s22
	s_xor_b32 s2, s2, s63
	s_sub_i32 s3, s3, s33
	s_sub_i32 s24, s2, s63
	s_xor_b32 s2, s51, s66
	s_add_i32 s33, s67, 1
	s_sub_i32 s51, s3, s22
	s_cmp_ge_u32 s3, s22
	s_cselect_b32 s33, s33, s67
	s_cselect_b32 s3, s51, s3
	s_add_i32 s51, s33, 1
	s_cmp_ge_u32 s3, s22
	s_load_dwordx16 s[4:19], s[0:1], 0x28
	s_load_dwordx2 s[60:61], s[0:1], 0x98
	s_load_dwordx4 s[28:31], s[0:1], 0x88
	s_load_dwordx8 s[52:59], s[0:1], 0x68
	s_cselect_b32 s3, s51, s33
	s_xor_b32 s3, s3, s2
	s_ashr_i32 s22, s24, 31
	s_sub_i32 s63, s3, s2
	s_waitcnt lgkmcnt(0)
	s_mul_i32 s2, s12, s22
	s_mul_hi_u32 s3, s12, s24
	s_add_i32 s2, s3, s2
	s_mul_i32 s3, s13, s24
	s_ashr_i32 s66, s63, 31
	s_add_i32 s3, s2, s3
	s_mul_i32 s2, s12, s24
	s_mul_i32 s12, s10, s66
	s_mul_hi_u32 s13, s10, s63
	s_add_i32 s12, s13, s12
	s_mul_i32 s11, s11, s63
	s_ashr_i32 s67, s62, 31
	s_add_i32 s11, s12, s11
	s_mul_i32 s12, s8, s67
	s_mul_hi_u32 s13, s8, s62
	s_add_i32 s12, s13, s12
	s_mul_i32 s9, s9, s62
	s_add_i32 s9, s12, s9
	s_lshl_b64 s[2:3], s[2:3], 1
	s_mul_i32 s10, s10, s63
	s_add_u32 s12, s36, s2
	s_addc_u32 s13, s37, s3
	s_lshl_b64 s[2:3], s[10:11], 1
	s_mul_i32 s8, s8, s62
	s_add_u32 s10, s12, s2
	s_addc_u32 s11, s13, s3
	s_lshl_b64 s[2:3], s[8:9], 1
	s_add_u32 s2, s10, s2
	s_mul_i32 s8, s60, s22
	s_mul_hi_u32 s9, s60, s24
	s_addc_u32 s3, s11, s3
	s_add_i32 s8, s9, s8
	s_mul_i32 s9, s61, s24
	s_mul_i32 s10, s30, s66
	s_mul_hi_u32 s11, s30, s63
	s_add_i32 s9, s8, s9
	s_mul_i32 s8, s60, s24
	s_add_i32 s10, s11, s10
	s_mul_i32 s11, s31, s63
	s_add_i32 s11, s10, s11
	s_lshl_b64 s[8:9], s[8:9], 1
	s_mul_i32 s10, s30, s63
	s_add_u32 s12, s34, s8
	s_addc_u32 s13, s35, s9
	s_lshl_b64 s[8:9], s[10:11], 1
	s_add_u32 s22, s12, s8
	s_addc_u32 s24, s13, s9
	s_cmp_gt_i32 s23, 0
	s_cselect_b64 s[8:9], -1, 0
	s_cmp_gt_i32 s49, 0
	s_cselect_b64 s[10:11], -1, 0
	s_cmp_gt_i32 s50, 0
	s_load_dword s33, s[0:1], 0xec
	s_cselect_b64 s[0:1], -1, 0
	v_cmp_neq_f64_e64 s[12:13], s[40:41], 1.0
	v_cmp_neq_f64_e64 s[30:31], s[42:43], 0
	s_abs_i32 s64, s21
	s_or_b64 s[12:13], s[12:13], s[30:31]
	s_ashr_i32 s65, s27, 31
	s_abs_i32 s27, s27
	s_mul_i32 s30, s18, s67
	s_mul_hi_u32 s31, s18, s62
	v_cvt_f32_u32_e32 v1, s64
	s_add_i32 s30, s31, s30
	s_mul_i32 s19, s19, s62
	v_cvt_f32_u32_e32 v2, s27
	s_add_i32 s19, s30, s19
	s_mul_i32 s30, s54, s66
	s_ashr_i32 s66, s44, 31
	s_abs_i32 s44, s44
	v_cvt_f32_u32_e32 v3, s44
	v_rcp_iflag_f32_e32 v1, v1
	v_rcp_iflag_f32_e32 v2, v2
	s_mul_hi_u32 s31, s54, s63
	v_rcp_iflag_f32_e32 v3, v3
	v_mul_f32_e32 v1, 0x4f7ffffe, v1
	v_cvt_u32_f32_e32 v1, v1
	v_mul_f32_e32 v2, 0x4f7ffffe, v2
	v_cvt_u32_f32_e32 v2, v2
	v_mul_f32_e32 v3, 0x4f7ffffe, v3
	s_sub_i32 s34, 0, s64
	s_add_i32 s30, s31, s30
	s_mul_i32 s31, s55, s63
	v_cvt_u32_f32_e32 v3, v3
	s_sub_i32 s35, 0, s27
	s_mul_i32 s18, s18, s62
	s_add_i32 s31, s30, s31
	s_mul_i32 s30, s54, s63
	v_mul_lo_u32 v4, s34, v1
	s_waitcnt lgkmcnt(0)
	s_and_b32 s33, s33, 0xffff
	s_ashr_i32 s51, s21, 31
	s_lshl_b64 s[18:19], s[18:19], 1
	s_lshl_b64 s[30:31], s[30:31], 1
	s_sub_i32 s36, 0, s44
	v_mul_lo_u32 v5, s35, v2
	v_mul_hi_u32 v4, v1, v4
	s_add_u32 s30, s18, s30
	v_add_u32_e32 v1, v1, v4
	v_mul_hi_u32 v4, v2, v5
	s_addc_u32 s31, s19, s31
	v_add_u32_e32 v6, v2, v4
	v_mul_lo_u32 v2, s36, v3
	v_mul_hi_u32 v2, v3, v2
	s_add_u32 s30, s38, s30
	s_mov_b64 s[18:19], 0
	v_add_u32_e32 v7, v3, v2
	s_addc_u32 s31, s39, s31
	s_lshl_b64 s[34:35], s[52:53], 1
	s_lshl_b64 s[16:17], s[16:17], 1
	;; [unrolled: 1-line block ×3, first 2 shown]
	v_mov_b32_e32 v8, 0
	s_branch .LBB33_3
.LBB33_2:                               ;   in Loop: Header=BB33_3 Depth=1
	v_add_u32_e32 v0, s33, v0
	v_cmp_le_i32_e32 vcc, s20, v0
	s_or_b64 s[18:19], vcc, s[18:19]
	s_andn2_b64 exec, exec, s[18:19]
	s_cbranch_execz .LBB33_31
.LBB33_3:                               ; =>This Loop Header: Depth=1
                                        ;     Child Loop BB33_6 Depth 2
                                        ;       Child Loop BB33_9 Depth 3
                                        ;         Child Loop BB33_18 Depth 4
	v_sub_u32_e32 v3, 0, v0
	v_max_i32_e32 v3, v0, v3
	v_mul_hi_u32 v4, v3, v1
	v_mul_lo_u32 v5, v4, s64
	v_sub_u32_e32 v3, v3, v5
	v_add_u32_e32 v5, 1, v4
	v_cmp_le_u32_e32 vcc, s64, v3
	v_ashrrev_i32_e32 v2, 31, v0
	v_xor_b32_e32 v2, s51, v2
	v_cndmask_b32_e32 v4, v4, v5, vcc
	v_subrev_u32_e32 v5, s64, v3
	v_cndmask_b32_e32 v3, v3, v5, vcc
	v_add_u32_e32 v5, 1, v4
	v_cmp_le_u32_e32 vcc, s64, v3
	s_nop 1
	v_cndmask_b32_e32 v3, v4, v5, vcc
	v_xor_b32_e32 v3, v3, v2
	v_sub_u32_e32 v10, v3, v2
	v_mul_lo_u32 v2, v10, s21
	s_andn2_b64 vcc, exec, s[8:9]
	v_sub_u32_e32 v9, v0, v2
	s_cbranch_vccnz .LBB33_26
; %bb.4:                                ;   in Loop: Header=BB33_3 Depth=1
	v_add_u32_e32 v11, s47, v10
	v_add_u32_e32 v12, s48, v9
	s_mov_b32 s67, 0
	v_mov_b64_e32 v[2:3], 0
	s_mov_b64 s[36:37], s[30:31]
	s_branch .LBB33_6
.LBB33_5:                               ;   in Loop: Header=BB33_6 Depth=2
	s_add_i32 s67, s67, 1
	s_add_u32 s36, s36, s34
	s_addc_u32 s37, s37, s35
	s_cmp_eq_u32 s67, s23
	s_cbranch_scc1 .LBB33_27
.LBB33_6:                               ;   Parent Loop BB33_3 Depth=1
                                        ; =>  This Loop Header: Depth=2
                                        ;       Child Loop BB33_9 Depth 3
                                        ;         Child Loop BB33_18 Depth 4
	s_andn2_b64 vcc, exec, s[10:11]
	s_cbranch_vccnz .LBB33_5
; %bb.7:                                ;   in Loop: Header=BB33_6 Depth=2
	s_mul_i32 s38, s29, s67
	s_mul_hi_u32 s39, s28, s67
	s_add_i32 s39, s39, s38
	s_mul_i32 s38, s28, s67
	s_lshl_b64 s[38:39], s[38:39], 1
	s_add_u32 s38, s22, s38
	s_addc_u32 s39, s24, s39
	s_mov_b32 s68, 0
	s_mov_b64 s[52:53], s[36:37]
	s_branch .LBB33_9
.LBB33_8:                               ;   in Loop: Header=BB33_9 Depth=3
	s_add_i32 s68, s68, 1
	s_add_u32 s52, s52, s16
	s_addc_u32 s53, s53, s17
	s_cmp_eq_u32 s68, s49
	s_cbranch_scc1 .LBB33_5
.LBB33_9:                               ;   Parent Loop BB33_3 Depth=1
                                        ;     Parent Loop BB33_6 Depth=2
                                        ; =>    This Loop Header: Depth=3
                                        ;         Child Loop BB33_18 Depth 4
	s_mul_i32 s54, s68, s45
	v_subrev_u32_e32 v15, s54, v11
	v_cmp_lt_i32_e32 vcc, -1, v15
	s_mov_b64 s[54:55], 0
                                        ; implicit-def: $sgpr62
                                        ; implicit-def: $vgpr4
                                        ; implicit-def: $vgpr5
                                        ; implicit-def: $vgpr13
                                        ; implicit-def: $vgpr14
	s_and_saveexec_b64 s[60:61], vcc
	s_xor_b64 s[60:61], exec, s[60:61]
	s_cbranch_execnz .LBB33_13
; %bb.10:                               ;   in Loop: Header=BB33_9 Depth=3
	s_andn2_saveexec_b64 s[60:61], s[60:61]
	s_cbranch_execnz .LBB33_14
.LBB33_11:                              ;   in Loop: Header=BB33_9 Depth=3
	s_or_b64 exec, exec, s[60:61]
	v_mov_b32_e32 v15, s62
	s_and_saveexec_b64 s[60:61], s[54:55]
	s_cbranch_execnz .LBB33_15
.LBB33_12:                              ;   in Loop: Header=BB33_9 Depth=3
	s_or_b64 exec, exec, s[60:61]
	s_andn2_b64 vcc, exec, s[0:1]
	s_cbranch_vccz .LBB33_16
	s_branch .LBB33_8
.LBB33_13:                              ;   in Loop: Header=BB33_9 Depth=3
	v_sub_u32_e32 v5, 0, v15
	v_max_i32_e32 v13, v15, v5
	v_mul_hi_u32 v5, v13, v6
	v_mul_lo_u32 v14, v5, s27
	v_sub_u32_e32 v13, v13, v14
	v_subrev_u32_e32 v14, s27, v13
	v_cmp_le_u32_e32 vcc, s27, v13
	v_ashrrev_i32_e32 v4, 31, v15
	s_mov_b32 s62, 1
	v_cndmask_b32_e32 v15, v13, v14, vcc
	v_subrev_u32_e32 v16, s27, v15
	v_cmp_le_u32_e32 vcc, s27, v15
	s_nop 1
	v_cndmask_b32_e32 v15, v15, v16, vcc
	v_xor_b32_e32 v15, v15, v4
	v_sub_u32_e32 v15, v15, v4
	v_cmp_ne_u32_e32 vcc, 0, v15
	s_and_b64 s[54:55], vcc, exec
                                        ; implicit-def: $vgpr15
	s_andn2_saveexec_b64 s[60:61], s[60:61]
	s_cbranch_execz .LBB33_11
.LBB33_14:                              ;   in Loop: Header=BB33_9 Depth=3
	v_sub_u32_e32 v5, 0, v15
	v_max_i32_e32 v13, v15, v5
	v_mul_hi_u32 v5, v13, v6
	v_mul_lo_u32 v14, v5, s27
	v_sub_u32_e32 v13, v13, v14
	v_ashrrev_i32_e32 v4, 31, v15
	v_subrev_u32_e32 v14, s27, v13
	s_or_b64 s[54:55], s[54:55], exec
	s_or_b64 exec, exec, s[60:61]
	v_mov_b32_e32 v15, s62
	s_and_saveexec_b64 s[60:61], s[54:55]
	s_cbranch_execz .LBB33_12
.LBB33_15:                              ;   in Loop: Header=BB33_9 Depth=3
	v_mov_b32_e32 v15, 0
	s_or_b64 exec, exec, s[60:61]
	s_andn2_b64 vcc, exec, s[0:1]
	s_cbranch_vccnz .LBB33_8
.LBB33_16:                              ;   in Loop: Header=BB33_9 Depth=3
	v_add_u32_e32 v16, 1, v5
	v_cmp_le_u32_e32 vcc, s27, v13
	v_xor_b32_e32 v4, s65, v4
	s_mov_b32 s69, s50
	v_cndmask_b32_e32 v5, v5, v16, vcc
	v_cndmask_b32_e32 v13, v13, v14, vcc
	v_add_u32_e32 v14, 1, v5
	v_cmp_le_u32_e32 vcc, s27, v13
	s_nop 1
	v_cndmask_b32_e32 v5, v5, v14, vcc
	v_xor_b32_e32 v5, v5, v4
	v_sub_u32_e32 v4, v5, v4
	v_cmp_gt_i32_e32 vcc, s25, v4
	v_ashrrev_i32_e32 v5, 31, v4
	v_mul_lo_u32 v14, s58, v5
	v_cndmask_b32_e32 v13, 0, v15, vcc
	v_mul_lo_u32 v15, s59, v4
	v_mad_u64_u32 v[4:5], s[54:55], s58, v4, 0
	v_add3_u32 v5, v5, v14, v15
	v_lshl_add_u64 v[4:5], v[4:5], 1, s[38:39]
	s_mov_b64 s[54:55], s[52:53]
	v_mov_b32_e32 v14, v12
	s_branch .LBB33_18
.LBB33_17:                              ;   in Loop: Header=BB33_18 Depth=4
	s_or_b64 exec, exec, s[60:61]
	s_add_i32 s69, s69, -1
	s_add_u32 s54, s54, s14
	s_addc_u32 s55, s55, s15
	s_cmp_eq_u32 s69, 0
	v_subrev_u32_e32 v14, s46, v14
	s_cbranch_scc1 .LBB33_8
.LBB33_18:                              ;   Parent Loop BB33_3 Depth=1
                                        ;     Parent Loop BB33_6 Depth=2
                                        ;       Parent Loop BB33_9 Depth=3
                                        ; =>      This Inner Loop Header: Depth=4
	v_cmp_lt_i32_e32 vcc, -1, v14
	s_mov_b64 s[60:61], 0
	v_sub_u32_e32 v19, 0, v14
                                        ; implicit-def: $sgpr70
                                        ; implicit-def: $vgpr15
                                        ; implicit-def: $vgpr16
                                        ; implicit-def: $vgpr17
                                        ; implicit-def: $vgpr18
	s_and_saveexec_b64 s[62:63], vcc
	s_xor_b64 s[62:63], exec, s[62:63]
	s_cbranch_execnz .LBB33_24
; %bb.19:                               ;   in Loop: Header=BB33_18 Depth=4
	s_andn2_saveexec_b64 s[62:63], s[62:63]
	s_cbranch_execnz .LBB33_25
.LBB33_20:                              ;   in Loop: Header=BB33_18 Depth=4
	s_or_b64 exec, exec, s[62:63]
	v_mov_b32_e32 v19, s70
	s_and_saveexec_b64 s[62:63], s[60:61]
.LBB33_21:                              ;   in Loop: Header=BB33_18 Depth=4
	v_mov_b32_e32 v19, 0
.LBB33_22:                              ;   in Loop: Header=BB33_18 Depth=4
	s_or_b64 exec, exec, s[62:63]
	v_add_u32_e32 v20, 1, v16
	v_cmp_le_u32_e32 vcc, s44, v17
	v_xor_b32_e32 v15, s66, v15
	s_nop 0
	v_cndmask_b32_e32 v16, v16, v20, vcc
	v_cndmask_b32_e32 v17, v17, v18, vcc
	v_add_u32_e32 v18, 1, v16
	v_cmp_le_u32_e32 vcc, s44, v17
	s_nop 1
	v_cndmask_b32_e32 v16, v16, v18, vcc
	v_xor_b32_e32 v16, v16, v15
	v_sub_u32_e32 v15, v16, v15
	v_cmp_gt_i32_e32 vcc, s26, v15
	s_nop 1
	v_cndmask_b32_e32 v16, 0, v19, vcc
	v_and_b32_e32 v16, v16, v13
	v_cmp_ne_u32_e32 vcc, 0, v16
	s_and_saveexec_b64 s[60:61], vcc
	s_cbranch_execz .LBB33_17
; %bb.23:                               ;   in Loop: Header=BB33_18 Depth=4
	v_ashrrev_i32_e32 v16, 31, v15
	v_mul_lo_u32 v18, s57, v15
	v_mul_lo_u32 v19, s56, v16
	v_mad_u64_u32 v[16:17], s[62:63], s56, v15, 0
	v_add3_u32 v17, v17, v19, v18
	v_lshl_add_u64 v[16:17], v[16:17], 1, v[4:5]
	global_load_ushort v15, v[16:17], off
	s_nop 0
	global_load_ushort v16, v8, s[54:55]
	s_waitcnt vmcnt(1)
	v_cvt_f32_f16_e32 v15, v15
	s_waitcnt vmcnt(0)
	v_cvt_f32_f16_e32 v18, v16
	v_cvt_f64_f32_e32 v[16:17], v15
	v_cvt_f64_f32_e32 v[18:19], v18
	v_fmac_f64_e32 v[2:3], v[16:17], v[18:19]
	s_branch .LBB33_17
.LBB33_24:                              ;   in Loop: Header=BB33_18 Depth=4
	v_max_i32_e32 v17, v14, v19
	v_mul_hi_u32 v16, v17, v7
	v_mul_lo_u32 v18, v16, s44
	v_sub_u32_e32 v17, v17, v18
	v_subrev_u32_e32 v18, s44, v17
	v_cmp_le_u32_e32 vcc, s44, v17
	v_ashrrev_i32_e32 v15, 31, v14
	s_mov_b32 s70, 1
	v_cndmask_b32_e32 v19, v17, v18, vcc
	v_subrev_u32_e32 v20, s44, v19
	v_cmp_le_u32_e32 vcc, s44, v19
	s_nop 1
	v_cndmask_b32_e32 v19, v19, v20, vcc
	v_xor_b32_e32 v19, v19, v15
	v_sub_u32_e32 v19, v19, v15
	v_cmp_ne_u32_e32 vcc, 0, v19
	s_and_b64 s[60:61], vcc, exec
                                        ; implicit-def: $vgpr19
	s_andn2_saveexec_b64 s[62:63], s[62:63]
	s_cbranch_execz .LBB33_20
.LBB33_25:                              ;   in Loop: Header=BB33_18 Depth=4
	v_max_i32_e32 v17, v14, v19
	v_mul_hi_u32 v16, v17, v7
	v_mul_lo_u32 v18, v16, s44
	v_sub_u32_e32 v17, v17, v18
	v_ashrrev_i32_e32 v15, 31, v14
	v_subrev_u32_e32 v18, s44, v17
	s_or_b64 s[60:61], s[60:61], exec
	s_or_b64 exec, exec, s[62:63]
	v_mov_b32_e32 v19, s70
	s_and_saveexec_b64 s[62:63], s[60:61]
	s_cbranch_execnz .LBB33_21
	s_branch .LBB33_22
.LBB33_26:                              ;   in Loop: Header=BB33_3 Depth=1
	v_mov_b64_e32 v[2:3], 0
.LBB33_27:                              ;   in Loop: Header=BB33_3 Depth=1
	v_ashrrev_i32_e32 v4, 31, v10
	v_mul_lo_u32 v11, s7, v10
	v_mul_lo_u32 v12, s6, v4
	v_mad_u64_u32 v[4:5], s[36:37], s6, v10, 0
	v_add3_u32 v5, v5, v12, v11
	v_ashrrev_i32_e32 v10, 31, v9
	v_mad_u64_u32 v[4:5], s[36:37], s4, v9, v[4:5]
	v_mul_lo_u32 v9, s5, v9
	v_mul_lo_u32 v10, s4, v10
	v_add3_u32 v5, v9, v5, v10
	s_mov_b64 s[36:37], -1
	s_and_b64 vcc, exec, s[12:13]
	s_cbranch_vccz .LBB33_29
; %bb.28:                               ;   in Loop: Header=BB33_3 Depth=1
	v_lshl_add_u64 v[10:11], v[4:5], 1, s[2:3]
	global_load_ushort v9, v[10:11], off
	s_mov_b64 s[36:37], 0
	s_waitcnt vmcnt(0)
	v_cvt_f32_f16_e32 v9, v9
	v_cvt_f64_f32_e32 v[12:13], v9
	v_mul_f64 v[12:13], v[12:13], s[42:43]
	v_fmac_f64_e32 v[12:13], s[40:41], v[2:3]
	v_cvt_f32_f64_e32 v9, v[12:13]
	v_cvt_f16_f32_e32 v9, v9
	global_store_short v[10:11], v9, off
.LBB33_29:                              ;   in Loop: Header=BB33_3 Depth=1
	s_andn2_b64 vcc, exec, s[36:37]
	s_cbranch_vccnz .LBB33_2
; %bb.30:                               ;   in Loop: Header=BB33_3 Depth=1
	v_cvt_f32_f64_e32 v2, v[2:3]
	v_cvt_f16_f32_e32 v9, v2
	v_lshl_add_u64 v[2:3], v[4:5], 1, s[2:3]
	global_store_short v[2:3], v9, off
	s_branch .LBB33_2
.LBB33_31:
	s_endpgm
	.section	.rodata,"a",@progbits
	.p2align	6, 0x0
	.amdhsa_kernel naive_conv_ab_nonpacked_bwd_nchw_half_double_half_0
		.amdhsa_group_segment_fixed_size 0
		.amdhsa_private_segment_fixed_size 0
		.amdhsa_kernarg_size 480
		.amdhsa_user_sgpr_count 2
		.amdhsa_user_sgpr_dispatch_ptr 0
		.amdhsa_user_sgpr_queue_ptr 0
		.amdhsa_user_sgpr_kernarg_segment_ptr 1
		.amdhsa_user_sgpr_dispatch_id 0
		.amdhsa_user_sgpr_kernarg_preload_length 0
		.amdhsa_user_sgpr_kernarg_preload_offset 0
		.amdhsa_user_sgpr_private_segment_size 0
		.amdhsa_uses_dynamic_stack 0
		.amdhsa_enable_private_segment 0
		.amdhsa_system_sgpr_workgroup_id_x 1
		.amdhsa_system_sgpr_workgroup_id_y 0
		.amdhsa_system_sgpr_workgroup_id_z 0
		.amdhsa_system_sgpr_workgroup_info 0
		.amdhsa_system_vgpr_workitem_id 0
		.amdhsa_next_free_vgpr 21
		.amdhsa_next_free_sgpr 71
		.amdhsa_accum_offset 24
		.amdhsa_reserve_vcc 1
		.amdhsa_float_round_mode_32 0
		.amdhsa_float_round_mode_16_64 0
		.amdhsa_float_denorm_mode_32 3
		.amdhsa_float_denorm_mode_16_64 3
		.amdhsa_dx10_clamp 1
		.amdhsa_ieee_mode 1
		.amdhsa_fp16_overflow 0
		.amdhsa_tg_split 0
		.amdhsa_exception_fp_ieee_invalid_op 0
		.amdhsa_exception_fp_denorm_src 0
		.amdhsa_exception_fp_ieee_div_zero 0
		.amdhsa_exception_fp_ieee_overflow 0
		.amdhsa_exception_fp_ieee_underflow 0
		.amdhsa_exception_fp_ieee_inexact 0
		.amdhsa_exception_int_div_zero 0
	.end_amdhsa_kernel
	.text
.Lfunc_end33:
	.size	naive_conv_ab_nonpacked_bwd_nchw_half_double_half_0, .Lfunc_end33-naive_conv_ab_nonpacked_bwd_nchw_half_double_half_0
                                        ; -- End function
	.section	.AMDGPU.csdata,"",@progbits
; Kernel info:
; codeLenInByte = 2080
; NumSgprs: 77
; NumVgprs: 21
; NumAgprs: 0
; TotalNumVgprs: 21
; ScratchSize: 0
; MemoryBound: 0
; FloatMode: 240
; IeeeMode: 1
; LDSByteSize: 0 bytes/workgroup (compile time only)
; SGPRBlocks: 9
; VGPRBlocks: 2
; NumSGPRsForWavesPerEU: 77
; NumVGPRsForWavesPerEU: 21
; AccumOffset: 24
; Occupancy: 8
; WaveLimiterHint : 0
; COMPUTE_PGM_RSRC2:SCRATCH_EN: 0
; COMPUTE_PGM_RSRC2:USER_SGPR: 2
; COMPUTE_PGM_RSRC2:TRAP_HANDLER: 0
; COMPUTE_PGM_RSRC2:TGID_X_EN: 1
; COMPUTE_PGM_RSRC2:TGID_Y_EN: 0
; COMPUTE_PGM_RSRC2:TGID_Z_EN: 0
; COMPUTE_PGM_RSRC2:TIDIG_COMP_CNT: 0
; COMPUTE_PGM_RSRC3_GFX90A:ACCUM_OFFSET: 5
; COMPUTE_PGM_RSRC3_GFX90A:TG_SPLIT: 0
	.text
	.protected	naive_conv_ab_packed_bwd_nchw_ushort_double_ushort_0 ; -- Begin function naive_conv_ab_packed_bwd_nchw_ushort_double_ushort_0
	.globl	naive_conv_ab_packed_bwd_nchw_ushort_double_ushort_0
	.p2align	8
	.type	naive_conv_ab_packed_bwd_nchw_ushort_double_ushort_0,@function
naive_conv_ab_packed_bwd_nchw_ushort_double_ushort_0: ; @naive_conv_ab_packed_bwd_nchw_ushort_double_ushort_0
; %bb.0:
	s_load_dwordx16 s[4:19], s[0:1], 0xa0
	s_abs_i32 s3, s2
	s_waitcnt lgkmcnt(0)
	s_abs_i32 s20, s8
	v_cvt_f32_u32_e32 v1, s20
	s_sub_i32 s21, 0, s20
	s_mul_i32 s30, s8, s6
	v_rcp_iflag_f32_e32 v1, v1
	s_nop 0
	v_mul_f32_e32 v1, 0x4f7ffffe, v1
	v_cvt_u32_f32_e32 v1, v1
	s_nop 0
	v_readfirstlane_b32 s22, v1
	s_mul_i32 s21, s21, s22
	s_mul_hi_u32 s21, s22, s21
	s_add_i32 s22, s22, s21
	s_mul_hi_u32 s21, s3, s22
	s_mul_i32 s22, s21, s20
	s_sub_i32 s22, s3, s22
	s_add_i32 s23, s21, 1
	s_sub_i32 s24, s22, s20
	s_cmp_ge_u32 s22, s20
	s_cselect_b32 s21, s23, s21
	s_cselect_b32 s22, s24, s22
	s_add_i32 s23, s21, 1
	s_cmp_ge_u32 s22, s20
	s_cselect_b32 s31, s23, s21
	s_abs_i32 s29, s6
	s_abs_i32 s28, s30
	v_cvt_f32_u32_e32 v1, s29
	v_cvt_f32_u32_e32 v2, s28
	s_mul_i32 s6, s5, s4
	v_cmp_gt_i32_e32 vcc, s6, v0
	v_rcp_iflag_f32_e32 v1, v1
	v_rcp_iflag_f32_e32 v2, v2
	v_mul_f32_e32 v1, 0x4f7ffffe, v1
	v_mul_f32_e32 v2, 0x4f7ffffe, v2
	v_cvt_u32_f32_e32 v1, v1
	v_cvt_u32_f32_e32 v2, v2
	v_readfirstlane_b32 s34, v1
	v_readfirstlane_b32 s33, v2
	s_and_saveexec_b64 s[20:21], vcc
	s_cbranch_execz .LBB34_31
; %bb.1:
	s_ashr_i32 s35, s2, 31
	s_ashr_i32 s36, s8, 31
	s_xor_b32 s37, s35, s36
	s_sub_i32 s39, 0, s29
	s_xor_b32 s31, s31, s37
	s_mul_i32 s39, s39, s34
	s_sub_i32 s31, s31, s37
	s_mul_hi_u32 s39, s34, s39
	s_abs_i32 s38, s31
	s_add_i32 s34, s34, s39
	s_mul_hi_u32 s34, s38, s34
	s_sub_i32 s39, 0, s28
	s_ashr_i32 s37, s31, 31
	s_mul_i32 s39, s39, s33
	s_mul_i32 s31, s31, s8
	;; [unrolled: 1-line block ×3, first 2 shown]
	s_mul_hi_u32 s39, s33, s39
	s_sub_i32 s40, s2, s31
	s_sub_i32 s2, s38, s34
	s_ashr_i32 s30, s30, 31
	s_add_i32 s33, s33, s39
	s_sub_i32 s31, s2, s29
	s_cmp_ge_u32 s2, s29
	s_cselect_b32 s2, s31, s2
	s_sub_i32 s31, s2, s29
	s_cmp_ge_u32 s2, s29
	s_cselect_b32 s2, s31, s2
	s_mul_hi_u32 s33, s3, s33
	s_xor_b32 s2, s2, s37
	s_sub_i32 s29, s2, s37
	s_xor_b32 s2, s35, s30
	s_mul_i32 s30, s33, s28
	s_sub_i32 s3, s3, s30
	s_add_i32 s30, s33, 1
	s_sub_i32 s31, s3, s28
	s_cmp_ge_u32 s3, s28
	s_cselect_b32 s30, s30, s33
	s_cselect_b32 s3, s31, s3
	s_add_i32 s31, s30, 1
	s_cmp_ge_u32 s3, s28
	s_cselect_b32 s3, s31, s30
	s_mul_i32 s39, s19, s7
	s_mul_i32 s19, s19, s8
	s_xor_b32 s3, s3, s2
	s_sub_i32 s28, s3, s2
	s_mul_i32 s3, s29, s19
	s_ashr_i32 s33, s5, 31
	s_ashr_i32 s37, s40, 31
	s_mul_hi_i32 s2, s29, s19
	s_add_u32 s3, s3, s40
	s_mul_i32 s30, s28, s8
	s_addc_u32 s2, s2, s37
	s_mul_hi_i32 s19, s28, s8
	s_add_u32 s30, s3, s30
	s_load_dwordx8 s[20:27], s[0:1], 0x0
	s_addc_u32 s2, s2, s19
	s_mul_hi_i32 s3, s5, s4
	s_mul_i32 s2, s6, s2
	s_mul_hi_u32 s4, s6, s30
	s_add_i32 s2, s4, s2
	s_mul_i32 s3, s3, s30
	s_add_i32 s3, s2, s3
	s_mul_i32 s2, s6, s30
	s_lshl_b64 s[2:3], s[2:3], 1
	s_waitcnt lgkmcnt(0)
	s_add_u32 s2, s20, s2
	s_mul_i32 s20, s28, s7
	s_addc_u32 s3, s21, s3
	s_mul_hi_i32 s4, s28, s7
	s_mul_i32 s19, s20, s36
	s_mul_hi_u32 s21, s20, s8
	s_add_i32 s19, s21, s19
	s_mul_i32 s21, s4, s8
	s_add_i32 s41, s19, s21
	s_ashr_i32 s19, s18, 31
	s_mul_hi_i32 s21, s29, s39
	s_mul_i32 s29, s29, s39
	s_ashr_i32 s50, s9, 31
	s_ashr_i32 s52, s10, 31
	s_add_u32 s28, s20, s29
	s_mul_i32 s42, s20, s8
	s_mov_b32 s51, s9
	s_addc_u32 s4, s4, s21
	s_mul_hi_i32 s20, s10, s9
	s_mul_i32 s9, s10, s9
	s_mul_i32 s4, s9, s4
	s_mul_hi_u32 s21, s9, s28
	s_add_i32 s4, s21, s4
	s_mul_i32 s29, s20, s28
	s_load_dwordx2 s[20:21], s[0:1], 0x20
	s_add_i32 s29, s4, s29
	s_mul_i32 s28, s9, s28
	s_load_dword s9, s[0:1], 0xec
	s_lshl_b64 s[28:29], s[28:29], 1
	s_waitcnt lgkmcnt(0)
	s_add_u32 s0, s20, s28
	s_addc_u32 s1, s21, s29
	s_cmp_gt_i32 s7, 0
	s_cselect_b64 s[20:21], -1, 0
	s_cmp_gt_i32 s17, 0
	s_cselect_b64 s[28:29], -1, 0
	;; [unrolled: 2-line block ×3, first 2 shown]
	s_abs_i32 s53, s5
	v_cvt_f32_u32_e32 v1, s53
	s_and_b32 s55, s9, 0xffff
	s_abs_i32 s56, s11
	s_sub_i32 s9, 0, s53
	v_rcp_iflag_f32_e32 v1, v1
	v_cvt_f32_u32_e32 v2, s56
	s_abs_i32 s57, s12
	v_cmp_neq_f64_e64 s[34:35], s[24:25], 1.0
	v_mul_f32_e32 v1, 0x4f7ffffe, v1
	v_cvt_u32_f32_e32 v1, v1
	v_rcp_iflag_f32_e32 v2, v2
	v_cmp_neq_f64_e64 s[38:39], s[26:27], 0
	s_or_b64 s[34:35], s[34:35], s[38:39]
	v_mul_lo_u32 v3, s9, v1
	v_mul_hi_u32 v3, v1, v3
	v_add_u32_e32 v1, v1, v3
	v_cvt_f32_u32_e32 v3, s57
	v_mul_f32_e32 v2, 0x4f7ffffe, v2
	v_cvt_u32_f32_e32 v2, v2
	s_sub_i32 s9, 0, s56
	v_rcp_iflag_f32_e32 v3, v3
	s_ashr_i32 s58, s11, 31
	v_mul_lo_u32 v4, s9, v2
	v_mul_hi_u32 v4, v2, v4
	v_mul_f32_e32 v3, 0x4f7ffffe, v3
	v_cvt_u32_f32_e32 v3, v3
	s_ashr_i32 s12, s12, 31
	s_sub_i32 s9, 0, s57
	v_add_u32_e32 v10, v2, v4
	v_mul_lo_u32 v2, s9, v3
	s_add_u32 s9, s42, s40
	s_mov_b32 s54, s10
	s_addc_u32 s10, s41, s37
	s_mul_i32 s37, s18, s17
	s_mov_b32 s49, s17
	s_mul_i32 s10, s37, s10
	s_mul_hi_u32 s11, s37, s9
	s_mul_hi_i32 s17, s18, s17
	s_add_i32 s10, s11, s10
	s_mul_i32 s11, s17, s9
	s_add_i32 s11, s10, s11
	s_mul_i32 s10, s37, s9
	s_lshl_b64 s[10:11], s[10:11], 1
	s_add_u32 s10, s22, s10
	s_mul_i32 s9, s37, s36
	s_mul_hi_u32 s22, s37, s8
	s_addc_u32 s11, s23, s11
	s_add_i32 s9, s22, s9
	s_mul_i32 s17, s17, s8
	v_mul_hi_u32 v2, v3, v2
	s_add_i32 s9, s9, s17
	s_mul_i32 s8, s37, s8
	s_mov_b32 s48, s5
	s_mov_b64 s[4:5], 0
	v_add_u32_e32 v11, v3, v2
	s_lshl_b64 s[8:9], s[8:9], 1
	s_lshl_b64 s[22:23], s[18:19], 1
	v_mov_b32_e32 v12, 0
	s_mov_b32 s17, 0x7f800000
	s_branch .LBB34_3
.LBB34_2:                               ;   in Loop: Header=BB34_3 Depth=1
	v_add_u32_e32 v0, s55, v0
	v_cmp_le_i32_e32 vcc, s6, v0
	s_or_b64 s[4:5], vcc, s[4:5]
	s_andn2_b64 exec, exec, s[4:5]
	s_cbranch_execz .LBB34_31
.LBB34_3:                               ; =>This Loop Header: Depth=1
                                        ;     Child Loop BB34_6 Depth 2
                                        ;       Child Loop BB34_9 Depth 3
                                        ;         Child Loop BB34_18 Depth 4
	v_sub_u32_e32 v3, 0, v0
	v_max_i32_e32 v3, v0, v3
	v_mul_hi_u32 v4, v3, v1
	v_mul_lo_u32 v5, v4, s53
	v_sub_u32_e32 v3, v3, v5
	v_add_u32_e32 v5, 1, v4
	v_cmp_le_u32_e32 vcc, s53, v3
	v_ashrrev_i32_e32 v2, 31, v0
	v_xor_b32_e32 v2, s33, v2
	v_cndmask_b32_e32 v4, v4, v5, vcc
	v_subrev_u32_e32 v5, s53, v3
	v_cndmask_b32_e32 v3, v3, v5, vcc
	v_add_u32_e32 v5, 1, v4
	v_cmp_le_u32_e32 vcc, s53, v3
	s_nop 1
	v_cndmask_b32_e32 v3, v4, v5, vcc
	v_xor_b32_e32 v3, v3, v2
	v_sub_u32_e32 v13, v3, v2
	v_mul_lo_u32 v2, v13, s48
	s_andn2_b64 vcc, exec, s[20:21]
	v_sub_u32_e32 v4, v0, v2
	s_cbranch_vccnz .LBB34_26
; %bb.4:                                ;   in Loop: Header=BB34_3 Depth=1
	v_add_u32_e32 v5, s15, v13
	v_add_u32_e32 v14, s16, v4
	s_mov_b32 s19, 0
	v_mov_b64_e32 v[2:3], 0
	s_mov_b64 s[36:37], s[10:11]
	s_branch .LBB34_6
.LBB34_5:                               ;   in Loop: Header=BB34_6 Depth=2
	s_add_i32 s19, s19, 1
	s_add_u32 s36, s36, s8
	s_addc_u32 s37, s37, s9
	s_cmp_eq_u32 s19, s7
	s_cbranch_scc1 .LBB34_27
.LBB34_6:                               ;   Parent Loop BB34_3 Depth=1
                                        ; =>  This Loop Header: Depth=2
                                        ;       Child Loop BB34_9 Depth 3
                                        ;         Child Loop BB34_18 Depth 4
	s_andn2_b64 vcc, exec, s[28:29]
	s_cbranch_vccnz .LBB34_5
; %bb.7:                                ;   in Loop: Header=BB34_6 Depth=2
	s_mul_i32 s38, s19, s50
	s_mul_hi_u32 s39, s19, s51
	s_add_i32 s39, s39, s38
	s_mul_i32 s38, s19, s51
	s_mov_b32 s59, 0
	s_mov_b64 s[40:41], s[36:37]
	s_branch .LBB34_9
.LBB34_8:                               ;   in Loop: Header=BB34_9 Depth=3
	s_add_i32 s59, s59, 1
	s_add_u32 s40, s40, s22
	s_addc_u32 s41, s41, s23
	s_cmp_eq_u32 s59, s49
	s_cbranch_scc1 .LBB34_5
.LBB34_9:                               ;   Parent Loop BB34_3 Depth=1
                                        ;     Parent Loop BB34_6 Depth=2
                                        ; =>    This Loop Header: Depth=3
                                        ;         Child Loop BB34_18 Depth 4
	s_mul_i32 s42, s59, s13
	v_subrev_u32_e32 v15, s42, v5
	v_cmp_lt_i32_e32 vcc, -1, v15
	s_mov_b64 s[42:43], 0
                                        ; implicit-def: $sgpr46
                                        ; implicit-def: $vgpr6
                                        ; implicit-def: $vgpr7
                                        ; implicit-def: $vgpr8
                                        ; implicit-def: $vgpr9
	s_and_saveexec_b64 s[44:45], vcc
	s_xor_b64 s[44:45], exec, s[44:45]
	s_cbranch_execnz .LBB34_13
; %bb.10:                               ;   in Loop: Header=BB34_9 Depth=3
	s_andn2_saveexec_b64 s[44:45], s[44:45]
	s_cbranch_execnz .LBB34_14
.LBB34_11:                              ;   in Loop: Header=BB34_9 Depth=3
	s_or_b64 exec, exec, s[44:45]
	v_mov_b32_e32 v15, s46
	s_and_saveexec_b64 s[44:45], s[42:43]
	s_cbranch_execnz .LBB34_15
.LBB34_12:                              ;   in Loop: Header=BB34_9 Depth=3
	s_or_b64 exec, exec, s[44:45]
	s_andn2_b64 vcc, exec, s[30:31]
	s_cbranch_vccz .LBB34_16
	s_branch .LBB34_8
.LBB34_13:                              ;   in Loop: Header=BB34_9 Depth=3
	v_sub_u32_e32 v7, 0, v15
	v_max_i32_e32 v8, v15, v7
	v_mul_hi_u32 v7, v8, v10
	v_mul_lo_u32 v9, v7, s56
	v_sub_u32_e32 v8, v8, v9
	v_subrev_u32_e32 v9, s56, v8
	v_cmp_le_u32_e32 vcc, s56, v8
	v_ashrrev_i32_e32 v6, 31, v15
	s_mov_b32 s46, 1
	v_cndmask_b32_e32 v15, v8, v9, vcc
	v_subrev_u32_e32 v16, s56, v15
	v_cmp_le_u32_e32 vcc, s56, v15
	s_nop 1
	v_cndmask_b32_e32 v15, v15, v16, vcc
	v_xor_b32_e32 v15, v15, v6
	v_sub_u32_e32 v15, v15, v6
	v_cmp_ne_u32_e32 vcc, 0, v15
	s_and_b64 s[42:43], vcc, exec
                                        ; implicit-def: $vgpr15
	s_andn2_saveexec_b64 s[44:45], s[44:45]
	s_cbranch_execz .LBB34_11
.LBB34_14:                              ;   in Loop: Header=BB34_9 Depth=3
	v_sub_u32_e32 v7, 0, v15
	v_max_i32_e32 v8, v15, v7
	v_mul_hi_u32 v7, v8, v10
	v_mul_lo_u32 v9, v7, s56
	v_sub_u32_e32 v8, v8, v9
	v_ashrrev_i32_e32 v6, 31, v15
	v_subrev_u32_e32 v9, s56, v8
	s_or_b64 s[42:43], s[42:43], exec
	s_or_b64 exec, exec, s[44:45]
	v_mov_b32_e32 v15, s46
	s_and_saveexec_b64 s[44:45], s[42:43]
	s_cbranch_execz .LBB34_12
.LBB34_15:                              ;   in Loop: Header=BB34_9 Depth=3
	v_mov_b32_e32 v15, 0
	s_or_b64 exec, exec, s[44:45]
	s_andn2_b64 vcc, exec, s[30:31]
	s_cbranch_vccnz .LBB34_8
.LBB34_16:                              ;   in Loop: Header=BB34_9 Depth=3
	v_add_u32_e32 v16, 1, v7
	v_cmp_le_u32_e32 vcc, s56, v8
	v_xor_b32_e32 v6, s58, v6
	s_mov_b32 s60, s18
	v_cndmask_b32_e32 v7, v7, v16, vcc
	v_cndmask_b32_e32 v8, v8, v9, vcc
	v_add_u32_e32 v9, 1, v7
	v_cmp_le_u32_e32 vcc, s56, v8
	v_mov_b32_e32 v16, v14
	s_nop 0
	v_cndmask_b32_e32 v7, v7, v9, vcc
	v_xor_b32_e32 v7, v7, v6
	v_sub_u32_e32 v6, v7, v6
	v_ashrrev_i32_e32 v7, 31, v6
	v_cmp_gt_i32_e32 vcc, s51, v6
	v_lshl_add_u64 v[6:7], s[38:39], 0, v[6:7]
	v_mul_lo_u32 v8, v7, s54
	v_mul_lo_u32 v9, v6, s52
	v_mad_u64_u32 v[6:7], s[42:43], v6, s54, 0
	v_add3_u32 v7, v7, v9, v8
	v_cndmask_b32_e32 v15, 0, v15, vcc
	v_lshl_add_u64 v[6:7], v[6:7], 1, s[0:1]
	s_mov_b64 s[42:43], s[40:41]
	s_branch .LBB34_18
.LBB34_17:                              ;   in Loop: Header=BB34_18 Depth=4
	s_or_b64 exec, exec, s[44:45]
	s_add_i32 s60, s60, -1
	s_add_u32 s42, s42, 2
	s_addc_u32 s43, s43, 0
	s_cmp_eq_u32 s60, 0
	v_subrev_u32_e32 v16, s14, v16
	s_cbranch_scc1 .LBB34_8
.LBB34_18:                              ;   Parent Loop BB34_3 Depth=1
                                        ;     Parent Loop BB34_6 Depth=2
                                        ;       Parent Loop BB34_9 Depth=3
                                        ; =>      This Inner Loop Header: Depth=4
	v_cmp_lt_i32_e32 vcc, -1, v16
	s_mov_b64 s[44:45], 0
	v_sub_u32_e32 v19, 0, v16
                                        ; implicit-def: $sgpr61
                                        ; implicit-def: $vgpr8
                                        ; implicit-def: $vgpr9
                                        ; implicit-def: $vgpr17
                                        ; implicit-def: $vgpr18
	s_and_saveexec_b64 s[46:47], vcc
	s_xor_b64 s[46:47], exec, s[46:47]
	s_cbranch_execnz .LBB34_24
; %bb.19:                               ;   in Loop: Header=BB34_18 Depth=4
	s_andn2_saveexec_b64 s[46:47], s[46:47]
	s_cbranch_execnz .LBB34_25
.LBB34_20:                              ;   in Loop: Header=BB34_18 Depth=4
	s_or_b64 exec, exec, s[46:47]
	v_mov_b32_e32 v19, s61
	s_and_saveexec_b64 s[46:47], s[44:45]
.LBB34_21:                              ;   in Loop: Header=BB34_18 Depth=4
	v_mov_b32_e32 v19, 0
.LBB34_22:                              ;   in Loop: Header=BB34_18 Depth=4
	s_or_b64 exec, exec, s[46:47]
	v_add_u32_e32 v20, 1, v9
	v_cmp_le_u32_e32 vcc, s57, v17
	v_xor_b32_e32 v8, s12, v8
	s_nop 0
	v_cndmask_b32_e32 v9, v9, v20, vcc
	v_cndmask_b32_e32 v17, v17, v18, vcc
	v_add_u32_e32 v18, 1, v9
	v_cmp_le_u32_e32 vcc, s57, v17
	s_nop 1
	v_cndmask_b32_e32 v9, v9, v18, vcc
	v_xor_b32_e32 v9, v9, v8
	v_sub_u32_e32 v8, v9, v8
	v_cmp_gt_i32_e32 vcc, s54, v8
	s_nop 1
	v_cndmask_b32_e32 v9, 0, v19, vcc
	v_and_b32_e32 v9, v9, v15
	v_cmp_ne_u32_e32 vcc, 0, v9
	s_and_saveexec_b64 s[44:45], vcc
	s_cbranch_execz .LBB34_17
; %bb.23:                               ;   in Loop: Header=BB34_18 Depth=4
	v_ashrrev_i32_e32 v9, 31, v8
	v_lshl_add_u64 v[8:9], v[8:9], 1, v[6:7]
	global_load_ushort v17, v12, s[42:43]
	s_nop 0
	global_load_ushort v8, v[8:9], off
	s_waitcnt vmcnt(1)
	v_lshlrev_b32_e32 v17, 16, v17
	s_waitcnt vmcnt(0)
	v_lshlrev_b32_e32 v8, 16, v8
	v_cvt_f64_f32_e32 v[8:9], v8
	v_cvt_f64_f32_e32 v[18:19], v17
	v_fmac_f64_e32 v[2:3], v[8:9], v[18:19]
	s_branch .LBB34_17
.LBB34_24:                              ;   in Loop: Header=BB34_18 Depth=4
	v_max_i32_e32 v17, v16, v19
	v_mul_hi_u32 v9, v17, v11
	v_mul_lo_u32 v18, v9, s57
	v_sub_u32_e32 v17, v17, v18
	v_subrev_u32_e32 v18, s57, v17
	v_cmp_le_u32_e32 vcc, s57, v17
	v_ashrrev_i32_e32 v8, 31, v16
	s_mov_b32 s61, 1
	v_cndmask_b32_e32 v19, v17, v18, vcc
	v_subrev_u32_e32 v20, s57, v19
	v_cmp_le_u32_e32 vcc, s57, v19
	s_nop 1
	v_cndmask_b32_e32 v19, v19, v20, vcc
	v_xor_b32_e32 v19, v19, v8
	v_sub_u32_e32 v19, v19, v8
	v_cmp_ne_u32_e32 vcc, 0, v19
	s_and_b64 s[44:45], vcc, exec
                                        ; implicit-def: $vgpr19
	s_andn2_saveexec_b64 s[46:47], s[46:47]
	s_cbranch_execz .LBB34_20
.LBB34_25:                              ;   in Loop: Header=BB34_18 Depth=4
	v_max_i32_e32 v17, v16, v19
	v_mul_hi_u32 v9, v17, v11
	v_mul_lo_u32 v18, v9, s57
	v_sub_u32_e32 v17, v17, v18
	v_ashrrev_i32_e32 v8, 31, v16
	v_subrev_u32_e32 v18, s57, v17
	s_or_b64 s[44:45], s[44:45], exec
	s_or_b64 exec, exec, s[46:47]
	v_mov_b32_e32 v19, s61
	s_and_saveexec_b64 s[46:47], s[44:45]
	s_cbranch_execnz .LBB34_21
	s_branch .LBB34_22
.LBB34_26:                              ;   in Loop: Header=BB34_3 Depth=1
	v_mov_b64_e32 v[2:3], 0
.LBB34_27:                              ;   in Loop: Header=BB34_3 Depth=1
	v_ashrrev_i32_e32 v5, 31, v4
	v_mad_i64_i32 v[4:5], s[36:37], v13, s48, v[4:5]
	s_mov_b64 s[36:37], -1
	s_and_b64 vcc, exec, s[34:35]
	s_cbranch_vccz .LBB34_29
; %bb.28:                               ;   in Loop: Header=BB34_3 Depth=1
	v_lshl_add_u64 v[6:7], v[4:5], 1, s[2:3]
	global_load_ushort v8, v[6:7], off
	s_waitcnt vmcnt(0)
	v_lshlrev_b32_e32 v8, 16, v8
	v_cvt_f64_f32_e32 v[8:9], v8
	v_mul_f64 v[8:9], v[8:9], s[26:27]
	v_fmac_f64_e32 v[8:9], s[24:25], v[2:3]
	v_cvt_f32_f64_e32 v8, v[8:9]
	v_and_b32_e32 v9, 0x7f800000, v8
	v_cmp_ne_u32_sdwa s[36:37], v8, v12 src0_sel:WORD_0 src1_sel:DWORD
	v_cmp_eq_u32_e32 vcc, s17, v9
	s_and_b64 s[36:37], vcc, s[36:37]
	v_cndmask_b32_e64 v9, 0, 1, s[36:37]
	v_or_b32_sdwa v8, v8, v9 dst_sel:DWORD dst_unused:UNUSED_PAD src0_sel:WORD_1 src1_sel:DWORD
	global_store_short v[6:7], v8, off
	s_mov_b64 s[36:37], 0
.LBB34_29:                              ;   in Loop: Header=BB34_3 Depth=1
	s_andn2_b64 vcc, exec, s[36:37]
	s_cbranch_vccnz .LBB34_2
; %bb.30:                               ;   in Loop: Header=BB34_3 Depth=1
	v_cvt_f32_f64_e32 v2, v[2:3]
	v_and_b32_e32 v3, 0x7f800000, v2
	v_cmp_eq_u32_e32 vcc, s17, v3
	v_cmp_ne_u32_sdwa s[36:37], v2, v12 src0_sel:WORD_0 src1_sel:DWORD
	s_and_b64 s[36:37], vcc, s[36:37]
	s_nop 0
	v_cndmask_b32_e64 v3, 0, 1, s[36:37]
	v_or_b32_sdwa v6, v2, v3 dst_sel:DWORD dst_unused:UNUSED_PAD src0_sel:WORD_1 src1_sel:DWORD
	v_lshl_add_u64 v[2:3], v[4:5], 1, s[2:3]
	global_store_short v[2:3], v6, off
	s_branch .LBB34_2
.LBB34_31:
	s_endpgm
	.section	.rodata,"a",@progbits
	.p2align	6, 0x0
	.amdhsa_kernel naive_conv_ab_packed_bwd_nchw_ushort_double_ushort_0
		.amdhsa_group_segment_fixed_size 0
		.amdhsa_private_segment_fixed_size 0
		.amdhsa_kernarg_size 480
		.amdhsa_user_sgpr_count 2
		.amdhsa_user_sgpr_dispatch_ptr 0
		.amdhsa_user_sgpr_queue_ptr 0
		.amdhsa_user_sgpr_kernarg_segment_ptr 1
		.amdhsa_user_sgpr_dispatch_id 0
		.amdhsa_user_sgpr_kernarg_preload_length 0
		.amdhsa_user_sgpr_kernarg_preload_offset 0
		.amdhsa_user_sgpr_private_segment_size 0
		.amdhsa_uses_dynamic_stack 0
		.amdhsa_enable_private_segment 0
		.amdhsa_system_sgpr_workgroup_id_x 1
		.amdhsa_system_sgpr_workgroup_id_y 0
		.amdhsa_system_sgpr_workgroup_id_z 0
		.amdhsa_system_sgpr_workgroup_info 0
		.amdhsa_system_vgpr_workitem_id 0
		.amdhsa_next_free_vgpr 21
		.amdhsa_next_free_sgpr 62
		.amdhsa_accum_offset 24
		.amdhsa_reserve_vcc 1
		.amdhsa_float_round_mode_32 0
		.amdhsa_float_round_mode_16_64 0
		.amdhsa_float_denorm_mode_32 3
		.amdhsa_float_denorm_mode_16_64 3
		.amdhsa_dx10_clamp 1
		.amdhsa_ieee_mode 1
		.amdhsa_fp16_overflow 0
		.amdhsa_tg_split 0
		.amdhsa_exception_fp_ieee_invalid_op 0
		.amdhsa_exception_fp_denorm_src 0
		.amdhsa_exception_fp_ieee_div_zero 0
		.amdhsa_exception_fp_ieee_overflow 0
		.amdhsa_exception_fp_ieee_underflow 0
		.amdhsa_exception_fp_ieee_inexact 0
		.amdhsa_exception_int_div_zero 0
	.end_amdhsa_kernel
	.text
.Lfunc_end34:
	.size	naive_conv_ab_packed_bwd_nchw_ushort_double_ushort_0, .Lfunc_end34-naive_conv_ab_packed_bwd_nchw_ushort_double_ushort_0
                                        ; -- End function
	.section	.AMDGPU.csdata,"",@progbits
; Kernel info:
; codeLenInByte = 2040
; NumSgprs: 68
; NumVgprs: 21
; NumAgprs: 0
; TotalNumVgprs: 21
; ScratchSize: 0
; MemoryBound: 0
; FloatMode: 240
; IeeeMode: 1
; LDSByteSize: 0 bytes/workgroup (compile time only)
; SGPRBlocks: 8
; VGPRBlocks: 2
; NumSGPRsForWavesPerEU: 68
; NumVGPRsForWavesPerEU: 21
; AccumOffset: 24
; Occupancy: 8
; WaveLimiterHint : 0
; COMPUTE_PGM_RSRC2:SCRATCH_EN: 0
; COMPUTE_PGM_RSRC2:USER_SGPR: 2
; COMPUTE_PGM_RSRC2:TRAP_HANDLER: 0
; COMPUTE_PGM_RSRC2:TGID_X_EN: 1
; COMPUTE_PGM_RSRC2:TGID_Y_EN: 0
; COMPUTE_PGM_RSRC2:TGID_Z_EN: 0
; COMPUTE_PGM_RSRC2:TIDIG_COMP_CNT: 0
; COMPUTE_PGM_RSRC3_GFX90A:ACCUM_OFFSET: 5
; COMPUTE_PGM_RSRC3_GFX90A:TG_SPLIT: 0
	.text
	.protected	naive_conv_ab_nonpacked_bwd_nchw_ushort_double_ushort_0 ; -- Begin function naive_conv_ab_nonpacked_bwd_nchw_ushort_double_ushort_0
	.globl	naive_conv_ab_nonpacked_bwd_nchw_ushort_double_ushort_0
	.p2align	8
	.type	naive_conv_ab_nonpacked_bwd_nchw_ushort_double_ushort_0,@function
naive_conv_ab_nonpacked_bwd_nchw_ushort_double_ushort_0: ; @naive_conv_ab_nonpacked_bwd_nchw_ushort_double_ushort_0
; %bb.0:
	s_load_dwordx8 s[20:27], s[0:1], 0xa0
	s_abs_i32 s3, s2
	s_waitcnt lgkmcnt(0)
	s_abs_i32 s5, s24
	v_cvt_f32_u32_e32 v1, s5
	s_sub_i32 s6, 0, s5
	s_mul_i32 s4, s24, s22
	s_mul_i32 s20, s21, s20
	v_rcp_iflag_f32_e32 v1, v1
	v_cmp_gt_i32_e32 vcc, s20, v0
	v_mul_f32_e32 v1, 0x4f7ffffe, v1
	v_cvt_u32_f32_e32 v1, v1
	s_nop 0
	v_readfirstlane_b32 s7, v1
	s_mul_i32 s6, s6, s7
	s_mul_hi_u32 s6, s7, s6
	s_add_i32 s7, s7, s6
	s_mul_hi_u32 s6, s3, s7
	s_mul_i32 s7, s6, s5
	s_sub_i32 s7, s3, s7
	s_add_i32 s8, s6, 1
	s_sub_i32 s9, s7, s5
	s_cmp_ge_u32 s7, s5
	s_cselect_b32 s6, s8, s6
	s_cselect_b32 s7, s9, s7
	s_add_i32 s8, s6, 1
	s_cmp_ge_u32 s7, s5
	s_cselect_b32 s5, s8, s6
	s_abs_i32 s33, s22
	s_abs_i32 s22, s4
	v_cvt_f32_u32_e32 v1, s33
	v_cvt_f32_u32_e32 v2, s22
	v_rcp_iflag_f32_e32 v1, v1
	v_rcp_iflag_f32_e32 v2, v2
	v_mul_f32_e32 v1, 0x4f7ffffe, v1
	v_mul_f32_e32 v2, 0x4f7ffffe, v2
	v_cvt_u32_f32_e32 v1, v1
	v_cvt_u32_f32_e32 v2, v2
	v_readfirstlane_b32 s7, v1
	v_readfirstlane_b32 s6, v2
	s_and_saveexec_b64 s[8:9], vcc
	s_cbranch_execz .LBB35_31
; %bb.1:
	s_load_dwordx8 s[36:43], s[0:1], 0x0
	s_load_dwordx2 s[34:35], s[0:1], 0x20
	s_load_dwordx8 s[44:51], s[0:1], 0xc0
	s_waitcnt lgkmcnt(0)
	s_ashr_i32 s51, s2, 31
	s_ashr_i32 s8, s24, 31
	s_xor_b32 s8, s51, s8
	s_xor_b32 s5, s5, s8
	s_sub_i32 s62, s5, s8
	s_sub_i32 s5, 0, s33
	s_mul_i32 s5, s5, s7
	s_mul_hi_u32 s5, s7, s5
	s_abs_i32 s64, s62
	s_add_i32 s7, s7, s5
	s_mul_hi_u32 s65, s64, s7
	s_ashr_i32 s66, s4, 31
	s_sub_i32 s4, 0, s22
	s_ashr_i32 s63, s62, 31
	s_mul_i32 s4, s4, s6
	s_mul_i32 s62, s62, s24
	;; [unrolled: 1-line block ×3, first 2 shown]
	s_mul_hi_u32 s4, s6, s4
	s_sub_i32 s62, s2, s62
	s_sub_i32 s2, s64, s65
	s_add_i32 s6, s6, s4
	s_sub_i32 s24, s2, s33
	s_cmp_ge_u32 s2, s33
	s_cselect_b32 s2, s24, s2
	s_sub_i32 s24, s2, s33
	s_mul_hi_u32 s67, s3, s6
	s_cmp_ge_u32 s2, s33
	s_cselect_b32 s2, s24, s2
	s_mul_i32 s33, s67, s22
	s_xor_b32 s2, s2, s63
	s_sub_i32 s3, s3, s33
	s_sub_i32 s24, s2, s63
	s_xor_b32 s2, s51, s66
	s_add_i32 s33, s67, 1
	s_sub_i32 s51, s3, s22
	s_cmp_ge_u32 s3, s22
	s_cselect_b32 s33, s33, s67
	s_cselect_b32 s3, s51, s3
	s_add_i32 s51, s33, 1
	s_cmp_ge_u32 s3, s22
	s_load_dwordx16 s[4:19], s[0:1], 0x28
	s_load_dwordx2 s[60:61], s[0:1], 0x98
	s_load_dwordx4 s[28:31], s[0:1], 0x88
	s_load_dwordx8 s[52:59], s[0:1], 0x68
	s_cselect_b32 s3, s51, s33
	s_xor_b32 s3, s3, s2
	s_ashr_i32 s22, s24, 31
	s_sub_i32 s63, s3, s2
	s_waitcnt lgkmcnt(0)
	s_mul_i32 s2, s12, s22
	s_mul_hi_u32 s3, s12, s24
	s_add_i32 s2, s3, s2
	s_mul_i32 s3, s13, s24
	s_ashr_i32 s66, s63, 31
	s_add_i32 s3, s2, s3
	s_mul_i32 s2, s12, s24
	s_mul_i32 s12, s10, s66
	s_mul_hi_u32 s13, s10, s63
	s_add_i32 s12, s13, s12
	s_mul_i32 s11, s11, s63
	s_ashr_i32 s67, s62, 31
	s_add_i32 s11, s12, s11
	s_mul_i32 s12, s8, s67
	s_mul_hi_u32 s13, s8, s62
	s_add_i32 s12, s13, s12
	s_mul_i32 s9, s9, s62
	s_add_i32 s9, s12, s9
	s_lshl_b64 s[2:3], s[2:3], 1
	s_mul_i32 s10, s10, s63
	s_add_u32 s12, s36, s2
	s_addc_u32 s13, s37, s3
	s_lshl_b64 s[2:3], s[10:11], 1
	s_mul_i32 s8, s8, s62
	s_add_u32 s10, s12, s2
	s_addc_u32 s11, s13, s3
	s_lshl_b64 s[2:3], s[8:9], 1
	s_add_u32 s2, s10, s2
	s_mul_i32 s8, s60, s22
	s_mul_hi_u32 s9, s60, s24
	s_addc_u32 s3, s11, s3
	s_add_i32 s8, s9, s8
	s_mul_i32 s9, s61, s24
	s_mul_i32 s10, s30, s66
	s_mul_hi_u32 s11, s30, s63
	s_add_i32 s9, s8, s9
	s_mul_i32 s8, s60, s24
	s_add_i32 s10, s11, s10
	s_mul_i32 s11, s31, s63
	s_add_i32 s11, s10, s11
	s_lshl_b64 s[8:9], s[8:9], 1
	s_mul_i32 s10, s30, s63
	s_add_u32 s12, s34, s8
	s_addc_u32 s13, s35, s9
	s_lshl_b64 s[8:9], s[10:11], 1
	s_add_u32 s22, s12, s8
	s_addc_u32 s24, s13, s9
	s_cmp_gt_i32 s23, 0
	s_cselect_b64 s[8:9], -1, 0
	s_cmp_gt_i32 s49, 0
	s_cselect_b64 s[10:11], -1, 0
	s_cmp_gt_i32 s50, 0
	s_load_dword s33, s[0:1], 0xec
	s_cselect_b64 s[0:1], -1, 0
	v_cmp_neq_f64_e64 s[12:13], s[40:41], 1.0
	v_cmp_neq_f64_e64 s[30:31], s[42:43], 0
	s_abs_i32 s64, s21
	s_or_b64 s[12:13], s[12:13], s[30:31]
	s_ashr_i32 s65, s27, 31
	s_abs_i32 s27, s27
	s_mul_i32 s30, s18, s67
	s_mul_hi_u32 s31, s18, s62
	v_cvt_f32_u32_e32 v1, s64
	s_add_i32 s30, s31, s30
	s_mul_i32 s19, s19, s62
	v_cvt_f32_u32_e32 v2, s27
	s_add_i32 s19, s30, s19
	s_mul_i32 s30, s54, s66
	s_ashr_i32 s66, s44, 31
	s_abs_i32 s44, s44
	v_cvt_f32_u32_e32 v3, s44
	v_rcp_iflag_f32_e32 v1, v1
	v_rcp_iflag_f32_e32 v2, v2
	s_mul_hi_u32 s31, s54, s63
	v_rcp_iflag_f32_e32 v3, v3
	v_mul_f32_e32 v1, 0x4f7ffffe, v1
	v_cvt_u32_f32_e32 v1, v1
	v_mul_f32_e32 v2, 0x4f7ffffe, v2
	v_cvt_u32_f32_e32 v2, v2
	v_mul_f32_e32 v3, 0x4f7ffffe, v3
	s_sub_i32 s34, 0, s64
	s_add_i32 s30, s31, s30
	s_mul_i32 s31, s55, s63
	v_cvt_u32_f32_e32 v3, v3
	s_sub_i32 s35, 0, s27
	s_mul_i32 s18, s18, s62
	s_add_i32 s31, s30, s31
	s_mul_i32 s30, s54, s63
	v_mul_lo_u32 v4, s34, v1
	s_waitcnt lgkmcnt(0)
	s_and_b32 s33, s33, 0xffff
	s_ashr_i32 s51, s21, 31
	s_lshl_b64 s[18:19], s[18:19], 1
	s_lshl_b64 s[30:31], s[30:31], 1
	s_sub_i32 s36, 0, s44
	v_mul_lo_u32 v5, s35, v2
	v_mul_hi_u32 v4, v1, v4
	s_add_u32 s30, s18, s30
	v_add_u32_e32 v1, v1, v4
	v_mul_hi_u32 v4, v2, v5
	s_addc_u32 s31, s19, s31
	v_add_u32_e32 v6, v2, v4
	v_mul_lo_u32 v2, s36, v3
	v_mul_hi_u32 v2, v3, v2
	s_add_u32 s30, s38, s30
	s_mov_b64 s[18:19], 0
	v_add_u32_e32 v7, v3, v2
	s_addc_u32 s31, s39, s31
	s_lshl_b64 s[34:35], s[52:53], 1
	s_lshl_b64 s[16:17], s[16:17], 1
	;; [unrolled: 1-line block ×3, first 2 shown]
	v_mov_b32_e32 v8, 0
	s_mov_b32 s67, 0x7f800000
	s_branch .LBB35_3
.LBB35_2:                               ;   in Loop: Header=BB35_3 Depth=1
	v_add_u32_e32 v0, s33, v0
	v_cmp_le_i32_e32 vcc, s20, v0
	s_or_b64 s[18:19], vcc, s[18:19]
	s_andn2_b64 exec, exec, s[18:19]
	s_cbranch_execz .LBB35_31
.LBB35_3:                               ; =>This Loop Header: Depth=1
                                        ;     Child Loop BB35_6 Depth 2
                                        ;       Child Loop BB35_9 Depth 3
                                        ;         Child Loop BB35_18 Depth 4
	v_sub_u32_e32 v3, 0, v0
	v_max_i32_e32 v3, v0, v3
	v_mul_hi_u32 v4, v3, v1
	v_mul_lo_u32 v5, v4, s64
	v_sub_u32_e32 v3, v3, v5
	v_add_u32_e32 v5, 1, v4
	v_cmp_le_u32_e32 vcc, s64, v3
	v_ashrrev_i32_e32 v2, 31, v0
	v_xor_b32_e32 v2, s51, v2
	v_cndmask_b32_e32 v4, v4, v5, vcc
	v_subrev_u32_e32 v5, s64, v3
	v_cndmask_b32_e32 v3, v3, v5, vcc
	v_add_u32_e32 v5, 1, v4
	v_cmp_le_u32_e32 vcc, s64, v3
	s_nop 1
	v_cndmask_b32_e32 v3, v4, v5, vcc
	v_xor_b32_e32 v3, v3, v2
	v_sub_u32_e32 v10, v3, v2
	v_mul_lo_u32 v2, v10, s21
	s_andn2_b64 vcc, exec, s[8:9]
	v_sub_u32_e32 v9, v0, v2
	s_cbranch_vccnz .LBB35_26
; %bb.4:                                ;   in Loop: Header=BB35_3 Depth=1
	v_add_u32_e32 v11, s47, v10
	v_add_u32_e32 v12, s48, v9
	s_mov_b32 s68, 0
	v_mov_b64_e32 v[2:3], 0
	s_mov_b64 s[36:37], s[30:31]
	s_branch .LBB35_6
.LBB35_5:                               ;   in Loop: Header=BB35_6 Depth=2
	s_add_i32 s68, s68, 1
	s_add_u32 s36, s36, s34
	s_addc_u32 s37, s37, s35
	s_cmp_eq_u32 s68, s23
	s_cbranch_scc1 .LBB35_27
.LBB35_6:                               ;   Parent Loop BB35_3 Depth=1
                                        ; =>  This Loop Header: Depth=2
                                        ;       Child Loop BB35_9 Depth 3
                                        ;         Child Loop BB35_18 Depth 4
	s_andn2_b64 vcc, exec, s[10:11]
	s_cbranch_vccnz .LBB35_5
; %bb.7:                                ;   in Loop: Header=BB35_6 Depth=2
	s_mul_i32 s38, s29, s68
	s_mul_hi_u32 s39, s28, s68
	s_add_i32 s39, s39, s38
	s_mul_i32 s38, s28, s68
	s_lshl_b64 s[38:39], s[38:39], 1
	s_add_u32 s38, s22, s38
	s_addc_u32 s39, s24, s39
	s_mov_b32 s69, 0
	s_mov_b64 s[52:53], s[36:37]
	s_branch .LBB35_9
.LBB35_8:                               ;   in Loop: Header=BB35_9 Depth=3
	s_add_i32 s69, s69, 1
	s_add_u32 s52, s52, s16
	s_addc_u32 s53, s53, s17
	s_cmp_eq_u32 s69, s49
	s_cbranch_scc1 .LBB35_5
.LBB35_9:                               ;   Parent Loop BB35_3 Depth=1
                                        ;     Parent Loop BB35_6 Depth=2
                                        ; =>    This Loop Header: Depth=3
                                        ;         Child Loop BB35_18 Depth 4
	s_mul_i32 s54, s69, s45
	v_subrev_u32_e32 v15, s54, v11
	v_cmp_lt_i32_e32 vcc, -1, v15
	s_mov_b64 s[54:55], 0
                                        ; implicit-def: $sgpr62
                                        ; implicit-def: $vgpr4
                                        ; implicit-def: $vgpr5
                                        ; implicit-def: $vgpr13
                                        ; implicit-def: $vgpr14
	s_and_saveexec_b64 s[60:61], vcc
	s_xor_b64 s[60:61], exec, s[60:61]
	s_cbranch_execnz .LBB35_13
; %bb.10:                               ;   in Loop: Header=BB35_9 Depth=3
	s_andn2_saveexec_b64 s[60:61], s[60:61]
	s_cbranch_execnz .LBB35_14
.LBB35_11:                              ;   in Loop: Header=BB35_9 Depth=3
	s_or_b64 exec, exec, s[60:61]
	v_mov_b32_e32 v15, s62
	s_and_saveexec_b64 s[60:61], s[54:55]
	s_cbranch_execnz .LBB35_15
.LBB35_12:                              ;   in Loop: Header=BB35_9 Depth=3
	s_or_b64 exec, exec, s[60:61]
	s_andn2_b64 vcc, exec, s[0:1]
	s_cbranch_vccz .LBB35_16
	s_branch .LBB35_8
.LBB35_13:                              ;   in Loop: Header=BB35_9 Depth=3
	v_sub_u32_e32 v5, 0, v15
	v_max_i32_e32 v13, v15, v5
	v_mul_hi_u32 v5, v13, v6
	v_mul_lo_u32 v14, v5, s27
	v_sub_u32_e32 v13, v13, v14
	v_subrev_u32_e32 v14, s27, v13
	v_cmp_le_u32_e32 vcc, s27, v13
	v_ashrrev_i32_e32 v4, 31, v15
	s_mov_b32 s62, 1
	v_cndmask_b32_e32 v15, v13, v14, vcc
	v_subrev_u32_e32 v16, s27, v15
	v_cmp_le_u32_e32 vcc, s27, v15
	s_nop 1
	v_cndmask_b32_e32 v15, v15, v16, vcc
	v_xor_b32_e32 v15, v15, v4
	v_sub_u32_e32 v15, v15, v4
	v_cmp_ne_u32_e32 vcc, 0, v15
	s_and_b64 s[54:55], vcc, exec
                                        ; implicit-def: $vgpr15
	s_andn2_saveexec_b64 s[60:61], s[60:61]
	s_cbranch_execz .LBB35_11
.LBB35_14:                              ;   in Loop: Header=BB35_9 Depth=3
	v_sub_u32_e32 v5, 0, v15
	v_max_i32_e32 v13, v15, v5
	v_mul_hi_u32 v5, v13, v6
	v_mul_lo_u32 v14, v5, s27
	v_sub_u32_e32 v13, v13, v14
	v_ashrrev_i32_e32 v4, 31, v15
	v_subrev_u32_e32 v14, s27, v13
	s_or_b64 s[54:55], s[54:55], exec
	s_or_b64 exec, exec, s[60:61]
	v_mov_b32_e32 v15, s62
	s_and_saveexec_b64 s[60:61], s[54:55]
	s_cbranch_execz .LBB35_12
.LBB35_15:                              ;   in Loop: Header=BB35_9 Depth=3
	v_mov_b32_e32 v15, 0
	s_or_b64 exec, exec, s[60:61]
	s_andn2_b64 vcc, exec, s[0:1]
	s_cbranch_vccnz .LBB35_8
.LBB35_16:                              ;   in Loop: Header=BB35_9 Depth=3
	v_add_u32_e32 v16, 1, v5
	v_cmp_le_u32_e32 vcc, s27, v13
	v_xor_b32_e32 v4, s65, v4
	s_mov_b32 s70, s50
	v_cndmask_b32_e32 v5, v5, v16, vcc
	v_cndmask_b32_e32 v13, v13, v14, vcc
	v_add_u32_e32 v14, 1, v5
	v_cmp_le_u32_e32 vcc, s27, v13
	s_nop 1
	v_cndmask_b32_e32 v5, v5, v14, vcc
	v_xor_b32_e32 v5, v5, v4
	v_sub_u32_e32 v4, v5, v4
	v_cmp_gt_i32_e32 vcc, s25, v4
	v_ashrrev_i32_e32 v5, 31, v4
	v_mul_lo_u32 v14, s58, v5
	v_cndmask_b32_e32 v13, 0, v15, vcc
	v_mul_lo_u32 v15, s59, v4
	v_mad_u64_u32 v[4:5], s[54:55], s58, v4, 0
	v_add3_u32 v5, v5, v14, v15
	v_lshl_add_u64 v[4:5], v[4:5], 1, s[38:39]
	s_mov_b64 s[54:55], s[52:53]
	v_mov_b32_e32 v14, v12
	s_branch .LBB35_18
.LBB35_17:                              ;   in Loop: Header=BB35_18 Depth=4
	s_or_b64 exec, exec, s[60:61]
	s_add_i32 s70, s70, -1
	s_add_u32 s54, s54, s14
	s_addc_u32 s55, s55, s15
	s_cmp_eq_u32 s70, 0
	v_subrev_u32_e32 v14, s46, v14
	s_cbranch_scc1 .LBB35_8
.LBB35_18:                              ;   Parent Loop BB35_3 Depth=1
                                        ;     Parent Loop BB35_6 Depth=2
                                        ;       Parent Loop BB35_9 Depth=3
                                        ; =>      This Inner Loop Header: Depth=4
	v_cmp_lt_i32_e32 vcc, -1, v14
	s_mov_b64 s[60:61], 0
	v_sub_u32_e32 v19, 0, v14
                                        ; implicit-def: $sgpr71
                                        ; implicit-def: $vgpr15
                                        ; implicit-def: $vgpr16
                                        ; implicit-def: $vgpr17
                                        ; implicit-def: $vgpr18
	s_and_saveexec_b64 s[62:63], vcc
	s_xor_b64 s[62:63], exec, s[62:63]
	s_cbranch_execnz .LBB35_24
; %bb.19:                               ;   in Loop: Header=BB35_18 Depth=4
	s_andn2_saveexec_b64 s[62:63], s[62:63]
	s_cbranch_execnz .LBB35_25
.LBB35_20:                              ;   in Loop: Header=BB35_18 Depth=4
	s_or_b64 exec, exec, s[62:63]
	v_mov_b32_e32 v19, s71
	s_and_saveexec_b64 s[62:63], s[60:61]
.LBB35_21:                              ;   in Loop: Header=BB35_18 Depth=4
	v_mov_b32_e32 v19, 0
.LBB35_22:                              ;   in Loop: Header=BB35_18 Depth=4
	s_or_b64 exec, exec, s[62:63]
	v_add_u32_e32 v20, 1, v16
	v_cmp_le_u32_e32 vcc, s44, v17
	v_xor_b32_e32 v15, s66, v15
	s_nop 0
	v_cndmask_b32_e32 v16, v16, v20, vcc
	v_cndmask_b32_e32 v17, v17, v18, vcc
	v_add_u32_e32 v18, 1, v16
	v_cmp_le_u32_e32 vcc, s44, v17
	s_nop 1
	v_cndmask_b32_e32 v16, v16, v18, vcc
	v_xor_b32_e32 v16, v16, v15
	v_sub_u32_e32 v15, v16, v15
	v_cmp_gt_i32_e32 vcc, s26, v15
	s_nop 1
	v_cndmask_b32_e32 v16, 0, v19, vcc
	v_and_b32_e32 v16, v16, v13
	v_cmp_ne_u32_e32 vcc, 0, v16
	s_and_saveexec_b64 s[60:61], vcc
	s_cbranch_execz .LBB35_17
; %bb.23:                               ;   in Loop: Header=BB35_18 Depth=4
	v_ashrrev_i32_e32 v16, 31, v15
	v_mul_lo_u32 v18, s57, v15
	v_mul_lo_u32 v19, s56, v16
	v_mad_u64_u32 v[16:17], s[62:63], s56, v15, 0
	v_add3_u32 v17, v17, v19, v18
	v_lshl_add_u64 v[16:17], v[16:17], 1, v[4:5]
	global_load_ushort v15, v8, s[54:55]
	s_nop 0
	global_load_ushort v16, v[16:17], off
	s_waitcnt vmcnt(1)
	v_lshlrev_b32_e32 v15, 16, v15
	s_waitcnt vmcnt(0)
	v_lshlrev_b32_e32 v16, 16, v16
	v_cvt_f64_f32_e32 v[16:17], v16
	v_cvt_f64_f32_e32 v[18:19], v15
	v_fmac_f64_e32 v[2:3], v[16:17], v[18:19]
	s_branch .LBB35_17
.LBB35_24:                              ;   in Loop: Header=BB35_18 Depth=4
	v_max_i32_e32 v17, v14, v19
	v_mul_hi_u32 v16, v17, v7
	v_mul_lo_u32 v18, v16, s44
	v_sub_u32_e32 v17, v17, v18
	v_subrev_u32_e32 v18, s44, v17
	v_cmp_le_u32_e32 vcc, s44, v17
	v_ashrrev_i32_e32 v15, 31, v14
	s_mov_b32 s71, 1
	v_cndmask_b32_e32 v19, v17, v18, vcc
	v_subrev_u32_e32 v20, s44, v19
	v_cmp_le_u32_e32 vcc, s44, v19
	s_nop 1
	v_cndmask_b32_e32 v19, v19, v20, vcc
	v_xor_b32_e32 v19, v19, v15
	v_sub_u32_e32 v19, v19, v15
	v_cmp_ne_u32_e32 vcc, 0, v19
	s_and_b64 s[60:61], vcc, exec
                                        ; implicit-def: $vgpr19
	s_andn2_saveexec_b64 s[62:63], s[62:63]
	s_cbranch_execz .LBB35_20
.LBB35_25:                              ;   in Loop: Header=BB35_18 Depth=4
	v_max_i32_e32 v17, v14, v19
	v_mul_hi_u32 v16, v17, v7
	v_mul_lo_u32 v18, v16, s44
	v_sub_u32_e32 v17, v17, v18
	v_ashrrev_i32_e32 v15, 31, v14
	v_subrev_u32_e32 v18, s44, v17
	s_or_b64 s[60:61], s[60:61], exec
	s_or_b64 exec, exec, s[62:63]
	v_mov_b32_e32 v19, s71
	s_and_saveexec_b64 s[62:63], s[60:61]
	s_cbranch_execnz .LBB35_21
	s_branch .LBB35_22
.LBB35_26:                              ;   in Loop: Header=BB35_3 Depth=1
	v_mov_b64_e32 v[2:3], 0
.LBB35_27:                              ;   in Loop: Header=BB35_3 Depth=1
	v_ashrrev_i32_e32 v4, 31, v10
	v_mul_lo_u32 v11, s7, v10
	v_mul_lo_u32 v12, s6, v4
	v_mad_u64_u32 v[4:5], s[36:37], s6, v10, 0
	v_add3_u32 v5, v5, v12, v11
	v_ashrrev_i32_e32 v10, 31, v9
	v_mad_u64_u32 v[4:5], s[36:37], s4, v9, v[4:5]
	v_mul_lo_u32 v9, s5, v9
	v_mul_lo_u32 v10, s4, v10
	v_add3_u32 v5, v9, v5, v10
	s_mov_b64 s[36:37], -1
	s_and_b64 vcc, exec, s[12:13]
	s_cbranch_vccz .LBB35_29
; %bb.28:                               ;   in Loop: Header=BB35_3 Depth=1
	v_lshl_add_u64 v[10:11], v[4:5], 1, s[2:3]
	global_load_ushort v9, v[10:11], off
	s_waitcnt vmcnt(0)
	v_lshlrev_b32_e32 v9, 16, v9
	v_cvt_f64_f32_e32 v[12:13], v9
	v_mul_f64 v[12:13], v[12:13], s[42:43]
	v_fmac_f64_e32 v[12:13], s[40:41], v[2:3]
	v_cvt_f32_f64_e32 v9, v[12:13]
	v_and_b32_e32 v12, 0x7f800000, v9
	v_cmp_ne_u32_sdwa s[36:37], v9, v8 src0_sel:WORD_0 src1_sel:DWORD
	v_cmp_eq_u32_e32 vcc, s67, v12
	s_and_b64 s[36:37], vcc, s[36:37]
	v_cndmask_b32_e64 v12, 0, 1, s[36:37]
	v_or_b32_sdwa v9, v9, v12 dst_sel:DWORD dst_unused:UNUSED_PAD src0_sel:WORD_1 src1_sel:DWORD
	global_store_short v[10:11], v9, off
	s_mov_b64 s[36:37], 0
.LBB35_29:                              ;   in Loop: Header=BB35_3 Depth=1
	s_andn2_b64 vcc, exec, s[36:37]
	s_cbranch_vccnz .LBB35_2
; %bb.30:                               ;   in Loop: Header=BB35_3 Depth=1
	v_cvt_f32_f64_e32 v2, v[2:3]
	v_and_b32_e32 v3, 0x7f800000, v2
	v_cmp_eq_u32_e32 vcc, s67, v3
	v_cmp_ne_u32_sdwa s[36:37], v2, v8 src0_sel:WORD_0 src1_sel:DWORD
	s_and_b64 s[36:37], vcc, s[36:37]
	s_nop 0
	v_cndmask_b32_e64 v3, 0, 1, s[36:37]
	v_or_b32_sdwa v9, v2, v3 dst_sel:DWORD dst_unused:UNUSED_PAD src0_sel:WORD_1 src1_sel:DWORD
	v_lshl_add_u64 v[2:3], v[4:5], 1, s[2:3]
	global_store_short v[2:3], v9, off
	s_branch .LBB35_2
.LBB35_31:
	s_endpgm
	.section	.rodata,"a",@progbits
	.p2align	6, 0x0
	.amdhsa_kernel naive_conv_ab_nonpacked_bwd_nchw_ushort_double_ushort_0
		.amdhsa_group_segment_fixed_size 0
		.amdhsa_private_segment_fixed_size 0
		.amdhsa_kernarg_size 480
		.amdhsa_user_sgpr_count 2
		.amdhsa_user_sgpr_dispatch_ptr 0
		.amdhsa_user_sgpr_queue_ptr 0
		.amdhsa_user_sgpr_kernarg_segment_ptr 1
		.amdhsa_user_sgpr_dispatch_id 0
		.amdhsa_user_sgpr_kernarg_preload_length 0
		.amdhsa_user_sgpr_kernarg_preload_offset 0
		.amdhsa_user_sgpr_private_segment_size 0
		.amdhsa_uses_dynamic_stack 0
		.amdhsa_enable_private_segment 0
		.amdhsa_system_sgpr_workgroup_id_x 1
		.amdhsa_system_sgpr_workgroup_id_y 0
		.amdhsa_system_sgpr_workgroup_id_z 0
		.amdhsa_system_sgpr_workgroup_info 0
		.amdhsa_system_vgpr_workitem_id 0
		.amdhsa_next_free_vgpr 21
		.amdhsa_next_free_sgpr 72
		.amdhsa_accum_offset 24
		.amdhsa_reserve_vcc 1
		.amdhsa_float_round_mode_32 0
		.amdhsa_float_round_mode_16_64 0
		.amdhsa_float_denorm_mode_32 3
		.amdhsa_float_denorm_mode_16_64 3
		.amdhsa_dx10_clamp 1
		.amdhsa_ieee_mode 1
		.amdhsa_fp16_overflow 0
		.amdhsa_tg_split 0
		.amdhsa_exception_fp_ieee_invalid_op 0
		.amdhsa_exception_fp_denorm_src 0
		.amdhsa_exception_fp_ieee_div_zero 0
		.amdhsa_exception_fp_ieee_overflow 0
		.amdhsa_exception_fp_ieee_underflow 0
		.amdhsa_exception_fp_ieee_inexact 0
		.amdhsa_exception_int_div_zero 0
	.end_amdhsa_kernel
	.text
.Lfunc_end35:
	.size	naive_conv_ab_nonpacked_bwd_nchw_ushort_double_ushort_0, .Lfunc_end35-naive_conv_ab_nonpacked_bwd_nchw_ushort_double_ushort_0
                                        ; -- End function
	.section	.AMDGPU.csdata,"",@progbits
; Kernel info:
; codeLenInByte = 2164
; NumSgprs: 78
; NumVgprs: 21
; NumAgprs: 0
; TotalNumVgprs: 21
; ScratchSize: 0
; MemoryBound: 0
; FloatMode: 240
; IeeeMode: 1
; LDSByteSize: 0 bytes/workgroup (compile time only)
; SGPRBlocks: 9
; VGPRBlocks: 2
; NumSGPRsForWavesPerEU: 78
; NumVGPRsForWavesPerEU: 21
; AccumOffset: 24
; Occupancy: 8
; WaveLimiterHint : 0
; COMPUTE_PGM_RSRC2:SCRATCH_EN: 0
; COMPUTE_PGM_RSRC2:USER_SGPR: 2
; COMPUTE_PGM_RSRC2:TRAP_HANDLER: 0
; COMPUTE_PGM_RSRC2:TGID_X_EN: 1
; COMPUTE_PGM_RSRC2:TGID_Y_EN: 0
; COMPUTE_PGM_RSRC2:TGID_Z_EN: 0
; COMPUTE_PGM_RSRC2:TIDIG_COMP_CNT: 0
; COMPUTE_PGM_RSRC3_GFX90A:ACCUM_OFFSET: 5
; COMPUTE_PGM_RSRC3_GFX90A:TG_SPLIT: 0
	.text
	.protected	naive_conv_ab_packed_bwd_nhwc_float_double_float_0 ; -- Begin function naive_conv_ab_packed_bwd_nhwc_float_double_float_0
	.globl	naive_conv_ab_packed_bwd_nhwc_float_double_float_0
	.p2align	8
	.type	naive_conv_ab_packed_bwd_nhwc_float_double_float_0,@function
naive_conv_ab_packed_bwd_nhwc_float_double_float_0: ; @naive_conv_ab_packed_bwd_nhwc_float_double_float_0
; %bb.0:
	s_load_dwordx16 s[4:19], s[0:1], 0xa0
	s_abs_i32 s20, s2
	s_waitcnt lgkmcnt(0)
	s_abs_i32 s3, s4
	v_cvt_f32_u32_e32 v1, s3
	s_sub_i32 s21, 0, s3
	v_rcp_iflag_f32_e32 v1, v1
	s_nop 0
	v_mul_f32_e32 v1, 0x4f7ffffe, v1
	v_cvt_u32_f32_e32 v1, v1
	s_nop 0
	v_readfirstlane_b32 s22, v1
	s_mul_i32 s21, s21, s22
	s_mul_hi_u32 s21, s22, s21
	s_add_i32 s22, s22, s21
	s_mul_hi_u32 s21, s20, s22
	s_mul_i32 s22, s21, s3
	s_sub_i32 s20, s20, s22
	s_add_i32 s23, s21, 1
	s_sub_i32 s22, s20, s3
	s_cmp_ge_u32 s20, s3
	s_cselect_b32 s21, s23, s21
	s_cselect_b32 s20, s22, s20
	s_add_i32 s22, s21, 1
	s_cmp_ge_u32 s20, s3
	s_cselect_b32 s28, s22, s21
	s_abs_i32 s3, s6
	v_cvt_f32_u32_e32 v1, s3
	s_mul_i32 s6, s19, s8
	s_mul_i32 s33, s6, s5
	v_cmp_gt_i32_e32 vcc, s33, v0
	v_rcp_iflag_f32_e32 v1, v1
	s_nop 0
	v_mul_f32_e32 v1, 0x4f7ffffe, v1
	v_cvt_u32_f32_e32 v1, v1
	s_nop 0
	v_readfirstlane_b32 s29, v1
	s_and_saveexec_b64 s[20:21], vcc
	s_cbranch_execz .LBB36_28
; %bb.1:
	s_xor_b32 s30, s2, s4
	s_ashr_i32 s30, s30, 31
	s_sub_i32 s34, 0, s3
	s_xor_b32 s28, s28, s30
	s_mul_i32 s34, s34, s29
	s_sub_i32 s28, s28, s30
	s_mul_hi_u32 s34, s29, s34
	s_abs_i32 s31, s28
	s_add_i32 s29, s29, s34
	s_mul_hi_u32 s29, s31, s29
	s_ashr_i32 s30, s28, 31
	s_mul_i32 s28, s28, s4
	s_mul_i32 s29, s29, s3
	s_sub_i32 s28, s2, s28
	s_sub_i32 s2, s31, s29
	;; [unrolled: 1-line block ×3, first 2 shown]
	s_cmp_ge_u32 s2, s3
	s_cselect_b32 s2, s29, s2
	s_sub_i32 s29, s2, s3
	s_cmp_ge_u32 s2, s3
	s_cselect_b32 s2, s29, s2
	s_xor_b32 s2, s2, s30
	s_sub_i32 s40, s2, s30
	s_ashr_i32 s41, s40, 31
	s_mul_hi_i32 s2, s40, s4
	s_mul_i32 s3, s40, s4
	s_ashr_i32 s56, s6, 31
	s_ashr_i32 s4, s28, 31
	s_add_u32 s29, s3, s28
	s_load_dwordx8 s[20:27], s[0:1], 0x0
	s_addc_u32 s2, s2, s4
	s_mul_hi_i32 s3, s6, s5
	s_mul_i32 s2, s33, s2
	s_mul_hi_u32 s4, s33, s29
	s_add_i32 s2, s4, s2
	s_mul_i32 s3, s3, s29
	s_add_i32 s3, s2, s3
	s_mul_i32 s2, s33, s29
	s_lshl_b64 s[2:3], s[2:3], 2
	s_mul_i32 s19, s19, s7
	s_waitcnt lgkmcnt(0)
	s_add_u32 s2, s20, s2
	s_addc_u32 s3, s21, s3
	s_ashr_i32 s58, s19, 31
	s_cmp_lt_i32 s17, 1
	s_cselect_b64 s[4:5], -1, 0
	s_add_i32 s15, s28, s15
	s_cmp_gt_i32 s18, 0
	s_cselect_b64 s[20:21], -1, 0
	s_cmp_gt_i32 s7, 0
	s_cselect_b64 s[28:29], -1, 0
	s_abs_i32 s59, s6
	v_cvt_f32_u32_e32 v1, s59
	s_abs_i32 s60, s8
	v_cvt_f32_u32_e32 v2, s60
	v_cmp_neq_f64_e64 s[36:37], s[24:25], 1.0
	v_rcp_iflag_f32_e32 v1, v1
	v_cmp_neq_f64_e64 s[38:39], s[26:27], 0
	v_rcp_iflag_f32_e32 v2, v2
	s_or_b64 s[36:37], s[36:37], s[38:39]
	s_load_dwordx2 s[38:39], s[0:1], 0x20
	s_nop 0
	s_load_dword s0, s[0:1], 0xec
	v_mul_f32_e32 v1, 0x4f7ffffe, v1
	v_cvt_u32_f32_e32 v1, v1
	v_mul_f32_e32 v2, 0x4f7ffffe, v2
	s_abs_i32 s62, s11
	v_cvt_u32_f32_e32 v2, v2
	s_waitcnt lgkmcnt(0)
	s_and_b32 s61, s0, 0xffff
	s_sub_i32 s0, 0, s59
	v_cvt_f32_u32_e32 v4, s62
	v_mul_lo_u32 v3, s0, v1
	v_mul_hi_u32 v3, v1, v3
	s_sub_i32 s0, 0, s60
	v_add_u32_e32 v5, v1, v3
	v_mul_lo_u32 v3, s0, v2
	v_rcp_iflag_f32_e32 v1, v4
	v_mul_hi_u32 v3, v2, v3
	s_abs_i32 s63, s12
	v_add_u32_e32 v18, v2, v3
	v_cvt_f32_u32_e32 v2, s63
	v_mul_f32_e32 v1, 0x4f7ffffe, v1
	v_cvt_u32_f32_e32 v1, v1
	s_sub_i32 s0, 0, s62
	v_rcp_iflag_f32_e32 v2, v2
	s_ashr_i32 s43, s7, 31
	v_readfirstlane_b32 s1, v1
	s_mul_i32 s0, s0, s1
	v_mul_f32_e32 v1, 0x4f7ffffe, v2
	v_cvt_u32_f32_e32 v1, v1
	s_mul_hi_u32 s0, s1, s0
	s_mov_b32 s42, s7
	s_add_i32 s64, s1, s0
	s_sub_i32 s0, 0, s63
	s_mov_b32 s57, s9
	v_mul_lo_u32 v2, s0, v1
	s_lshl_b64 s[0:1], s[42:43], 2
	s_mul_hi_i32 s42, s10, s9
	s_mul_i32 s9, s10, s9
	s_mul_i32 s41, s9, s41
	s_mul_hi_u32 s44, s9, s40
	s_ashr_i32 s45, s17, 31
	s_add_i32 s41, s44, s41
	s_mul_i32 s42, s42, s40
	s_mul_i32 s44, s18, s8
	s_add_i32 s41, s41, s42
	s_mul_i32 s40, s9, s40
	s_mul_i32 s9, s44, s45
	s_mul_hi_u32 s42, s44, s17
	s_mul_hi_i32 s45, s18, s8
	s_add_i32 s9, s42, s9
	s_mul_i32 s42, s45, s17
	s_mul_i32 s48, s44, s17
	s_add_i32 s49, s9, s42
	s_mul_i32 s9, s48, s43
	s_mul_hi_u32 s42, s48, s7
	s_add_i32 s9, s42, s9
	s_mul_i32 s42, s49, s7
	s_ashr_i32 s31, s8, 31
	s_mov_b32 s30, s8
	v_mul_hi_u32 v2, v1, v2
	s_add_i32 s43, s9, s42
	s_mul_i32 s42, s48, s7
	s_mov_b64 s[34:35], 0
	s_ashr_i32 s11, s11, 31
	s_ashr_i32 s12, s12, 31
	v_add_u32_e32 v19, v1, v2
	s_lshl_b64 s[40:41], s[40:41], 2
	s_lshl_b64 s[42:43], s[42:43], 2
	;; [unrolled: 1-line block ×5, first 2 shown]
	s_branch .LBB36_3
.LBB36_2:                               ;   in Loop: Header=BB36_3 Depth=1
	v_add_u32_e32 v0, s61, v0
	v_cmp_le_i32_e32 vcc, s33, v0
	v_cvt_f32_f64_e32 v1, v[6:7]
	s_or_b64 s[34:35], vcc, s[34:35]
	global_store_dword v[2:3], v1, off
	s_andn2_b64 exec, exec, s[34:35]
	s_cbranch_execz .LBB36_28
.LBB36_3:                               ; =>This Loop Header: Depth=1
                                        ;     Child Loop BB36_8 Depth 2
                                        ;       Child Loop BB36_17 Depth 3
                                        ;         Child Loop BB36_24 Depth 4
	v_sub_u32_e32 v2, 0, v0
	v_max_i32_e32 v2, v0, v2
	v_mul_hi_u32 v3, v2, v5
	v_mul_lo_u32 v4, v3, s59
	v_sub_u32_e32 v2, v2, v4
	v_add_u32_e32 v4, 1, v3
	v_cmp_le_u32_e32 vcc, s59, v2
	v_ashrrev_i32_e32 v1, 31, v0
	v_xor_b32_e32 v1, s56, v1
	v_cndmask_b32_e32 v3, v3, v4, vcc
	v_subrev_u32_e32 v4, s59, v2
	v_cndmask_b32_e32 v2, v2, v4, vcc
	v_add_u32_e32 v4, 1, v3
	v_cmp_le_u32_e32 vcc, s59, v2
	s_nop 1
	v_cndmask_b32_e32 v2, v3, v4, vcc
	v_xor_b32_e32 v2, v2, v1
	v_sub_u32_e32 v20, v2, v1
	v_mul_lo_u32 v1, v20, s6
	v_sub_u32_e32 v10, v0, v1
	v_sub_u32_e32 v2, 0, v10
	v_max_i32_e32 v2, v10, v2
	v_mul_hi_u32 v3, v2, v18
	v_mul_lo_u32 v4, v3, s60
	v_sub_u32_e32 v2, v2, v4
	v_add_u32_e32 v4, 1, v3
	v_cmp_le_u32_e32 vcc, s60, v2
	v_ashrrev_i32_e32 v11, 31, v10
	v_xor_b32_e32 v1, s31, v11
	v_cndmask_b32_e32 v3, v3, v4, vcc
	v_subrev_u32_e32 v4, s60, v2
	v_cndmask_b32_e32 v2, v2, v4, vcc
	v_add_u32_e32 v4, 1, v3
	v_cmp_le_u32_e32 vcc, s60, v2
	s_nop 1
	v_cndmask_b32_e32 v2, v3, v4, vcc
	v_xor_b32_e32 v2, v2, v1
	v_sub_u32_e32 v4, v2, v1
	v_mul_lo_u32 v12, v4, s8
	v_sub_u32_e32 v2, v10, v12
	s_andn2_b64 vcc, exec, s[4:5]
	v_ashrrev_i32_e32 v1, 31, v4
	v_ashrrev_i32_e32 v3, 31, v2
	s_cbranch_vccnz .LBB36_5
; %bb.4:                                ;   in Loop: Header=BB36_3 Depth=1
	s_mov_b64 s[52:53], 0
	v_mov_b64_e32 v[6:7], s[52:53]
	s_cbranch_execz .LBB36_6
	s_branch .LBB36_26
.LBB36_5:                               ;   in Loop: Header=BB36_3 Depth=1
                                        ; implicit-def: $sgpr52_sgpr53
	v_mov_b64_e32 v[6:7], s[52:53]
.LBB36_6:                               ;   in Loop: Header=BB36_3 Depth=1
	v_mov_b64_e32 v[6:7], s[38:39]
	v_mad_u64_u32 v[8:9], s[50:51], s0, v4, v[6:7]
	v_mul_lo_u32 v6, s1, v4
	v_mul_lo_u32 v7, s0, v1
	v_add3_u32 v9, v6, v9, v7
	v_lshlrev_b64 v[6:7], 2, v[10:11]
	v_mul_lo_u32 v10, s43, v4
	v_mul_lo_u32 v11, s42, v1
	v_mad_u64_u32 v[6:7], s[50:51], s42, v4, v[6:7]
	v_ashrrev_i32_e32 v13, 31, v12
	v_add3_u32 v7, v10, v7, v11
	v_lshlrev_b64 v[10:11], 2, v[12:13]
	v_sub_co_u32_e32 v6, vcc, v6, v10
	v_add_u32_e32 v21, s16, v20
	s_nop 0
	v_subb_co_u32_e32 v7, vcc, v7, v11, vcc
	v_lshl_add_u64 v[10:11], s[22:23], 0, v[6:7]
	s_mov_b32 s9, 0
	v_mov_b64_e32 v[6:7], 0
	s_branch .LBB36_8
.LBB36_7:                               ;   in Loop: Header=BB36_8 Depth=2
	s_add_i32 s9, s9, 1
	s_cmp_eq_u32 s9, s17
	v_lshl_add_u64 v[10:11], v[10:11], 0, s[44:45]
	s_cbranch_scc1 .LBB36_26
.LBB36_8:                               ;   Parent Loop BB36_3 Depth=1
                                        ; =>  This Loop Header: Depth=2
                                        ;       Child Loop BB36_17 Depth 3
                                        ;         Child Loop BB36_24 Depth 4
	s_mul_i32 s50, s9, s13
	s_sub_i32 s68, s15, s50
	s_cmp_gt_i32 s68, -1
	s_cbranch_scc0 .LBB36_10
; %bb.9:                                ;   in Loop: Header=BB36_8 Depth=2
	s_abs_i32 s50, s68
	s_mul_hi_u32 s55, s50, s64
	s_mul_i32 s51, s55, s62
	s_sub_i32 s65, s50, s51
	s_ashr_i32 s54, s68, 31
	s_sub_i32 s66, s65, s62
	s_cmp_ge_u32 s65, s62
	s_cselect_b32 s50, s66, s65
	s_sub_i32 s51, s50, s62
	s_cmp_ge_u32 s50, s62
	s_cselect_b32 s50, s51, s50
	s_xor_b32 s50, s50, s54
	s_sub_i32 s50, s50, s54
	s_cmp_lg_u32 s50, 0
	s_mov_b32 s67, 1
	s_cselect_b64 s[50:51], -1, 0
	s_cbranch_execz .LBB36_11
	s_branch .LBB36_12
.LBB36_10:                              ;   in Loop: Header=BB36_8 Depth=2
	s_mov_b64 s[50:51], 0
                                        ; implicit-def: $sgpr67
                                        ; implicit-def: $sgpr54
                                        ; implicit-def: $sgpr55
                                        ; implicit-def: $sgpr65
                                        ; implicit-def: $sgpr66
.LBB36_11:                              ;   in Loop: Header=BB36_8 Depth=2
	s_abs_i32 s50, s68
	s_mul_hi_u32 s55, s50, s64
	s_mul_i32 s51, s55, s62
	s_sub_i32 s65, s50, s51
	s_ashr_i32 s54, s68, 31
	s_sub_i32 s66, s65, s62
	s_mov_b64 s[50:51], -1
                                        ; implicit-def: $sgpr67
.LBB36_12:                              ;   in Loop: Header=BB36_8 Depth=2
	s_andn2_b64 vcc, exec, s[50:51]
	s_cbranch_vccz .LBB36_14
; %bb.13:                               ;   in Loop: Header=BB36_8 Depth=2
	s_andn2_b64 vcc, exec, s[20:21]
	s_cbranch_vccz .LBB36_15
	s_branch .LBB36_7
.LBB36_14:                              ;   in Loop: Header=BB36_8 Depth=2
	s_mov_b32 s67, 0
	s_andn2_b64 vcc, exec, s[20:21]
	s_cbranch_vccnz .LBB36_7
.LBB36_15:                              ;   in Loop: Header=BB36_8 Depth=2
	s_xor_b32 s50, s54, s11
	s_add_i32 s51, s55, 1
	s_cmp_ge_u32 s65, s62
	s_cselect_b32 s51, s51, s55
	s_cselect_b32 s52, s66, s65
	s_add_i32 s53, s51, 1
	s_cmp_ge_u32 s52, s62
	s_cselect_b32 s51, s53, s51
	s_xor_b32 s51, s51, s50
	s_sub_i32 s50, s51, s50
	s_cmp_lt_i32 s50, s57
	s_mov_b32 s65, 0
	s_cselect_b32 s66, s67, 0
	s_mul_hi_i32 s51, s50, s10
	s_mul_i32 s50, s50, s10
	v_mov_b64_e32 v[12:13], v[10:11]
	s_branch .LBB36_17
.LBB36_16:                              ;   in Loop: Header=BB36_17 Depth=3
	s_add_i32 s65, s65, 1
	s_cmp_eq_u32 s65, s18
	v_lshl_add_u64 v[12:13], v[12:13], 0, s[46:47]
	s_cbranch_scc1 .LBB36_7
.LBB36_17:                              ;   Parent Loop BB36_3 Depth=1
                                        ;     Parent Loop BB36_8 Depth=2
                                        ; =>    This Loop Header: Depth=3
                                        ;         Child Loop BB36_24 Depth 4
	s_mul_i32 s52, s65, s14
	v_subrev_u32_e32 v14, s52, v21
	v_sub_u32_e32 v16, 0, v14
	v_cmp_gt_i32_e64 s[52:53], 0, v14
	v_cmp_lt_i32_e32 vcc, -1, v14
	v_ashrrev_i32_e32 v15, 31, v14
	v_max_i32_e32 v14, v14, v16
                                        ; implicit-def: $sgpr67
	s_and_saveexec_b64 s[54:55], vcc
	s_cbranch_execnz .LBB36_20
; %bb.18:                               ;   in Loop: Header=BB36_17 Depth=3
	s_or_b64 exec, exec, s[54:55]
	v_mov_b32_e32 v16, s67
	s_and_saveexec_b64 s[54:55], s[52:53]
	s_cbranch_execnz .LBB36_21
.LBB36_19:                              ;   in Loop: Header=BB36_17 Depth=3
	s_or_b64 exec, exec, s[54:55]
	s_andn2_b64 vcc, exec, s[28:29]
	s_cbranch_vccz .LBB36_22
	s_branch .LBB36_16
.LBB36_20:                              ;   in Loop: Header=BB36_17 Depth=3
	v_mul_hi_u32 v16, v14, v19
	v_mul_lo_u32 v16, v16, s63
	v_sub_u32_e32 v16, v14, v16
	v_subrev_u32_e32 v17, s63, v16
	v_cmp_le_u32_e32 vcc, s63, v16
	s_andn2_b64 s[52:53], s[52:53], exec
	s_mov_b32 s67, 1
	v_cndmask_b32_e32 v16, v16, v17, vcc
	v_subrev_u32_e32 v17, s63, v16
	v_cmp_le_u32_e32 vcc, s63, v16
	s_nop 1
	v_cndmask_b32_e32 v16, v16, v17, vcc
	v_xor_b32_e32 v16, v16, v15
	v_sub_u32_e32 v16, v16, v15
	v_cmp_ne_u32_e32 vcc, 0, v16
	s_and_b64 s[68:69], vcc, exec
	s_or_b64 s[52:53], s[52:53], s[68:69]
	s_or_b64 exec, exec, s[54:55]
	v_mov_b32_e32 v16, s67
	s_and_saveexec_b64 s[54:55], s[52:53]
	s_cbranch_execz .LBB36_19
.LBB36_21:                              ;   in Loop: Header=BB36_17 Depth=3
	v_mov_b32_e32 v16, 0
	s_or_b64 exec, exec, s[54:55]
	s_andn2_b64 vcc, exec, s[28:29]
	s_cbranch_vccnz .LBB36_16
.LBB36_22:                              ;   in Loop: Header=BB36_17 Depth=3
	v_mul_hi_u32 v17, v14, v19
	v_mul_lo_u32 v22, v17, s63
	v_sub_u32_e32 v14, v14, v22
	v_add_u32_e32 v22, 1, v17
	v_cmp_le_u32_e32 vcc, s63, v14
	v_xor_b32_e32 v15, s12, v15
	s_mov_b32 s54, s7
	v_cndmask_b32_e32 v17, v17, v22, vcc
	v_subrev_u32_e32 v22, s63, v14
	v_cndmask_b32_e32 v14, v14, v22, vcc
	v_add_u32_e32 v22, 1, v17
	v_cmp_le_u32_e32 vcc, s63, v14
	s_nop 1
	v_cndmask_b32_e32 v14, v17, v22, vcc
	v_xor_b32_e32 v14, v14, v15
	v_sub_u32_e32 v14, v14, v15
	v_cmp_gt_i32_e32 vcc, s10, v14
	s_nop 1
	v_cndmask_b32_e32 v15, 0, v16, vcc
	v_and_b32_e32 v15, s66, v15
	v_cmp_ne_u32_e32 vcc, 0, v15
	v_ashrrev_i32_e32 v15, 31, v14
	v_lshl_add_u64 v[14:15], s[50:51], 0, v[14:15]
	v_lshl_add_u64 v[14:15], v[14:15], 2, s[40:41]
	v_mul_lo_u32 v16, s19, v15
	v_mul_lo_u32 v17, s58, v14
	v_mad_u64_u32 v[14:15], s[52:53], s19, v14, v[8:9]
	v_add3_u32 v15, v17, v15, v16
	v_mov_b64_e32 v[16:17], v[12:13]
	s_branch .LBB36_24
.LBB36_23:                              ;   in Loop: Header=BB36_24 Depth=4
	s_or_b64 exec, exec, s[52:53]
	s_add_i32 s54, s54, -1
	v_lshl_add_u64 v[14:15], v[14:15], 0, 4
	s_cmp_eq_u32 s54, 0
	v_lshl_add_u64 v[16:17], v[16:17], 0, s[48:49]
	s_cbranch_scc1 .LBB36_16
.LBB36_24:                              ;   Parent Loop BB36_3 Depth=1
                                        ;     Parent Loop BB36_8 Depth=2
                                        ;       Parent Loop BB36_17 Depth=3
                                        ; =>      This Inner Loop Header: Depth=4
	s_and_saveexec_b64 s[52:53], vcc
	s_cbranch_execz .LBB36_23
; %bb.25:                               ;   in Loop: Header=BB36_24 Depth=4
	global_load_dword v22, v[14:15], off
	global_load_dword v24, v[16:17], off
	s_waitcnt vmcnt(1)
	v_cvt_f64_f32_e32 v[22:23], v22
	s_waitcnt vmcnt(0)
	v_cvt_f64_f32_e32 v[24:25], v24
	v_fmac_f64_e32 v[6:7], v[22:23], v[24:25]
	s_branch .LBB36_23
.LBB36_26:                              ;   in Loop: Header=BB36_3 Depth=1
	v_mad_i64_i32 v[8:9], s[50:51], v20, s6, 0
	v_mul_lo_u32 v1, v1, s30
	v_mul_lo_u32 v12, v4, s31
	v_mad_u64_u32 v[10:11], s[50:51], v4, s30, 0
	v_add3_u32 v11, v11, v12, v1
	v_lshl_add_u64 v[8:9], v[8:9], 2, s[2:3]
	v_lshl_add_u64 v[8:9], v[10:11], 2, v[8:9]
	s_andn2_b64 vcc, exec, s[36:37]
	v_lshl_add_u64 v[2:3], v[2:3], 2, v[8:9]
	s_cbranch_vccnz .LBB36_2
; %bb.27:                               ;   in Loop: Header=BB36_3 Depth=1
	global_load_dword v1, v[2:3], off
	s_waitcnt vmcnt(0)
	v_cvt_f64_f32_e32 v[8:9], v1
	v_mul_f64 v[8:9], v[8:9], s[26:27]
	v_fmac_f64_e32 v[8:9], s[24:25], v[6:7]
	v_mov_b64_e32 v[6:7], v[8:9]
	s_branch .LBB36_2
.LBB36_28:
	s_endpgm
	.section	.rodata,"a",@progbits
	.p2align	6, 0x0
	.amdhsa_kernel naive_conv_ab_packed_bwd_nhwc_float_double_float_0
		.amdhsa_group_segment_fixed_size 0
		.amdhsa_private_segment_fixed_size 0
		.amdhsa_kernarg_size 480
		.amdhsa_user_sgpr_count 2
		.amdhsa_user_sgpr_dispatch_ptr 0
		.amdhsa_user_sgpr_queue_ptr 0
		.amdhsa_user_sgpr_kernarg_segment_ptr 1
		.amdhsa_user_sgpr_dispatch_id 0
		.amdhsa_user_sgpr_kernarg_preload_length 0
		.amdhsa_user_sgpr_kernarg_preload_offset 0
		.amdhsa_user_sgpr_private_segment_size 0
		.amdhsa_uses_dynamic_stack 0
		.amdhsa_enable_private_segment 0
		.amdhsa_system_sgpr_workgroup_id_x 1
		.amdhsa_system_sgpr_workgroup_id_y 0
		.amdhsa_system_sgpr_workgroup_id_z 0
		.amdhsa_system_sgpr_workgroup_info 0
		.amdhsa_system_vgpr_workitem_id 0
		.amdhsa_next_free_vgpr 26
		.amdhsa_next_free_sgpr 70
		.amdhsa_accum_offset 28
		.amdhsa_reserve_vcc 1
		.amdhsa_float_round_mode_32 0
		.amdhsa_float_round_mode_16_64 0
		.amdhsa_float_denorm_mode_32 3
		.amdhsa_float_denorm_mode_16_64 3
		.amdhsa_dx10_clamp 1
		.amdhsa_ieee_mode 1
		.amdhsa_fp16_overflow 0
		.amdhsa_tg_split 0
		.amdhsa_exception_fp_ieee_invalid_op 0
		.amdhsa_exception_fp_denorm_src 0
		.amdhsa_exception_fp_ieee_div_zero 0
		.amdhsa_exception_fp_ieee_overflow 0
		.amdhsa_exception_fp_ieee_underflow 0
		.amdhsa_exception_fp_ieee_inexact 0
		.amdhsa_exception_int_div_zero 0
	.end_amdhsa_kernel
	.text
.Lfunc_end36:
	.size	naive_conv_ab_packed_bwd_nhwc_float_double_float_0, .Lfunc_end36-naive_conv_ab_packed_bwd_nhwc_float_double_float_0
                                        ; -- End function
	.section	.AMDGPU.csdata,"",@progbits
; Kernel info:
; codeLenInByte = 1928
; NumSgprs: 76
; NumVgprs: 26
; NumAgprs: 0
; TotalNumVgprs: 26
; ScratchSize: 0
; MemoryBound: 0
; FloatMode: 240
; IeeeMode: 1
; LDSByteSize: 0 bytes/workgroup (compile time only)
; SGPRBlocks: 9
; VGPRBlocks: 3
; NumSGPRsForWavesPerEU: 76
; NumVGPRsForWavesPerEU: 26
; AccumOffset: 28
; Occupancy: 8
; WaveLimiterHint : 0
; COMPUTE_PGM_RSRC2:SCRATCH_EN: 0
; COMPUTE_PGM_RSRC2:USER_SGPR: 2
; COMPUTE_PGM_RSRC2:TRAP_HANDLER: 0
; COMPUTE_PGM_RSRC2:TGID_X_EN: 1
; COMPUTE_PGM_RSRC2:TGID_Y_EN: 0
; COMPUTE_PGM_RSRC2:TGID_Z_EN: 0
; COMPUTE_PGM_RSRC2:TIDIG_COMP_CNT: 0
; COMPUTE_PGM_RSRC3_GFX90A:ACCUM_OFFSET: 6
; COMPUTE_PGM_RSRC3_GFX90A:TG_SPLIT: 0
	.text
	.protected	naive_conv_ab_nonpacked_bwd_nhwc_float_double_float_0 ; -- Begin function naive_conv_ab_nonpacked_bwd_nhwc_float_double_float_0
	.globl	naive_conv_ab_nonpacked_bwd_nhwc_float_double_float_0
	.p2align	8
	.type	naive_conv_ab_nonpacked_bwd_nhwc_float_double_float_0,@function
naive_conv_ab_nonpacked_bwd_nhwc_float_double_float_0: ; @naive_conv_ab_nonpacked_bwd_nhwc_float_double_float_0
; %bb.0:
	s_load_dwordx16 s[4:19], s[0:1], 0xa0
	s_abs_i32 s20, s2
	s_waitcnt lgkmcnt(0)
	s_abs_i32 s3, s4
	v_cvt_f32_u32_e32 v1, s3
	s_sub_i32 s21, 0, s3
	v_rcp_iflag_f32_e32 v1, v1
	s_nop 0
	v_mul_f32_e32 v1, 0x4f7ffffe, v1
	v_cvt_u32_f32_e32 v1, v1
	s_nop 0
	v_readfirstlane_b32 s22, v1
	s_mul_i32 s21, s21, s22
	s_mul_hi_u32 s21, s22, s21
	s_add_i32 s22, s22, s21
	s_mul_hi_u32 s21, s20, s22
	s_mul_i32 s22, s21, s3
	s_sub_i32 s20, s20, s22
	s_add_i32 s23, s21, 1
	s_sub_i32 s22, s20, s3
	s_cmp_ge_u32 s20, s3
	s_cselect_b32 s21, s23, s21
	s_cselect_b32 s20, s22, s20
	s_add_i32 s22, s21, 1
	s_cmp_ge_u32 s20, s3
	s_cselect_b32 s28, s22, s21
	s_abs_i32 s3, s6
	v_cvt_f32_u32_e32 v1, s3
	s_mul_i32 s6, s19, s8
	s_mul_i32 s19, s6, s5
	v_cmp_gt_i32_e32 vcc, s19, v0
	v_rcp_iflag_f32_e32 v1, v1
	s_nop 0
	v_mul_f32_e32 v1, 0x4f7ffffe, v1
	v_cvt_u32_f32_e32 v1, v1
	s_nop 0
	v_readfirstlane_b32 s5, v1
	s_and_saveexec_b64 s[20:21], vcc
	s_cbranch_execz .LBB37_28
; %bb.1:
	s_xor_b32 s29, s2, s4
	s_ashr_i32 s29, s29, 31
	s_xor_b32 s28, s28, s29
	s_sub_i32 s33, s28, s29
	s_sub_i32 s28, 0, s3
	s_mul_i32 s28, s28, s5
	s_mul_hi_u32 s28, s5, s28
	s_abs_i32 s35, s33
	s_add_i32 s5, s5, s28
	s_mul_hi_u32 s5, s35, s5
	s_ashr_i32 s34, s33, 31
	s_mul_i32 s33, s33, s4
	s_mul_i32 s5, s5, s3
	s_sub_i32 s33, s2, s33
	s_sub_i32 s2, s35, s5
	;; [unrolled: 1-line block ×3, first 2 shown]
	s_cmp_ge_u32 s2, s3
	s_cselect_b32 s2, s4, s2
	s_sub_i32 s4, s2, s3
	s_cmp_ge_u32 s2, s3
	s_cselect_b32 s2, s4, s2
	s_load_dwordx8 s[20:27], s[0:1], 0x0
	s_load_dwordx2 s[52:53], s[0:1], 0x20
	s_load_dwordx16 s[36:51], s[0:1], 0x28
	s_load_dwordx2 s[54:55], s[0:1], 0x98
	s_load_dwordx4 s[28:31], s[0:1], 0x88
	s_xor_b32 s2, s2, s34
	s_sub_i32 s56, s2, s34
	s_ashr_i32 s57, s56, 31
	s_waitcnt lgkmcnt(0)
	s_mul_i32 s2, s44, s57
	s_mul_hi_u32 s3, s44, s56
	s_ashr_i32 s4, s33, 31
	s_add_i32 s2, s3, s2
	s_mul_i32 s3, s45, s56
	s_mul_i32 s4, s42, s4
	s_mul_hi_u32 s5, s42, s33
	s_add_i32 s3, s2, s3
	s_mul_i32 s2, s44, s56
	s_add_i32 s4, s5, s4
	s_mul_i32 s5, s43, s33
	s_add_i32 s5, s4, s5
	s_lshl_b64 s[2:3], s[2:3], 2
	s_mul_i32 s4, s42, s33
	s_add_u32 s20, s20, s2
	s_addc_u32 s21, s21, s3
	s_lshl_b64 s[2:3], s[4:5], 2
	s_add_u32 s2, s20, s2
	s_addc_u32 s3, s21, s3
	s_cmp_lt_i32 s17, 1
	s_cselect_b64 s[4:5], -1, 0
	s_add_i32 s15, s33, s15
	s_cmp_gt_i32 s18, 0
	s_cselect_b64 s[20:21], -1, 0
	s_cmp_gt_i32 s7, 0
	s_cselect_b64 s[34:35], -1, 0
	s_abs_i32 s33, s11
	v_cvt_f32_u32_e32 v1, s33
	v_cmp_neq_f64_e64 s[42:43], s[24:25], 1.0
	v_cmp_neq_f64_e64 s[44:45], s[26:27], 0
	s_abs_i32 s66, s6
	v_rcp_iflag_f32_e32 v1, v1
	s_or_b64 s[42:43], s[42:43], s[44:45]
	s_abs_i32 s68, s8
	s_ashr_i32 s70, s12, 31
	v_mul_f32_e32 v1, 0x4f7ffffe, v1
	v_cvt_u32_f32_e32 v1, v1
	s_abs_i32 s12, s12
	v_cvt_f32_u32_e32 v3, s68
	v_cvt_f32_u32_e32 v5, s12
	v_readfirstlane_b32 s45, v1
	v_cvt_f32_u32_e32 v1, s66
	s_load_dword s58, s[0:1], 0xec
	v_rcp_iflag_f32_e32 v3, v3
	s_sub_i32 s44, 0, s33
	v_rcp_iflag_f32_e32 v1, v1
	v_rcp_iflag_f32_e32 v5, v5
	s_mul_i32 s44, s44, s45
	s_mul_hi_u32 s44, s45, s44
	v_mul_f32_e32 v1, 0x4f7ffffe, v1
	s_add_i32 s69, s45, s44
	s_mul_i32 s44, s54, s57
	s_mul_hi_u32 s45, s54, s56
	v_cvt_u32_f32_e32 v1, v1
	v_mul_f32_e32 v3, 0x4f7ffffe, v3
	s_waitcnt lgkmcnt(0)
	s_and_b32 s64, s58, 0xffff
	s_add_i32 s45, s45, s44
	s_mul_i32 s55, s55, s56
	s_mul_i32 s44, s54, s56
	s_load_dwordx8 s[56:63], s[0:1], 0x68
	v_cvt_u32_f32_e32 v3, v3
	v_mul_f32_e32 v5, 0x4f7ffffe, v5
	v_cvt_u32_f32_e32 v6, v5
	s_sub_i32 s71, 0, s66
	s_sub_i32 s72, 0, s68
	v_mul_lo_u32 v2, s71, v1
	s_add_i32 s45, s45, s55
	s_sub_i32 s73, 0, s12
	v_mul_lo_u32 v4, s72, v3
	v_mul_hi_u32 v2, v1, v2
	s_ashr_i32 s65, s6, 31
	s_ashr_i32 s67, s8, 31
	;; [unrolled: 1-line block ×3, first 2 shown]
	s_lshl_b64 s[54:55], s[44:45], 2
	s_lshl_b64 s[44:45], s[46:47], 2
	s_waitcnt lgkmcnt(0)
	s_lshl_b64 s[0:1], s[58:59], 2
	s_lshl_b64 s[46:47], s[50:51], 2
	;; [unrolled: 1-line block ×4, first 2 shown]
	v_mul_lo_u32 v7, s73, v6
	v_add_u32_e32 v5, v1, v2
	v_mul_hi_u32 v1, v3, v4
	s_add_u32 s52, s52, s54
	v_add_u32_e32 v20, v3, v1
	v_mul_hi_u32 v1, v6, v7
	s_addc_u32 s53, s53, s55
	s_lshl_b64 s[54:55], s[62:63], 2
	s_lshl_b64 s[56:57], s[60:61], 2
	;; [unrolled: 1-line block ×4, first 2 shown]
	v_add_u32_e32 v21, v6, v1
	s_mov_b64 s[58:59], 0
	s_branch .LBB37_3
.LBB37_2:                               ;   in Loop: Header=BB37_3 Depth=1
	v_add_u32_e32 v0, s64, v0
	v_cmp_le_i32_e32 vcc, s19, v0
	v_cvt_f32_f64_e32 v1, v[6:7]
	s_or_b64 s[58:59], vcc, s[58:59]
	global_store_dword v[2:3], v1, off
	s_andn2_b64 exec, exec, s[58:59]
	s_cbranch_execz .LBB37_28
.LBB37_3:                               ; =>This Loop Header: Depth=1
                                        ;     Child Loop BB37_8 Depth 2
                                        ;       Child Loop BB37_17 Depth 3
                                        ;         Child Loop BB37_24 Depth 4
	v_sub_u32_e32 v2, 0, v0
	v_max_i32_e32 v2, v0, v2
	v_mul_hi_u32 v3, v2, v5
	v_mul_lo_u32 v4, v3, s66
	v_sub_u32_e32 v2, v2, v4
	v_add_u32_e32 v4, 1, v3
	v_cmp_le_u32_e32 vcc, s66, v2
	v_ashrrev_i32_e32 v1, 31, v0
	v_xor_b32_e32 v1, s65, v1
	v_cndmask_b32_e32 v3, v3, v4, vcc
	v_subrev_u32_e32 v4, s66, v2
	v_cndmask_b32_e32 v2, v2, v4, vcc
	v_add_u32_e32 v4, 1, v3
	v_cmp_le_u32_e32 vcc, s66, v2
	s_nop 1
	v_cndmask_b32_e32 v2, v3, v4, vcc
	v_xor_b32_e32 v2, v2, v1
	v_sub_u32_e32 v22, v2, v1
	v_mul_lo_u32 v1, v22, s6
	v_sub_u32_e32 v8, v0, v1
	v_sub_u32_e32 v2, 0, v8
	v_max_i32_e32 v2, v8, v2
	v_mul_hi_u32 v3, v2, v20
	v_mul_lo_u32 v4, v3, s68
	v_sub_u32_e32 v2, v2, v4
	v_add_u32_e32 v4, 1, v3
	v_cmp_le_u32_e32 vcc, s68, v2
	v_ashrrev_i32_e32 v9, 31, v8
	v_xor_b32_e32 v1, s67, v9
	v_cndmask_b32_e32 v3, v3, v4, vcc
	v_subrev_u32_e32 v4, s68, v2
	v_cndmask_b32_e32 v2, v2, v4, vcc
	v_add_u32_e32 v4, 1, v3
	v_cmp_le_u32_e32 vcc, s68, v2
	s_nop 1
	v_cndmask_b32_e32 v2, v3, v4, vcc
	v_xor_b32_e32 v2, v2, v1
	v_sub_u32_e32 v4, v2, v1
	v_mul_lo_u32 v10, v4, s8
	v_sub_u32_e32 v2, v8, v10
	s_andn2_b64 vcc, exec, s[4:5]
	v_ashrrev_i32_e32 v3, 31, v4
	v_ashrrev_i32_e32 v1, 31, v2
	s_cbranch_vccnz .LBB37_5
; %bb.4:                                ;   in Loop: Header=BB37_3 Depth=1
	s_mov_b64 s[62:63], 0
	v_mov_b64_e32 v[6:7], s[62:63]
	s_cbranch_execz .LBB37_6
	s_branch .LBB37_26
.LBB37_5:                               ;   in Loop: Header=BB37_3 Depth=1
                                        ; implicit-def: $sgpr62_sgpr63
	v_mov_b64_e32 v[6:7], s[62:63]
.LBB37_6:                               ;   in Loop: Header=BB37_3 Depth=1
	v_ashrrev_i32_e32 v6, 31, v10
	v_sub_co_u32_e32 v8, vcc, v8, v10
	v_mul_lo_u32 v10, s1, v4
	s_nop 0
	v_subb_co_u32_e32 v9, vcc, v9, v6, vcc
	v_mul_lo_u32 v11, s0, v3
	v_mad_u64_u32 v[6:7], s[60:61], s0, v4, 0
	v_add3_u32 v7, v7, v11, v10
	v_mad_u64_u32 v[6:7], s[60:61], s44, v8, v[6:7]
	v_mul_lo_u32 v9, s44, v9
	v_mul_lo_u32 v8, s45, v8
	v_add3_u32 v7, v8, v7, v9
	v_lshl_add_u64 v[8:9], s[22:23], 0, v[6:7]
	v_mov_b64_e32 v[6:7], s[52:53]
	v_mad_u64_u32 v[10:11], s[60:61], s54, v4, v[6:7]
	v_mul_lo_u32 v6, s55, v4
	v_mul_lo_u32 v7, s54, v3
	v_add_u32_e32 v23, s16, v22
	v_add3_u32 v11, v6, v11, v7
	s_mov_b32 s71, 0
	v_mov_b64_e32 v[6:7], 0
	s_branch .LBB37_8
.LBB37_7:                               ;   in Loop: Header=BB37_8 Depth=2
	s_add_i32 s71, s71, 1
	s_cmp_eq_u32 s71, s17
	v_lshl_add_u64 v[8:9], v[8:9], 0, s[46:47]
	s_cbranch_scc1 .LBB37_26
.LBB37_8:                               ;   Parent Loop BB37_3 Depth=1
                                        ; =>  This Loop Header: Depth=2
                                        ;       Child Loop BB37_17 Depth 3
                                        ;         Child Loop BB37_24 Depth 4
	s_mul_i32 s60, s71, s13
	s_sub_i32 s77, s15, s60
	s_cmp_gt_i32 s77, -1
	s_cbranch_scc0 .LBB37_10
; %bb.9:                                ;   in Loop: Header=BB37_8 Depth=2
	s_abs_i32 s60, s77
	s_mul_hi_u32 s73, s60, s69
	s_mul_i32 s61, s73, s33
	s_sub_i32 s74, s60, s61
	s_ashr_i32 s72, s77, 31
	s_sub_i32 s75, s74, s33
	s_cmp_ge_u32 s74, s33
	s_cselect_b32 s60, s75, s74
	s_sub_i32 s61, s60, s33
	s_cmp_ge_u32 s60, s33
	s_cselect_b32 s60, s61, s60
	s_xor_b32 s60, s60, s72
	s_sub_i32 s60, s60, s72
	s_cmp_lg_u32 s60, 0
	s_mov_b32 s76, 1
	s_cselect_b64 s[60:61], -1, 0
	s_cbranch_execz .LBB37_11
	s_branch .LBB37_12
.LBB37_10:                              ;   in Loop: Header=BB37_8 Depth=2
	s_mov_b64 s[60:61], 0
                                        ; implicit-def: $sgpr76
                                        ; implicit-def: $sgpr72
                                        ; implicit-def: $sgpr73
                                        ; implicit-def: $sgpr74
                                        ; implicit-def: $sgpr75
.LBB37_11:                              ;   in Loop: Header=BB37_8 Depth=2
	s_abs_i32 s60, s77
	s_mul_hi_u32 s73, s60, s69
	s_mul_i32 s61, s73, s33
	s_sub_i32 s74, s60, s61
	s_ashr_i32 s72, s77, 31
	s_sub_i32 s75, s74, s33
	s_mov_b64 s[60:61], -1
                                        ; implicit-def: $sgpr76
.LBB37_12:                              ;   in Loop: Header=BB37_8 Depth=2
	s_andn2_b64 vcc, exec, s[60:61]
	s_cbranch_vccz .LBB37_14
; %bb.13:                               ;   in Loop: Header=BB37_8 Depth=2
	s_andn2_b64 vcc, exec, s[20:21]
	s_cbranch_vccz .LBB37_15
	s_branch .LBB37_7
.LBB37_14:                              ;   in Loop: Header=BB37_8 Depth=2
	s_mov_b32 s76, 0
	s_andn2_b64 vcc, exec, s[20:21]
	s_cbranch_vccnz .LBB37_7
.LBB37_15:                              ;   in Loop: Header=BB37_8 Depth=2
	s_xor_b32 s60, s72, s11
	s_add_i32 s61, s73, 1
	s_cmp_ge_u32 s74, s33
	s_cselect_b32 s61, s61, s73
	s_cselect_b32 s62, s75, s74
	s_add_i32 s63, s61, 1
	s_cmp_ge_u32 s62, s33
	s_cselect_b32 s61, s63, s61
	s_xor_b32 s61, s61, s60
	s_sub_i32 s60, s61, s60
	s_cmp_lt_i32 s60, s9
	s_cselect_b32 s73, s76, 0
	s_ashr_i32 s61, s60, 31
	s_mul_i32 s61, s30, s61
	s_mul_i32 s62, s31, s60
	v_mov_b32_e32 v12, s60
	s_add_i32 s62, s61, s62
	v_mad_u64_u32 v[12:13], s[60:61], s30, v12, v[10:11]
	s_mov_b32 s72, 0
	v_add_u32_e32 v13, s62, v13
	v_mov_b64_e32 v[14:15], v[8:9]
	s_branch .LBB37_17
.LBB37_16:                              ;   in Loop: Header=BB37_17 Depth=3
	s_add_i32 s72, s72, 1
	s_cmp_eq_u32 s72, s18
	v_lshl_add_u64 v[14:15], v[14:15], 0, s[48:49]
	s_cbranch_scc1 .LBB37_7
.LBB37_17:                              ;   Parent Loop BB37_3 Depth=1
                                        ;     Parent Loop BB37_8 Depth=2
                                        ; =>    This Loop Header: Depth=3
                                        ;         Child Loop BB37_24 Depth 4
	s_mul_i32 s60, s72, s14
	v_subrev_u32_e32 v16, s60, v23
	v_sub_u32_e32 v18, 0, v16
	v_cmp_gt_i32_e64 s[60:61], 0, v16
	v_cmp_lt_i32_e32 vcc, -1, v16
	v_ashrrev_i32_e32 v17, 31, v16
	v_max_i32_e32 v16, v16, v18
                                        ; implicit-def: $sgpr74
	s_and_saveexec_b64 s[62:63], vcc
	s_cbranch_execnz .LBB37_20
; %bb.18:                               ;   in Loop: Header=BB37_17 Depth=3
	s_or_b64 exec, exec, s[62:63]
	v_mov_b32_e32 v18, s74
	s_and_saveexec_b64 s[62:63], s[60:61]
	s_cbranch_execnz .LBB37_21
.LBB37_19:                              ;   in Loop: Header=BB37_17 Depth=3
	s_or_b64 exec, exec, s[62:63]
	s_andn2_b64 vcc, exec, s[34:35]
	s_cbranch_vccz .LBB37_22
	s_branch .LBB37_16
.LBB37_20:                              ;   in Loop: Header=BB37_17 Depth=3
	v_mul_hi_u32 v18, v16, v21
	v_mul_lo_u32 v18, v18, s12
	v_sub_u32_e32 v18, v16, v18
	v_subrev_u32_e32 v19, s12, v18
	v_cmp_le_u32_e32 vcc, s12, v18
	s_andn2_b64 s[60:61], s[60:61], exec
	s_mov_b32 s74, 1
	v_cndmask_b32_e32 v18, v18, v19, vcc
	v_subrev_u32_e32 v19, s12, v18
	v_cmp_le_u32_e32 vcc, s12, v18
	s_nop 1
	v_cndmask_b32_e32 v18, v18, v19, vcc
	v_xor_b32_e32 v18, v18, v17
	v_sub_u32_e32 v18, v18, v17
	v_cmp_ne_u32_e32 vcc, 0, v18
	s_and_b64 s[76:77], vcc, exec
	s_or_b64 s[60:61], s[60:61], s[76:77]
	s_or_b64 exec, exec, s[62:63]
	v_mov_b32_e32 v18, s74
	s_and_saveexec_b64 s[62:63], s[60:61]
	s_cbranch_execz .LBB37_19
.LBB37_21:                              ;   in Loop: Header=BB37_17 Depth=3
	v_mov_b32_e32 v18, 0
	s_or_b64 exec, exec, s[62:63]
	s_andn2_b64 vcc, exec, s[34:35]
	s_cbranch_vccnz .LBB37_16
.LBB37_22:                              ;   in Loop: Header=BB37_17 Depth=3
	v_mul_hi_u32 v19, v16, v21
	v_mul_lo_u32 v24, v19, s12
	v_sub_u32_e32 v16, v16, v24
	v_add_u32_e32 v24, 1, v19
	v_cmp_le_u32_e32 vcc, s12, v16
	v_xor_b32_e32 v17, s70, v17
	s_mov_b32 s62, s7
	v_cndmask_b32_e32 v19, v19, v24, vcc
	v_subrev_u32_e32 v24, s12, v16
	v_cndmask_b32_e32 v16, v16, v24, vcc
	v_add_u32_e32 v24, 1, v19
	v_cmp_le_u32_e32 vcc, s12, v16
	s_nop 1
	v_cndmask_b32_e32 v16, v19, v24, vcc
	v_xor_b32_e32 v16, v16, v17
	v_sub_u32_e32 v16, v16, v17
	v_cmp_gt_i32_e32 vcc, s10, v16
	v_mul_lo_u32 v19, s29, v16
	s_nop 0
	v_cndmask_b32_e32 v17, 0, v18, vcc
	v_and_b32_e32 v17, s73, v17
	v_cmp_ne_u32_e32 vcc, 0, v17
	v_ashrrev_i32_e32 v17, 31, v16
	v_mul_lo_u32 v18, s28, v17
	v_mad_u64_u32 v[16:17], s[60:61], s28, v16, v[12:13]
	v_add3_u32 v17, v19, v17, v18
	v_mov_b64_e32 v[18:19], v[14:15]
	s_branch .LBB37_24
.LBB37_23:                              ;   in Loop: Header=BB37_24 Depth=4
	s_or_b64 exec, exec, s[60:61]
	s_add_i32 s62, s62, -1
	v_lshl_add_u64 v[18:19], v[18:19], 0, s[50:51]
	s_cmp_eq_u32 s62, 0
	v_lshl_add_u64 v[16:17], v[16:17], 0, s[56:57]
	s_cbranch_scc1 .LBB37_16
.LBB37_24:                              ;   Parent Loop BB37_3 Depth=1
                                        ;     Parent Loop BB37_8 Depth=2
                                        ;       Parent Loop BB37_17 Depth=3
                                        ; =>      This Inner Loop Header: Depth=4
	s_and_saveexec_b64 s[60:61], vcc
	s_cbranch_execz .LBB37_23
; %bb.25:                               ;   in Loop: Header=BB37_24 Depth=4
	global_load_dword v24, v[16:17], off
	global_load_dword v26, v[18:19], off
	s_waitcnt vmcnt(1)
	v_cvt_f64_f32_e32 v[24:25], v24
	s_waitcnt vmcnt(0)
	v_cvt_f64_f32_e32 v[26:27], v26
	v_fmac_f64_e32 v[6:7], v[24:25], v[26:27]
	s_branch .LBB37_23
.LBB37_26:                              ;   in Loop: Header=BB37_3 Depth=1
	v_ashrrev_i32_e32 v8, 31, v22
	v_mul_lo_u32 v10, s41, v22
	v_mul_lo_u32 v11, s40, v8
	v_mad_u64_u32 v[8:9], s[60:61], s40, v22, 0
	v_add3_u32 v9, v9, v11, v10
	v_mul_lo_u32 v3, v3, s38
	v_mul_lo_u32 v12, v4, s39
	v_mad_u64_u32 v[10:11], s[60:61], v4, s38, 0
	v_add3_u32 v11, v11, v12, v3
	v_mul_lo_u32 v1, v1, s36
	v_mul_lo_u32 v4, v2, s37
	v_mad_u64_u32 v[2:3], s[60:61], v2, s36, 0
	v_lshl_add_u64 v[8:9], v[8:9], 2, s[2:3]
	v_add3_u32 v3, v3, v4, v1
	v_lshl_add_u64 v[8:9], v[10:11], 2, v[8:9]
	s_andn2_b64 vcc, exec, s[42:43]
	v_lshl_add_u64 v[2:3], v[2:3], 2, v[8:9]
	s_cbranch_vccnz .LBB37_2
; %bb.27:                               ;   in Loop: Header=BB37_3 Depth=1
	global_load_dword v1, v[2:3], off
	s_waitcnt vmcnt(0)
	v_cvt_f64_f32_e32 v[8:9], v1
	v_mul_f64 v[8:9], v[8:9], s[26:27]
	v_fmac_f64_e32 v[8:9], s[24:25], v[6:7]
	v_mov_b64_e32 v[6:7], v[8:9]
	s_branch .LBB37_2
.LBB37_28:
	s_endpgm
	.section	.rodata,"a",@progbits
	.p2align	6, 0x0
	.amdhsa_kernel naive_conv_ab_nonpacked_bwd_nhwc_float_double_float_0
		.amdhsa_group_segment_fixed_size 0
		.amdhsa_private_segment_fixed_size 0
		.amdhsa_kernarg_size 480
		.amdhsa_user_sgpr_count 2
		.amdhsa_user_sgpr_dispatch_ptr 0
		.amdhsa_user_sgpr_queue_ptr 0
		.amdhsa_user_sgpr_kernarg_segment_ptr 1
		.amdhsa_user_sgpr_dispatch_id 0
		.amdhsa_user_sgpr_kernarg_preload_length 0
		.amdhsa_user_sgpr_kernarg_preload_offset 0
		.amdhsa_user_sgpr_private_segment_size 0
		.amdhsa_uses_dynamic_stack 0
		.amdhsa_enable_private_segment 0
		.amdhsa_system_sgpr_workgroup_id_x 1
		.amdhsa_system_sgpr_workgroup_id_y 0
		.amdhsa_system_sgpr_workgroup_id_z 0
		.amdhsa_system_sgpr_workgroup_info 0
		.amdhsa_system_vgpr_workitem_id 0
		.amdhsa_next_free_vgpr 28
		.amdhsa_next_free_sgpr 78
		.amdhsa_accum_offset 28
		.amdhsa_reserve_vcc 1
		.amdhsa_float_round_mode_32 0
		.amdhsa_float_round_mode_16_64 0
		.amdhsa_float_denorm_mode_32 3
		.amdhsa_float_denorm_mode_16_64 3
		.amdhsa_dx10_clamp 1
		.amdhsa_ieee_mode 1
		.amdhsa_fp16_overflow 0
		.amdhsa_tg_split 0
		.amdhsa_exception_fp_ieee_invalid_op 0
		.amdhsa_exception_fp_denorm_src 0
		.amdhsa_exception_fp_ieee_div_zero 0
		.amdhsa_exception_fp_ieee_overflow 0
		.amdhsa_exception_fp_ieee_underflow 0
		.amdhsa_exception_fp_ieee_inexact 0
		.amdhsa_exception_int_div_zero 0
	.end_amdhsa_kernel
	.text
.Lfunc_end37:
	.size	naive_conv_ab_nonpacked_bwd_nhwc_float_double_float_0, .Lfunc_end37-naive_conv_ab_nonpacked_bwd_nhwc_float_double_float_0
                                        ; -- End function
	.section	.AMDGPU.csdata,"",@progbits
; Kernel info:
; codeLenInByte = 1992
; NumSgprs: 84
; NumVgprs: 28
; NumAgprs: 0
; TotalNumVgprs: 28
; ScratchSize: 0
; MemoryBound: 0
; FloatMode: 240
; IeeeMode: 1
; LDSByteSize: 0 bytes/workgroup (compile time only)
; SGPRBlocks: 10
; VGPRBlocks: 3
; NumSGPRsForWavesPerEU: 84
; NumVGPRsForWavesPerEU: 28
; AccumOffset: 28
; Occupancy: 8
; WaveLimiterHint : 0
; COMPUTE_PGM_RSRC2:SCRATCH_EN: 0
; COMPUTE_PGM_RSRC2:USER_SGPR: 2
; COMPUTE_PGM_RSRC2:TRAP_HANDLER: 0
; COMPUTE_PGM_RSRC2:TGID_X_EN: 1
; COMPUTE_PGM_RSRC2:TGID_Y_EN: 0
; COMPUTE_PGM_RSRC2:TGID_Z_EN: 0
; COMPUTE_PGM_RSRC2:TIDIG_COMP_CNT: 0
; COMPUTE_PGM_RSRC3_GFX90A:ACCUM_OFFSET: 6
; COMPUTE_PGM_RSRC3_GFX90A:TG_SPLIT: 0
	.text
	.protected	naive_conv_ab_packed_bwd_nhwc_float_double_float_1 ; -- Begin function naive_conv_ab_packed_bwd_nhwc_float_double_float_1
	.globl	naive_conv_ab_packed_bwd_nhwc_float_double_float_1
	.p2align	8
	.type	naive_conv_ab_packed_bwd_nhwc_float_double_float_1,@function
naive_conv_ab_packed_bwd_nhwc_float_double_float_1: ; @naive_conv_ab_packed_bwd_nhwc_float_double_float_1
; %bb.0:
	s_load_dwordx16 s[4:19], s[0:1], 0xa0
	s_abs_i32 s20, s2
	s_waitcnt lgkmcnt(0)
	s_abs_i32 s3, s4
	v_cvt_f32_u32_e32 v1, s3
	s_sub_i32 s21, 0, s3
	v_rcp_iflag_f32_e32 v1, v1
	s_nop 0
	v_mul_f32_e32 v1, 0x4f7ffffe, v1
	v_cvt_u32_f32_e32 v1, v1
	s_nop 0
	v_readfirstlane_b32 s22, v1
	s_mul_i32 s21, s21, s22
	s_mul_hi_u32 s21, s22, s21
	s_add_i32 s22, s22, s21
	s_mul_hi_u32 s21, s20, s22
	s_mul_i32 s22, s21, s3
	s_sub_i32 s20, s20, s22
	s_add_i32 s23, s21, 1
	s_sub_i32 s22, s20, s3
	s_cmp_ge_u32 s20, s3
	s_cselect_b32 s21, s23, s21
	s_cselect_b32 s20, s22, s20
	s_add_i32 s22, s21, 1
	s_cmp_ge_u32 s20, s3
	s_cselect_b32 s28, s22, s21
	s_abs_i32 s3, s6
	v_cvt_f32_u32_e32 v1, s3
	s_mul_i32 s6, s19, s8
	s_mul_i32 s33, s6, s5
	v_cmp_gt_i32_e32 vcc, s33, v0
	v_rcp_iflag_f32_e32 v1, v1
	s_nop 0
	v_mul_f32_e32 v1, 0x4f7ffffe, v1
	v_cvt_u32_f32_e32 v1, v1
	s_nop 0
	v_readfirstlane_b32 s29, v1
	s_and_saveexec_b64 s[20:21], vcc
	s_cbranch_execz .LBB38_28
; %bb.1:
	s_xor_b32 s30, s2, s4
	s_ashr_i32 s30, s30, 31
	s_sub_i32 s34, 0, s3
	s_xor_b32 s28, s28, s30
	s_mul_i32 s34, s34, s29
	s_sub_i32 s28, s28, s30
	s_mul_hi_u32 s34, s29, s34
	s_abs_i32 s31, s28
	s_add_i32 s29, s29, s34
	s_mul_hi_u32 s29, s31, s29
	s_ashr_i32 s30, s28, 31
	s_mul_i32 s28, s28, s4
	s_mul_i32 s29, s29, s3
	s_sub_i32 s28, s2, s28
	s_sub_i32 s2, s31, s29
	s_sub_i32 s29, s2, s3
	s_cmp_ge_u32 s2, s3
	s_cselect_b32 s2, s29, s2
	s_sub_i32 s29, s2, s3
	s_cmp_ge_u32 s2, s3
	s_cselect_b32 s2, s29, s2
	s_xor_b32 s2, s2, s30
	s_sub_i32 s40, s2, s30
	s_ashr_i32 s41, s40, 31
	s_mul_hi_i32 s2, s40, s4
	s_mul_i32 s3, s40, s4
	s_ashr_i32 s56, s6, 31
	s_ashr_i32 s4, s28, 31
	s_add_u32 s29, s3, s28
	s_load_dwordx8 s[20:27], s[0:1], 0x0
	s_addc_u32 s2, s2, s4
	s_mul_hi_i32 s3, s6, s5
	s_mul_i32 s2, s33, s2
	s_mul_hi_u32 s4, s33, s29
	s_add_i32 s2, s4, s2
	s_mul_i32 s3, s3, s29
	s_add_i32 s3, s2, s3
	s_mul_i32 s2, s33, s29
	s_lshl_b64 s[2:3], s[2:3], 2
	s_mul_i32 s19, s19, s7
	s_waitcnt lgkmcnt(0)
	s_add_u32 s2, s20, s2
	s_addc_u32 s3, s21, s3
	s_ashr_i32 s58, s19, 31
	s_cmp_lt_i32 s17, 1
	s_cselect_b64 s[4:5], -1, 0
	s_add_i32 s15, s28, s15
	s_cmp_gt_i32 s18, 0
	s_cselect_b64 s[20:21], -1, 0
	s_cmp_gt_i32 s7, 0
	s_cselect_b64 s[28:29], -1, 0
	s_abs_i32 s59, s6
	v_cvt_f32_u32_e32 v1, s59
	s_abs_i32 s60, s8
	v_cvt_f32_u32_e32 v2, s60
	v_cmp_neq_f64_e64 s[36:37], s[24:25], 1.0
	v_rcp_iflag_f32_e32 v1, v1
	v_cmp_neq_f64_e64 s[38:39], s[26:27], 0
	v_rcp_iflag_f32_e32 v2, v2
	s_or_b64 s[36:37], s[36:37], s[38:39]
	s_load_dwordx2 s[38:39], s[0:1], 0x20
	s_nop 0
	s_load_dword s0, s[0:1], 0xec
	v_mul_f32_e32 v1, 0x4f7ffffe, v1
	v_cvt_u32_f32_e32 v1, v1
	v_mul_f32_e32 v2, 0x4f7ffffe, v2
	s_abs_i32 s62, s11
	v_cvt_u32_f32_e32 v2, v2
	s_waitcnt lgkmcnt(0)
	s_and_b32 s61, s0, 0xffff
	s_sub_i32 s0, 0, s59
	v_cvt_f32_u32_e32 v4, s62
	v_mul_lo_u32 v3, s0, v1
	v_mul_hi_u32 v3, v1, v3
	s_sub_i32 s0, 0, s60
	v_add_u32_e32 v5, v1, v3
	v_mul_lo_u32 v3, s0, v2
	v_rcp_iflag_f32_e32 v1, v4
	v_mul_hi_u32 v3, v2, v3
	s_abs_i32 s63, s12
	v_add_u32_e32 v18, v2, v3
	v_cvt_f32_u32_e32 v2, s63
	v_mul_f32_e32 v1, 0x4f7ffffe, v1
	v_cvt_u32_f32_e32 v1, v1
	s_sub_i32 s0, 0, s62
	v_rcp_iflag_f32_e32 v2, v2
	s_ashr_i32 s43, s7, 31
	v_readfirstlane_b32 s1, v1
	s_mul_i32 s0, s0, s1
	v_mul_f32_e32 v1, 0x4f7ffffe, v2
	v_cvt_u32_f32_e32 v1, v1
	s_mul_hi_u32 s0, s1, s0
	s_mov_b32 s42, s7
	s_add_i32 s64, s1, s0
	s_sub_i32 s0, 0, s63
	s_mov_b32 s57, s9
	v_mul_lo_u32 v2, s0, v1
	s_lshl_b64 s[0:1], s[42:43], 2
	s_mul_hi_i32 s42, s10, s9
	s_mul_i32 s9, s10, s9
	s_mul_i32 s41, s9, s41
	s_mul_hi_u32 s44, s9, s40
	s_ashr_i32 s45, s17, 31
	s_add_i32 s41, s44, s41
	s_mul_i32 s42, s42, s40
	s_mul_i32 s44, s18, s8
	s_add_i32 s41, s41, s42
	s_mul_i32 s40, s9, s40
	s_mul_i32 s9, s44, s45
	s_mul_hi_u32 s42, s44, s17
	s_mul_hi_i32 s45, s18, s8
	s_add_i32 s9, s42, s9
	s_mul_i32 s42, s45, s17
	s_mul_i32 s48, s44, s17
	s_add_i32 s49, s9, s42
	s_mul_i32 s9, s48, s43
	s_mul_hi_u32 s42, s48, s7
	s_add_i32 s9, s42, s9
	s_mul_i32 s42, s49, s7
	s_ashr_i32 s31, s8, 31
	s_mov_b32 s30, s8
	v_mul_hi_u32 v2, v1, v2
	s_add_i32 s43, s9, s42
	s_mul_i32 s42, s48, s7
	s_mov_b64 s[34:35], 0
	s_ashr_i32 s11, s11, 31
	s_ashr_i32 s12, s12, 31
	v_add_u32_e32 v19, v1, v2
	s_lshl_b64 s[40:41], s[40:41], 2
	s_lshl_b64 s[42:43], s[42:43], 2
	;; [unrolled: 1-line block ×5, first 2 shown]
	s_branch .LBB38_3
.LBB38_2:                               ;   in Loop: Header=BB38_3 Depth=1
	v_add_u32_e32 v0, s61, v0
	v_cmp_le_i32_e32 vcc, s33, v0
	v_cvt_f32_f64_e32 v1, v[6:7]
	s_or_b64 s[34:35], vcc, s[34:35]
	global_store_dword v[2:3], v1, off
	s_andn2_b64 exec, exec, s[34:35]
	s_cbranch_execz .LBB38_28
.LBB38_3:                               ; =>This Loop Header: Depth=1
                                        ;     Child Loop BB38_8 Depth 2
                                        ;       Child Loop BB38_17 Depth 3
                                        ;         Child Loop BB38_24 Depth 4
	v_sub_u32_e32 v2, 0, v0
	v_max_i32_e32 v2, v0, v2
	v_mul_hi_u32 v3, v2, v5
	v_mul_lo_u32 v4, v3, s59
	v_sub_u32_e32 v2, v2, v4
	v_add_u32_e32 v4, 1, v3
	v_cmp_le_u32_e32 vcc, s59, v2
	v_ashrrev_i32_e32 v1, 31, v0
	v_xor_b32_e32 v1, s56, v1
	v_cndmask_b32_e32 v3, v3, v4, vcc
	v_subrev_u32_e32 v4, s59, v2
	v_cndmask_b32_e32 v2, v2, v4, vcc
	v_add_u32_e32 v4, 1, v3
	v_cmp_le_u32_e32 vcc, s59, v2
	s_nop 1
	v_cndmask_b32_e32 v2, v3, v4, vcc
	v_xor_b32_e32 v2, v2, v1
	v_sub_u32_e32 v20, v2, v1
	v_mul_lo_u32 v1, v20, s6
	v_sub_u32_e32 v10, v0, v1
	v_sub_u32_e32 v2, 0, v10
	v_max_i32_e32 v2, v10, v2
	v_mul_hi_u32 v3, v2, v18
	v_mul_lo_u32 v4, v3, s60
	v_sub_u32_e32 v2, v2, v4
	v_add_u32_e32 v4, 1, v3
	v_cmp_le_u32_e32 vcc, s60, v2
	v_ashrrev_i32_e32 v11, 31, v10
	v_xor_b32_e32 v1, s31, v11
	v_cndmask_b32_e32 v3, v3, v4, vcc
	v_subrev_u32_e32 v4, s60, v2
	v_cndmask_b32_e32 v2, v2, v4, vcc
	v_add_u32_e32 v4, 1, v3
	v_cmp_le_u32_e32 vcc, s60, v2
	s_nop 1
	v_cndmask_b32_e32 v2, v3, v4, vcc
	v_xor_b32_e32 v2, v2, v1
	v_sub_u32_e32 v4, v2, v1
	v_mul_lo_u32 v12, v4, s8
	v_sub_u32_e32 v2, v10, v12
	s_andn2_b64 vcc, exec, s[4:5]
	v_ashrrev_i32_e32 v1, 31, v4
	v_ashrrev_i32_e32 v3, 31, v2
	s_cbranch_vccnz .LBB38_5
; %bb.4:                                ;   in Loop: Header=BB38_3 Depth=1
	s_mov_b64 s[52:53], 0
	v_mov_b64_e32 v[6:7], s[52:53]
	s_cbranch_execz .LBB38_6
	s_branch .LBB38_26
.LBB38_5:                               ;   in Loop: Header=BB38_3 Depth=1
                                        ; implicit-def: $sgpr52_sgpr53
	v_mov_b64_e32 v[6:7], s[52:53]
.LBB38_6:                               ;   in Loop: Header=BB38_3 Depth=1
	v_mov_b64_e32 v[6:7], s[38:39]
	v_mad_u64_u32 v[8:9], s[50:51], s0, v4, v[6:7]
	v_mul_lo_u32 v6, s1, v4
	v_mul_lo_u32 v7, s0, v1
	v_add3_u32 v9, v6, v9, v7
	v_lshlrev_b64 v[6:7], 2, v[10:11]
	v_mul_lo_u32 v10, s43, v4
	v_mul_lo_u32 v11, s42, v1
	v_mad_u64_u32 v[6:7], s[50:51], s42, v4, v[6:7]
	v_ashrrev_i32_e32 v13, 31, v12
	v_add3_u32 v7, v10, v7, v11
	v_lshlrev_b64 v[10:11], 2, v[12:13]
	v_sub_co_u32_e32 v6, vcc, v6, v10
	v_add_u32_e32 v21, s16, v20
	s_nop 0
	v_subb_co_u32_e32 v7, vcc, v7, v11, vcc
	v_lshl_add_u64 v[10:11], s[22:23], 0, v[6:7]
	s_mov_b32 s9, 0
	v_mov_b64_e32 v[6:7], 0
	s_branch .LBB38_8
.LBB38_7:                               ;   in Loop: Header=BB38_8 Depth=2
	s_add_i32 s9, s9, 1
	s_cmp_eq_u32 s9, s17
	v_lshl_add_u64 v[10:11], v[10:11], 0, s[44:45]
	s_cbranch_scc1 .LBB38_26
.LBB38_8:                               ;   Parent Loop BB38_3 Depth=1
                                        ; =>  This Loop Header: Depth=2
                                        ;       Child Loop BB38_17 Depth 3
                                        ;         Child Loop BB38_24 Depth 4
	s_mul_i32 s50, s9, s13
	s_sub_i32 s68, s15, s50
	s_cmp_gt_i32 s68, -1
	s_cbranch_scc0 .LBB38_10
; %bb.9:                                ;   in Loop: Header=BB38_8 Depth=2
	s_abs_i32 s50, s68
	s_mul_hi_u32 s55, s50, s64
	s_mul_i32 s51, s55, s62
	s_sub_i32 s65, s50, s51
	s_ashr_i32 s54, s68, 31
	s_sub_i32 s66, s65, s62
	s_cmp_ge_u32 s65, s62
	s_cselect_b32 s50, s66, s65
	s_sub_i32 s51, s50, s62
	s_cmp_ge_u32 s50, s62
	s_cselect_b32 s50, s51, s50
	s_xor_b32 s50, s50, s54
	s_sub_i32 s50, s50, s54
	s_cmp_lg_u32 s50, 0
	s_mov_b32 s67, 1
	s_cselect_b64 s[50:51], -1, 0
	s_cbranch_execz .LBB38_11
	s_branch .LBB38_12
.LBB38_10:                              ;   in Loop: Header=BB38_8 Depth=2
	s_mov_b64 s[50:51], 0
                                        ; implicit-def: $sgpr67
                                        ; implicit-def: $sgpr54
                                        ; implicit-def: $sgpr55
                                        ; implicit-def: $sgpr65
                                        ; implicit-def: $sgpr66
.LBB38_11:                              ;   in Loop: Header=BB38_8 Depth=2
	s_abs_i32 s50, s68
	s_mul_hi_u32 s55, s50, s64
	s_mul_i32 s51, s55, s62
	s_sub_i32 s65, s50, s51
	s_ashr_i32 s54, s68, 31
	s_sub_i32 s66, s65, s62
	s_mov_b64 s[50:51], -1
                                        ; implicit-def: $sgpr67
.LBB38_12:                              ;   in Loop: Header=BB38_8 Depth=2
	s_andn2_b64 vcc, exec, s[50:51]
	s_cbranch_vccz .LBB38_14
; %bb.13:                               ;   in Loop: Header=BB38_8 Depth=2
	s_andn2_b64 vcc, exec, s[20:21]
	s_cbranch_vccz .LBB38_15
	s_branch .LBB38_7
.LBB38_14:                              ;   in Loop: Header=BB38_8 Depth=2
	s_mov_b32 s67, 0
	s_andn2_b64 vcc, exec, s[20:21]
	s_cbranch_vccnz .LBB38_7
.LBB38_15:                              ;   in Loop: Header=BB38_8 Depth=2
	s_xor_b32 s50, s54, s11
	s_add_i32 s51, s55, 1
	s_cmp_ge_u32 s65, s62
	s_cselect_b32 s51, s51, s55
	s_cselect_b32 s52, s66, s65
	s_add_i32 s53, s51, 1
	s_cmp_ge_u32 s52, s62
	s_cselect_b32 s51, s53, s51
	s_xor_b32 s51, s51, s50
	s_sub_i32 s50, s51, s50
	s_cmp_lt_i32 s50, s57
	s_mov_b32 s65, 0
	s_cselect_b32 s66, s67, 0
	s_mul_hi_i32 s51, s50, s10
	s_mul_i32 s50, s50, s10
	v_mov_b64_e32 v[12:13], v[10:11]
	s_branch .LBB38_17
.LBB38_16:                              ;   in Loop: Header=BB38_17 Depth=3
	s_add_i32 s65, s65, 1
	s_cmp_eq_u32 s65, s18
	v_lshl_add_u64 v[12:13], v[12:13], 0, s[46:47]
	s_cbranch_scc1 .LBB38_7
.LBB38_17:                              ;   Parent Loop BB38_3 Depth=1
                                        ;     Parent Loop BB38_8 Depth=2
                                        ; =>    This Loop Header: Depth=3
                                        ;         Child Loop BB38_24 Depth 4
	s_mul_i32 s52, s65, s14
	v_subrev_u32_e32 v14, s52, v21
	v_sub_u32_e32 v16, 0, v14
	v_cmp_gt_i32_e64 s[52:53], 0, v14
	v_cmp_lt_i32_e32 vcc, -1, v14
	v_ashrrev_i32_e32 v15, 31, v14
	v_max_i32_e32 v14, v14, v16
                                        ; implicit-def: $sgpr67
	s_and_saveexec_b64 s[54:55], vcc
	s_cbranch_execnz .LBB38_20
; %bb.18:                               ;   in Loop: Header=BB38_17 Depth=3
	s_or_b64 exec, exec, s[54:55]
	v_mov_b32_e32 v16, s67
	s_and_saveexec_b64 s[54:55], s[52:53]
	s_cbranch_execnz .LBB38_21
.LBB38_19:                              ;   in Loop: Header=BB38_17 Depth=3
	s_or_b64 exec, exec, s[54:55]
	s_andn2_b64 vcc, exec, s[28:29]
	s_cbranch_vccz .LBB38_22
	s_branch .LBB38_16
.LBB38_20:                              ;   in Loop: Header=BB38_17 Depth=3
	v_mul_hi_u32 v16, v14, v19
	v_mul_lo_u32 v16, v16, s63
	v_sub_u32_e32 v16, v14, v16
	v_subrev_u32_e32 v17, s63, v16
	v_cmp_le_u32_e32 vcc, s63, v16
	s_andn2_b64 s[52:53], s[52:53], exec
	s_mov_b32 s67, 1
	v_cndmask_b32_e32 v16, v16, v17, vcc
	v_subrev_u32_e32 v17, s63, v16
	v_cmp_le_u32_e32 vcc, s63, v16
	s_nop 1
	v_cndmask_b32_e32 v16, v16, v17, vcc
	v_xor_b32_e32 v16, v16, v15
	v_sub_u32_e32 v16, v16, v15
	v_cmp_ne_u32_e32 vcc, 0, v16
	s_and_b64 s[68:69], vcc, exec
	s_or_b64 s[52:53], s[52:53], s[68:69]
	s_or_b64 exec, exec, s[54:55]
	v_mov_b32_e32 v16, s67
	s_and_saveexec_b64 s[54:55], s[52:53]
	s_cbranch_execz .LBB38_19
.LBB38_21:                              ;   in Loop: Header=BB38_17 Depth=3
	v_mov_b32_e32 v16, 0
	s_or_b64 exec, exec, s[54:55]
	s_andn2_b64 vcc, exec, s[28:29]
	s_cbranch_vccnz .LBB38_16
.LBB38_22:                              ;   in Loop: Header=BB38_17 Depth=3
	v_mul_hi_u32 v17, v14, v19
	v_mul_lo_u32 v22, v17, s63
	v_sub_u32_e32 v14, v14, v22
	v_add_u32_e32 v22, 1, v17
	v_cmp_le_u32_e32 vcc, s63, v14
	v_xor_b32_e32 v15, s12, v15
	s_mov_b32 s54, s7
	v_cndmask_b32_e32 v17, v17, v22, vcc
	v_subrev_u32_e32 v22, s63, v14
	v_cndmask_b32_e32 v14, v14, v22, vcc
	v_add_u32_e32 v22, 1, v17
	v_cmp_le_u32_e32 vcc, s63, v14
	s_nop 1
	v_cndmask_b32_e32 v14, v17, v22, vcc
	v_xor_b32_e32 v14, v14, v15
	v_sub_u32_e32 v14, v14, v15
	v_cmp_gt_i32_e32 vcc, s10, v14
	s_nop 1
	v_cndmask_b32_e32 v15, 0, v16, vcc
	v_and_b32_e32 v15, s66, v15
	v_cmp_ne_u32_e32 vcc, 0, v15
	v_ashrrev_i32_e32 v15, 31, v14
	v_lshl_add_u64 v[14:15], s[50:51], 0, v[14:15]
	v_lshl_add_u64 v[14:15], v[14:15], 2, s[40:41]
	v_mul_lo_u32 v16, s19, v15
	v_mul_lo_u32 v17, s58, v14
	v_mad_u64_u32 v[14:15], s[52:53], s19, v14, v[8:9]
	v_add3_u32 v15, v17, v15, v16
	v_mov_b64_e32 v[16:17], v[12:13]
	s_branch .LBB38_24
.LBB38_23:                              ;   in Loop: Header=BB38_24 Depth=4
	s_or_b64 exec, exec, s[52:53]
	s_add_i32 s54, s54, -1
	v_lshl_add_u64 v[14:15], v[14:15], 0, 4
	s_cmp_eq_u32 s54, 0
	v_lshl_add_u64 v[16:17], v[16:17], 0, s[48:49]
	s_cbranch_scc1 .LBB38_16
.LBB38_24:                              ;   Parent Loop BB38_3 Depth=1
                                        ;     Parent Loop BB38_8 Depth=2
                                        ;       Parent Loop BB38_17 Depth=3
                                        ; =>      This Inner Loop Header: Depth=4
	s_and_saveexec_b64 s[52:53], vcc
	s_cbranch_execz .LBB38_23
; %bb.25:                               ;   in Loop: Header=BB38_24 Depth=4
	global_load_dword v22, v[14:15], off
	global_load_dword v23, v[16:17], off
	s_waitcnt vmcnt(1)
	v_and_b32_e32 v24, 0xffffe000, v22
	s_waitcnt vmcnt(0)
	v_and_b32_e32 v22, 0xffffe000, v23
	v_cvt_f64_f32_e32 v[22:23], v22
	v_cvt_f64_f32_e32 v[24:25], v24
	v_fmac_f64_e32 v[6:7], v[24:25], v[22:23]
	s_branch .LBB38_23
.LBB38_26:                              ;   in Loop: Header=BB38_3 Depth=1
	v_mad_i64_i32 v[8:9], s[50:51], v20, s6, 0
	v_mul_lo_u32 v1, v1, s30
	v_mul_lo_u32 v12, v4, s31
	v_mad_u64_u32 v[10:11], s[50:51], v4, s30, 0
	v_add3_u32 v11, v11, v12, v1
	v_lshl_add_u64 v[8:9], v[8:9], 2, s[2:3]
	v_lshl_add_u64 v[8:9], v[10:11], 2, v[8:9]
	s_andn2_b64 vcc, exec, s[36:37]
	v_lshl_add_u64 v[2:3], v[2:3], 2, v[8:9]
	s_cbranch_vccnz .LBB38_2
; %bb.27:                               ;   in Loop: Header=BB38_3 Depth=1
	global_load_dword v1, v[2:3], off
	s_waitcnt vmcnt(0)
	v_cvt_f64_f32_e32 v[8:9], v1
	v_mul_f64 v[8:9], v[8:9], s[26:27]
	v_fmac_f64_e32 v[8:9], s[24:25], v[6:7]
	v_mov_b64_e32 v[6:7], v[8:9]
	s_branch .LBB38_2
.LBB38_28:
	s_endpgm
	.section	.rodata,"a",@progbits
	.p2align	6, 0x0
	.amdhsa_kernel naive_conv_ab_packed_bwd_nhwc_float_double_float_1
		.amdhsa_group_segment_fixed_size 0
		.amdhsa_private_segment_fixed_size 0
		.amdhsa_kernarg_size 480
		.amdhsa_user_sgpr_count 2
		.amdhsa_user_sgpr_dispatch_ptr 0
		.amdhsa_user_sgpr_queue_ptr 0
		.amdhsa_user_sgpr_kernarg_segment_ptr 1
		.amdhsa_user_sgpr_dispatch_id 0
		.amdhsa_user_sgpr_kernarg_preload_length 0
		.amdhsa_user_sgpr_kernarg_preload_offset 0
		.amdhsa_user_sgpr_private_segment_size 0
		.amdhsa_uses_dynamic_stack 0
		.amdhsa_enable_private_segment 0
		.amdhsa_system_sgpr_workgroup_id_x 1
		.amdhsa_system_sgpr_workgroup_id_y 0
		.amdhsa_system_sgpr_workgroup_id_z 0
		.amdhsa_system_sgpr_workgroup_info 0
		.amdhsa_system_vgpr_workitem_id 0
		.amdhsa_next_free_vgpr 26
		.amdhsa_next_free_sgpr 70
		.amdhsa_accum_offset 28
		.amdhsa_reserve_vcc 1
		.amdhsa_float_round_mode_32 0
		.amdhsa_float_round_mode_16_64 0
		.amdhsa_float_denorm_mode_32 3
		.amdhsa_float_denorm_mode_16_64 3
		.amdhsa_dx10_clamp 1
		.amdhsa_ieee_mode 1
		.amdhsa_fp16_overflow 0
		.amdhsa_tg_split 0
		.amdhsa_exception_fp_ieee_invalid_op 0
		.amdhsa_exception_fp_denorm_src 0
		.amdhsa_exception_fp_ieee_div_zero 0
		.amdhsa_exception_fp_ieee_overflow 0
		.amdhsa_exception_fp_ieee_underflow 0
		.amdhsa_exception_fp_ieee_inexact 0
		.amdhsa_exception_int_div_zero 0
	.end_amdhsa_kernel
	.text
.Lfunc_end38:
	.size	naive_conv_ab_packed_bwd_nhwc_float_double_float_1, .Lfunc_end38-naive_conv_ab_packed_bwd_nhwc_float_double_float_1
                                        ; -- End function
	.section	.AMDGPU.csdata,"",@progbits
; Kernel info:
; codeLenInByte = 1944
; NumSgprs: 76
; NumVgprs: 26
; NumAgprs: 0
; TotalNumVgprs: 26
; ScratchSize: 0
; MemoryBound: 0
; FloatMode: 240
; IeeeMode: 1
; LDSByteSize: 0 bytes/workgroup (compile time only)
; SGPRBlocks: 9
; VGPRBlocks: 3
; NumSGPRsForWavesPerEU: 76
; NumVGPRsForWavesPerEU: 26
; AccumOffset: 28
; Occupancy: 8
; WaveLimiterHint : 0
; COMPUTE_PGM_RSRC2:SCRATCH_EN: 0
; COMPUTE_PGM_RSRC2:USER_SGPR: 2
; COMPUTE_PGM_RSRC2:TRAP_HANDLER: 0
; COMPUTE_PGM_RSRC2:TGID_X_EN: 1
; COMPUTE_PGM_RSRC2:TGID_Y_EN: 0
; COMPUTE_PGM_RSRC2:TGID_Z_EN: 0
; COMPUTE_PGM_RSRC2:TIDIG_COMP_CNT: 0
; COMPUTE_PGM_RSRC3_GFX90A:ACCUM_OFFSET: 6
; COMPUTE_PGM_RSRC3_GFX90A:TG_SPLIT: 0
	.text
	.protected	naive_conv_ab_nonpacked_bwd_nhwc_float_double_float_1 ; -- Begin function naive_conv_ab_nonpacked_bwd_nhwc_float_double_float_1
	.globl	naive_conv_ab_nonpacked_bwd_nhwc_float_double_float_1
	.p2align	8
	.type	naive_conv_ab_nonpacked_bwd_nhwc_float_double_float_1,@function
naive_conv_ab_nonpacked_bwd_nhwc_float_double_float_1: ; @naive_conv_ab_nonpacked_bwd_nhwc_float_double_float_1
; %bb.0:
	s_load_dwordx16 s[4:19], s[0:1], 0xa0
	s_abs_i32 s20, s2
	s_waitcnt lgkmcnt(0)
	s_abs_i32 s3, s4
	v_cvt_f32_u32_e32 v1, s3
	s_sub_i32 s21, 0, s3
	v_rcp_iflag_f32_e32 v1, v1
	s_nop 0
	v_mul_f32_e32 v1, 0x4f7ffffe, v1
	v_cvt_u32_f32_e32 v1, v1
	s_nop 0
	v_readfirstlane_b32 s22, v1
	s_mul_i32 s21, s21, s22
	s_mul_hi_u32 s21, s22, s21
	s_add_i32 s22, s22, s21
	s_mul_hi_u32 s21, s20, s22
	s_mul_i32 s22, s21, s3
	s_sub_i32 s20, s20, s22
	s_add_i32 s23, s21, 1
	s_sub_i32 s22, s20, s3
	s_cmp_ge_u32 s20, s3
	s_cselect_b32 s21, s23, s21
	s_cselect_b32 s20, s22, s20
	s_add_i32 s22, s21, 1
	s_cmp_ge_u32 s20, s3
	s_cselect_b32 s28, s22, s21
	s_abs_i32 s3, s6
	v_cvt_f32_u32_e32 v1, s3
	s_mul_i32 s6, s19, s8
	s_mul_i32 s19, s6, s5
	v_cmp_gt_i32_e32 vcc, s19, v0
	v_rcp_iflag_f32_e32 v1, v1
	s_nop 0
	v_mul_f32_e32 v1, 0x4f7ffffe, v1
	v_cvt_u32_f32_e32 v1, v1
	s_nop 0
	v_readfirstlane_b32 s5, v1
	s_and_saveexec_b64 s[20:21], vcc
	s_cbranch_execz .LBB39_28
; %bb.1:
	s_xor_b32 s29, s2, s4
	s_ashr_i32 s29, s29, 31
	s_xor_b32 s28, s28, s29
	s_sub_i32 s33, s28, s29
	s_sub_i32 s28, 0, s3
	s_mul_i32 s28, s28, s5
	s_mul_hi_u32 s28, s5, s28
	s_abs_i32 s35, s33
	s_add_i32 s5, s5, s28
	s_mul_hi_u32 s5, s35, s5
	s_ashr_i32 s34, s33, 31
	s_mul_i32 s33, s33, s4
	s_mul_i32 s5, s5, s3
	s_sub_i32 s33, s2, s33
	s_sub_i32 s2, s35, s5
	;; [unrolled: 1-line block ×3, first 2 shown]
	s_cmp_ge_u32 s2, s3
	s_cselect_b32 s2, s4, s2
	s_sub_i32 s4, s2, s3
	s_cmp_ge_u32 s2, s3
	s_cselect_b32 s2, s4, s2
	s_load_dwordx8 s[20:27], s[0:1], 0x0
	s_load_dwordx2 s[52:53], s[0:1], 0x20
	s_load_dwordx16 s[36:51], s[0:1], 0x28
	s_load_dwordx2 s[54:55], s[0:1], 0x98
	s_load_dwordx4 s[28:31], s[0:1], 0x88
	s_xor_b32 s2, s2, s34
	s_sub_i32 s56, s2, s34
	s_ashr_i32 s57, s56, 31
	s_waitcnt lgkmcnt(0)
	s_mul_i32 s2, s44, s57
	s_mul_hi_u32 s3, s44, s56
	s_ashr_i32 s4, s33, 31
	s_add_i32 s2, s3, s2
	s_mul_i32 s3, s45, s56
	s_mul_i32 s4, s42, s4
	s_mul_hi_u32 s5, s42, s33
	s_add_i32 s3, s2, s3
	s_mul_i32 s2, s44, s56
	s_add_i32 s4, s5, s4
	s_mul_i32 s5, s43, s33
	s_add_i32 s5, s4, s5
	s_lshl_b64 s[2:3], s[2:3], 2
	s_mul_i32 s4, s42, s33
	s_add_u32 s20, s20, s2
	s_addc_u32 s21, s21, s3
	s_lshl_b64 s[2:3], s[4:5], 2
	s_add_u32 s2, s20, s2
	s_addc_u32 s3, s21, s3
	s_cmp_lt_i32 s17, 1
	s_cselect_b64 s[4:5], -1, 0
	s_add_i32 s15, s33, s15
	s_cmp_gt_i32 s18, 0
	s_cselect_b64 s[20:21], -1, 0
	s_cmp_gt_i32 s7, 0
	s_cselect_b64 s[34:35], -1, 0
	s_abs_i32 s33, s11
	v_cvt_f32_u32_e32 v1, s33
	v_cmp_neq_f64_e64 s[42:43], s[24:25], 1.0
	v_cmp_neq_f64_e64 s[44:45], s[26:27], 0
	s_abs_i32 s66, s6
	v_rcp_iflag_f32_e32 v1, v1
	s_or_b64 s[42:43], s[42:43], s[44:45]
	s_abs_i32 s68, s8
	s_ashr_i32 s70, s12, 31
	v_mul_f32_e32 v1, 0x4f7ffffe, v1
	v_cvt_u32_f32_e32 v1, v1
	s_abs_i32 s12, s12
	v_cvt_f32_u32_e32 v3, s68
	v_cvt_f32_u32_e32 v5, s12
	v_readfirstlane_b32 s45, v1
	v_cvt_f32_u32_e32 v1, s66
	s_load_dword s58, s[0:1], 0xec
	v_rcp_iflag_f32_e32 v3, v3
	s_sub_i32 s44, 0, s33
	v_rcp_iflag_f32_e32 v1, v1
	v_rcp_iflag_f32_e32 v5, v5
	s_mul_i32 s44, s44, s45
	s_mul_hi_u32 s44, s45, s44
	v_mul_f32_e32 v1, 0x4f7ffffe, v1
	s_add_i32 s69, s45, s44
	s_mul_i32 s44, s54, s57
	s_mul_hi_u32 s45, s54, s56
	v_cvt_u32_f32_e32 v1, v1
	v_mul_f32_e32 v3, 0x4f7ffffe, v3
	s_waitcnt lgkmcnt(0)
	s_and_b32 s64, s58, 0xffff
	s_add_i32 s45, s45, s44
	s_mul_i32 s55, s55, s56
	s_mul_i32 s44, s54, s56
	s_load_dwordx8 s[56:63], s[0:1], 0x68
	v_cvt_u32_f32_e32 v3, v3
	v_mul_f32_e32 v5, 0x4f7ffffe, v5
	v_cvt_u32_f32_e32 v6, v5
	s_sub_i32 s71, 0, s66
	s_sub_i32 s72, 0, s68
	v_mul_lo_u32 v2, s71, v1
	s_add_i32 s45, s45, s55
	s_sub_i32 s73, 0, s12
	v_mul_lo_u32 v4, s72, v3
	v_mul_hi_u32 v2, v1, v2
	s_ashr_i32 s65, s6, 31
	s_ashr_i32 s67, s8, 31
	;; [unrolled: 1-line block ×3, first 2 shown]
	s_lshl_b64 s[54:55], s[44:45], 2
	s_lshl_b64 s[44:45], s[46:47], 2
	s_waitcnt lgkmcnt(0)
	s_lshl_b64 s[0:1], s[58:59], 2
	s_lshl_b64 s[46:47], s[50:51], 2
	;; [unrolled: 1-line block ×4, first 2 shown]
	v_mul_lo_u32 v7, s73, v6
	v_add_u32_e32 v5, v1, v2
	v_mul_hi_u32 v1, v3, v4
	s_add_u32 s52, s52, s54
	v_add_u32_e32 v20, v3, v1
	v_mul_hi_u32 v1, v6, v7
	s_addc_u32 s53, s53, s55
	s_lshl_b64 s[54:55], s[62:63], 2
	s_lshl_b64 s[56:57], s[60:61], 2
	;; [unrolled: 1-line block ×4, first 2 shown]
	v_add_u32_e32 v21, v6, v1
	s_mov_b64 s[58:59], 0
	s_branch .LBB39_3
.LBB39_2:                               ;   in Loop: Header=BB39_3 Depth=1
	v_add_u32_e32 v0, s64, v0
	v_cmp_le_i32_e32 vcc, s19, v0
	v_cvt_f32_f64_e32 v1, v[6:7]
	s_or_b64 s[58:59], vcc, s[58:59]
	global_store_dword v[2:3], v1, off
	s_andn2_b64 exec, exec, s[58:59]
	s_cbranch_execz .LBB39_28
.LBB39_3:                               ; =>This Loop Header: Depth=1
                                        ;     Child Loop BB39_8 Depth 2
                                        ;       Child Loop BB39_17 Depth 3
                                        ;         Child Loop BB39_24 Depth 4
	v_sub_u32_e32 v2, 0, v0
	v_max_i32_e32 v2, v0, v2
	v_mul_hi_u32 v3, v2, v5
	v_mul_lo_u32 v4, v3, s66
	v_sub_u32_e32 v2, v2, v4
	v_add_u32_e32 v4, 1, v3
	v_cmp_le_u32_e32 vcc, s66, v2
	v_ashrrev_i32_e32 v1, 31, v0
	v_xor_b32_e32 v1, s65, v1
	v_cndmask_b32_e32 v3, v3, v4, vcc
	v_subrev_u32_e32 v4, s66, v2
	v_cndmask_b32_e32 v2, v2, v4, vcc
	v_add_u32_e32 v4, 1, v3
	v_cmp_le_u32_e32 vcc, s66, v2
	s_nop 1
	v_cndmask_b32_e32 v2, v3, v4, vcc
	v_xor_b32_e32 v2, v2, v1
	v_sub_u32_e32 v22, v2, v1
	v_mul_lo_u32 v1, v22, s6
	v_sub_u32_e32 v8, v0, v1
	v_sub_u32_e32 v2, 0, v8
	v_max_i32_e32 v2, v8, v2
	v_mul_hi_u32 v3, v2, v20
	v_mul_lo_u32 v4, v3, s68
	v_sub_u32_e32 v2, v2, v4
	v_add_u32_e32 v4, 1, v3
	v_cmp_le_u32_e32 vcc, s68, v2
	v_ashrrev_i32_e32 v9, 31, v8
	v_xor_b32_e32 v1, s67, v9
	v_cndmask_b32_e32 v3, v3, v4, vcc
	v_subrev_u32_e32 v4, s68, v2
	v_cndmask_b32_e32 v2, v2, v4, vcc
	v_add_u32_e32 v4, 1, v3
	v_cmp_le_u32_e32 vcc, s68, v2
	s_nop 1
	v_cndmask_b32_e32 v2, v3, v4, vcc
	v_xor_b32_e32 v2, v2, v1
	v_sub_u32_e32 v4, v2, v1
	v_mul_lo_u32 v10, v4, s8
	v_sub_u32_e32 v2, v8, v10
	s_andn2_b64 vcc, exec, s[4:5]
	v_ashrrev_i32_e32 v3, 31, v4
	v_ashrrev_i32_e32 v1, 31, v2
	s_cbranch_vccnz .LBB39_5
; %bb.4:                                ;   in Loop: Header=BB39_3 Depth=1
	s_mov_b64 s[62:63], 0
	v_mov_b64_e32 v[6:7], s[62:63]
	s_cbranch_execz .LBB39_6
	s_branch .LBB39_26
.LBB39_5:                               ;   in Loop: Header=BB39_3 Depth=1
                                        ; implicit-def: $sgpr62_sgpr63
	v_mov_b64_e32 v[6:7], s[62:63]
.LBB39_6:                               ;   in Loop: Header=BB39_3 Depth=1
	v_ashrrev_i32_e32 v6, 31, v10
	v_sub_co_u32_e32 v8, vcc, v8, v10
	v_mul_lo_u32 v10, s1, v4
	s_nop 0
	v_subb_co_u32_e32 v9, vcc, v9, v6, vcc
	v_mul_lo_u32 v11, s0, v3
	v_mad_u64_u32 v[6:7], s[60:61], s0, v4, 0
	v_add3_u32 v7, v7, v11, v10
	v_mad_u64_u32 v[6:7], s[60:61], s44, v8, v[6:7]
	v_mul_lo_u32 v9, s44, v9
	v_mul_lo_u32 v8, s45, v8
	v_add3_u32 v7, v8, v7, v9
	v_lshl_add_u64 v[8:9], s[22:23], 0, v[6:7]
	v_mov_b64_e32 v[6:7], s[52:53]
	v_mad_u64_u32 v[10:11], s[60:61], s54, v4, v[6:7]
	v_mul_lo_u32 v6, s55, v4
	v_mul_lo_u32 v7, s54, v3
	v_add_u32_e32 v23, s16, v22
	v_add3_u32 v11, v6, v11, v7
	s_mov_b32 s71, 0
	v_mov_b64_e32 v[6:7], 0
	s_branch .LBB39_8
.LBB39_7:                               ;   in Loop: Header=BB39_8 Depth=2
	s_add_i32 s71, s71, 1
	s_cmp_eq_u32 s71, s17
	v_lshl_add_u64 v[8:9], v[8:9], 0, s[46:47]
	s_cbranch_scc1 .LBB39_26
.LBB39_8:                               ;   Parent Loop BB39_3 Depth=1
                                        ; =>  This Loop Header: Depth=2
                                        ;       Child Loop BB39_17 Depth 3
                                        ;         Child Loop BB39_24 Depth 4
	s_mul_i32 s60, s71, s13
	s_sub_i32 s77, s15, s60
	s_cmp_gt_i32 s77, -1
	s_cbranch_scc0 .LBB39_10
; %bb.9:                                ;   in Loop: Header=BB39_8 Depth=2
	s_abs_i32 s60, s77
	s_mul_hi_u32 s73, s60, s69
	s_mul_i32 s61, s73, s33
	s_sub_i32 s74, s60, s61
	s_ashr_i32 s72, s77, 31
	s_sub_i32 s75, s74, s33
	s_cmp_ge_u32 s74, s33
	s_cselect_b32 s60, s75, s74
	s_sub_i32 s61, s60, s33
	s_cmp_ge_u32 s60, s33
	s_cselect_b32 s60, s61, s60
	s_xor_b32 s60, s60, s72
	s_sub_i32 s60, s60, s72
	s_cmp_lg_u32 s60, 0
	s_mov_b32 s76, 1
	s_cselect_b64 s[60:61], -1, 0
	s_cbranch_execz .LBB39_11
	s_branch .LBB39_12
.LBB39_10:                              ;   in Loop: Header=BB39_8 Depth=2
	s_mov_b64 s[60:61], 0
                                        ; implicit-def: $sgpr76
                                        ; implicit-def: $sgpr72
                                        ; implicit-def: $sgpr73
                                        ; implicit-def: $sgpr74
                                        ; implicit-def: $sgpr75
.LBB39_11:                              ;   in Loop: Header=BB39_8 Depth=2
	s_abs_i32 s60, s77
	s_mul_hi_u32 s73, s60, s69
	s_mul_i32 s61, s73, s33
	s_sub_i32 s74, s60, s61
	s_ashr_i32 s72, s77, 31
	s_sub_i32 s75, s74, s33
	s_mov_b64 s[60:61], -1
                                        ; implicit-def: $sgpr76
.LBB39_12:                              ;   in Loop: Header=BB39_8 Depth=2
	s_andn2_b64 vcc, exec, s[60:61]
	s_cbranch_vccz .LBB39_14
; %bb.13:                               ;   in Loop: Header=BB39_8 Depth=2
	s_andn2_b64 vcc, exec, s[20:21]
	s_cbranch_vccz .LBB39_15
	s_branch .LBB39_7
.LBB39_14:                              ;   in Loop: Header=BB39_8 Depth=2
	s_mov_b32 s76, 0
	s_andn2_b64 vcc, exec, s[20:21]
	s_cbranch_vccnz .LBB39_7
.LBB39_15:                              ;   in Loop: Header=BB39_8 Depth=2
	s_xor_b32 s60, s72, s11
	s_add_i32 s61, s73, 1
	s_cmp_ge_u32 s74, s33
	s_cselect_b32 s61, s61, s73
	s_cselect_b32 s62, s75, s74
	s_add_i32 s63, s61, 1
	s_cmp_ge_u32 s62, s33
	s_cselect_b32 s61, s63, s61
	s_xor_b32 s61, s61, s60
	s_sub_i32 s60, s61, s60
	s_cmp_lt_i32 s60, s9
	s_cselect_b32 s73, s76, 0
	s_ashr_i32 s61, s60, 31
	s_mul_i32 s61, s30, s61
	s_mul_i32 s62, s31, s60
	v_mov_b32_e32 v12, s60
	s_add_i32 s62, s61, s62
	v_mad_u64_u32 v[12:13], s[60:61], s30, v12, v[10:11]
	s_mov_b32 s72, 0
	v_add_u32_e32 v13, s62, v13
	v_mov_b64_e32 v[14:15], v[8:9]
	s_branch .LBB39_17
.LBB39_16:                              ;   in Loop: Header=BB39_17 Depth=3
	s_add_i32 s72, s72, 1
	s_cmp_eq_u32 s72, s18
	v_lshl_add_u64 v[14:15], v[14:15], 0, s[48:49]
	s_cbranch_scc1 .LBB39_7
.LBB39_17:                              ;   Parent Loop BB39_3 Depth=1
                                        ;     Parent Loop BB39_8 Depth=2
                                        ; =>    This Loop Header: Depth=3
                                        ;         Child Loop BB39_24 Depth 4
	s_mul_i32 s60, s72, s14
	v_subrev_u32_e32 v16, s60, v23
	v_sub_u32_e32 v18, 0, v16
	v_cmp_gt_i32_e64 s[60:61], 0, v16
	v_cmp_lt_i32_e32 vcc, -1, v16
	v_ashrrev_i32_e32 v17, 31, v16
	v_max_i32_e32 v16, v16, v18
                                        ; implicit-def: $sgpr74
	s_and_saveexec_b64 s[62:63], vcc
	s_cbranch_execnz .LBB39_20
; %bb.18:                               ;   in Loop: Header=BB39_17 Depth=3
	s_or_b64 exec, exec, s[62:63]
	v_mov_b32_e32 v18, s74
	s_and_saveexec_b64 s[62:63], s[60:61]
	s_cbranch_execnz .LBB39_21
.LBB39_19:                              ;   in Loop: Header=BB39_17 Depth=3
	s_or_b64 exec, exec, s[62:63]
	s_andn2_b64 vcc, exec, s[34:35]
	s_cbranch_vccz .LBB39_22
	s_branch .LBB39_16
.LBB39_20:                              ;   in Loop: Header=BB39_17 Depth=3
	v_mul_hi_u32 v18, v16, v21
	v_mul_lo_u32 v18, v18, s12
	v_sub_u32_e32 v18, v16, v18
	v_subrev_u32_e32 v19, s12, v18
	v_cmp_le_u32_e32 vcc, s12, v18
	s_andn2_b64 s[60:61], s[60:61], exec
	s_mov_b32 s74, 1
	v_cndmask_b32_e32 v18, v18, v19, vcc
	v_subrev_u32_e32 v19, s12, v18
	v_cmp_le_u32_e32 vcc, s12, v18
	s_nop 1
	v_cndmask_b32_e32 v18, v18, v19, vcc
	v_xor_b32_e32 v18, v18, v17
	v_sub_u32_e32 v18, v18, v17
	v_cmp_ne_u32_e32 vcc, 0, v18
	s_and_b64 s[76:77], vcc, exec
	s_or_b64 s[60:61], s[60:61], s[76:77]
	s_or_b64 exec, exec, s[62:63]
	v_mov_b32_e32 v18, s74
	s_and_saveexec_b64 s[62:63], s[60:61]
	s_cbranch_execz .LBB39_19
.LBB39_21:                              ;   in Loop: Header=BB39_17 Depth=3
	v_mov_b32_e32 v18, 0
	s_or_b64 exec, exec, s[62:63]
	s_andn2_b64 vcc, exec, s[34:35]
	s_cbranch_vccnz .LBB39_16
.LBB39_22:                              ;   in Loop: Header=BB39_17 Depth=3
	v_mul_hi_u32 v19, v16, v21
	v_mul_lo_u32 v24, v19, s12
	v_sub_u32_e32 v16, v16, v24
	v_add_u32_e32 v24, 1, v19
	v_cmp_le_u32_e32 vcc, s12, v16
	v_xor_b32_e32 v17, s70, v17
	s_mov_b32 s62, s7
	v_cndmask_b32_e32 v19, v19, v24, vcc
	v_subrev_u32_e32 v24, s12, v16
	v_cndmask_b32_e32 v16, v16, v24, vcc
	v_add_u32_e32 v24, 1, v19
	v_cmp_le_u32_e32 vcc, s12, v16
	s_nop 1
	v_cndmask_b32_e32 v16, v19, v24, vcc
	v_xor_b32_e32 v16, v16, v17
	v_sub_u32_e32 v16, v16, v17
	v_cmp_gt_i32_e32 vcc, s10, v16
	v_mul_lo_u32 v19, s29, v16
	s_nop 0
	v_cndmask_b32_e32 v17, 0, v18, vcc
	v_and_b32_e32 v17, s73, v17
	v_cmp_ne_u32_e32 vcc, 0, v17
	v_ashrrev_i32_e32 v17, 31, v16
	v_mul_lo_u32 v18, s28, v17
	v_mad_u64_u32 v[16:17], s[60:61], s28, v16, v[12:13]
	v_add3_u32 v17, v19, v17, v18
	v_mov_b64_e32 v[18:19], v[14:15]
	s_branch .LBB39_24
.LBB39_23:                              ;   in Loop: Header=BB39_24 Depth=4
	s_or_b64 exec, exec, s[60:61]
	s_add_i32 s62, s62, -1
	v_lshl_add_u64 v[18:19], v[18:19], 0, s[50:51]
	s_cmp_eq_u32 s62, 0
	v_lshl_add_u64 v[16:17], v[16:17], 0, s[56:57]
	s_cbranch_scc1 .LBB39_16
.LBB39_24:                              ;   Parent Loop BB39_3 Depth=1
                                        ;     Parent Loop BB39_8 Depth=2
                                        ;       Parent Loop BB39_17 Depth=3
                                        ; =>      This Inner Loop Header: Depth=4
	s_and_saveexec_b64 s[60:61], vcc
	s_cbranch_execz .LBB39_23
; %bb.25:                               ;   in Loop: Header=BB39_24 Depth=4
	global_load_dword v24, v[16:17], off
	global_load_dword v25, v[18:19], off
	s_waitcnt vmcnt(1)
	v_and_b32_e32 v26, 0xffffe000, v24
	s_waitcnt vmcnt(0)
	v_and_b32_e32 v24, 0xffffe000, v25
	v_cvt_f64_f32_e32 v[24:25], v24
	v_cvt_f64_f32_e32 v[26:27], v26
	v_fmac_f64_e32 v[6:7], v[26:27], v[24:25]
	s_branch .LBB39_23
.LBB39_26:                              ;   in Loop: Header=BB39_3 Depth=1
	v_ashrrev_i32_e32 v8, 31, v22
	v_mul_lo_u32 v10, s41, v22
	v_mul_lo_u32 v11, s40, v8
	v_mad_u64_u32 v[8:9], s[60:61], s40, v22, 0
	v_add3_u32 v9, v9, v11, v10
	v_mul_lo_u32 v3, v3, s38
	v_mul_lo_u32 v12, v4, s39
	v_mad_u64_u32 v[10:11], s[60:61], v4, s38, 0
	v_add3_u32 v11, v11, v12, v3
	v_mul_lo_u32 v1, v1, s36
	v_mul_lo_u32 v4, v2, s37
	v_mad_u64_u32 v[2:3], s[60:61], v2, s36, 0
	v_lshl_add_u64 v[8:9], v[8:9], 2, s[2:3]
	v_add3_u32 v3, v3, v4, v1
	v_lshl_add_u64 v[8:9], v[10:11], 2, v[8:9]
	s_andn2_b64 vcc, exec, s[42:43]
	v_lshl_add_u64 v[2:3], v[2:3], 2, v[8:9]
	s_cbranch_vccnz .LBB39_2
; %bb.27:                               ;   in Loop: Header=BB39_3 Depth=1
	global_load_dword v1, v[2:3], off
	s_waitcnt vmcnt(0)
	v_cvt_f64_f32_e32 v[8:9], v1
	v_mul_f64 v[8:9], v[8:9], s[26:27]
	v_fmac_f64_e32 v[8:9], s[24:25], v[6:7]
	v_mov_b64_e32 v[6:7], v[8:9]
	s_branch .LBB39_2
.LBB39_28:
	s_endpgm
	.section	.rodata,"a",@progbits
	.p2align	6, 0x0
	.amdhsa_kernel naive_conv_ab_nonpacked_bwd_nhwc_float_double_float_1
		.amdhsa_group_segment_fixed_size 0
		.amdhsa_private_segment_fixed_size 0
		.amdhsa_kernarg_size 480
		.amdhsa_user_sgpr_count 2
		.amdhsa_user_sgpr_dispatch_ptr 0
		.amdhsa_user_sgpr_queue_ptr 0
		.amdhsa_user_sgpr_kernarg_segment_ptr 1
		.amdhsa_user_sgpr_dispatch_id 0
		.amdhsa_user_sgpr_kernarg_preload_length 0
		.amdhsa_user_sgpr_kernarg_preload_offset 0
		.amdhsa_user_sgpr_private_segment_size 0
		.amdhsa_uses_dynamic_stack 0
		.amdhsa_enable_private_segment 0
		.amdhsa_system_sgpr_workgroup_id_x 1
		.amdhsa_system_sgpr_workgroup_id_y 0
		.amdhsa_system_sgpr_workgroup_id_z 0
		.amdhsa_system_sgpr_workgroup_info 0
		.amdhsa_system_vgpr_workitem_id 0
		.amdhsa_next_free_vgpr 28
		.amdhsa_next_free_sgpr 78
		.amdhsa_accum_offset 28
		.amdhsa_reserve_vcc 1
		.amdhsa_float_round_mode_32 0
		.amdhsa_float_round_mode_16_64 0
		.amdhsa_float_denorm_mode_32 3
		.amdhsa_float_denorm_mode_16_64 3
		.amdhsa_dx10_clamp 1
		.amdhsa_ieee_mode 1
		.amdhsa_fp16_overflow 0
		.amdhsa_tg_split 0
		.amdhsa_exception_fp_ieee_invalid_op 0
		.amdhsa_exception_fp_denorm_src 0
		.amdhsa_exception_fp_ieee_div_zero 0
		.amdhsa_exception_fp_ieee_overflow 0
		.amdhsa_exception_fp_ieee_underflow 0
		.amdhsa_exception_fp_ieee_inexact 0
		.amdhsa_exception_int_div_zero 0
	.end_amdhsa_kernel
	.text
.Lfunc_end39:
	.size	naive_conv_ab_nonpacked_bwd_nhwc_float_double_float_1, .Lfunc_end39-naive_conv_ab_nonpacked_bwd_nhwc_float_double_float_1
                                        ; -- End function
	.section	.AMDGPU.csdata,"",@progbits
; Kernel info:
; codeLenInByte = 2008
; NumSgprs: 84
; NumVgprs: 28
; NumAgprs: 0
; TotalNumVgprs: 28
; ScratchSize: 0
; MemoryBound: 0
; FloatMode: 240
; IeeeMode: 1
; LDSByteSize: 0 bytes/workgroup (compile time only)
; SGPRBlocks: 10
; VGPRBlocks: 3
; NumSGPRsForWavesPerEU: 84
; NumVGPRsForWavesPerEU: 28
; AccumOffset: 28
; Occupancy: 8
; WaveLimiterHint : 0
; COMPUTE_PGM_RSRC2:SCRATCH_EN: 0
; COMPUTE_PGM_RSRC2:USER_SGPR: 2
; COMPUTE_PGM_RSRC2:TRAP_HANDLER: 0
; COMPUTE_PGM_RSRC2:TGID_X_EN: 1
; COMPUTE_PGM_RSRC2:TGID_Y_EN: 0
; COMPUTE_PGM_RSRC2:TGID_Z_EN: 0
; COMPUTE_PGM_RSRC2:TIDIG_COMP_CNT: 0
; COMPUTE_PGM_RSRC3_GFX90A:ACCUM_OFFSET: 6
; COMPUTE_PGM_RSRC3_GFX90A:TG_SPLIT: 0
	.text
	.protected	naive_conv_ab_packed_bwd_nhwc_half_double_half_0 ; -- Begin function naive_conv_ab_packed_bwd_nhwc_half_double_half_0
	.globl	naive_conv_ab_packed_bwd_nhwc_half_double_half_0
	.p2align	8
	.type	naive_conv_ab_packed_bwd_nhwc_half_double_half_0,@function
naive_conv_ab_packed_bwd_nhwc_half_double_half_0: ; @naive_conv_ab_packed_bwd_nhwc_half_double_half_0
; %bb.0:
	s_load_dwordx16 s[4:19], s[0:1], 0xa0
	s_abs_i32 s20, s2
	s_waitcnt lgkmcnt(0)
	s_abs_i32 s3, s4
	v_cvt_f32_u32_e32 v1, s3
	s_sub_i32 s21, 0, s3
	v_rcp_iflag_f32_e32 v1, v1
	s_nop 0
	v_mul_f32_e32 v1, 0x4f7ffffe, v1
	v_cvt_u32_f32_e32 v1, v1
	s_nop 0
	v_readfirstlane_b32 s22, v1
	s_mul_i32 s21, s21, s22
	s_mul_hi_u32 s21, s22, s21
	s_add_i32 s22, s22, s21
	s_mul_hi_u32 s21, s20, s22
	s_mul_i32 s22, s21, s3
	s_sub_i32 s20, s20, s22
	s_add_i32 s23, s21, 1
	s_sub_i32 s22, s20, s3
	s_cmp_ge_u32 s20, s3
	s_cselect_b32 s21, s23, s21
	s_cselect_b32 s20, s22, s20
	s_add_i32 s22, s21, 1
	s_cmp_ge_u32 s20, s3
	s_cselect_b32 s28, s22, s21
	s_abs_i32 s3, s6
	v_cvt_f32_u32_e32 v1, s3
	s_mul_i32 s6, s19, s8
	s_mul_i32 s33, s6, s5
	v_cmp_gt_i32_e32 vcc, s33, v0
	v_rcp_iflag_f32_e32 v1, v1
	s_nop 0
	v_mul_f32_e32 v1, 0x4f7ffffe, v1
	v_cvt_u32_f32_e32 v1, v1
	s_nop 0
	v_readfirstlane_b32 s29, v1
	s_and_saveexec_b64 s[20:21], vcc
	s_cbranch_execz .LBB40_30
; %bb.1:
	s_xor_b32 s30, s2, s4
	s_ashr_i32 s30, s30, 31
	s_sub_i32 s34, 0, s3
	s_xor_b32 s28, s28, s30
	s_mul_i32 s34, s34, s29
	s_sub_i32 s28, s28, s30
	s_mul_hi_u32 s34, s29, s34
	s_abs_i32 s31, s28
	s_add_i32 s29, s29, s34
	s_mul_hi_u32 s29, s31, s29
	s_ashr_i32 s30, s28, 31
	s_mul_i32 s28, s28, s4
	s_mul_i32 s29, s29, s3
	s_sub_i32 s28, s2, s28
	s_sub_i32 s2, s31, s29
	;; [unrolled: 1-line block ×3, first 2 shown]
	s_cmp_ge_u32 s2, s3
	s_cselect_b32 s2, s29, s2
	s_sub_i32 s29, s2, s3
	s_cmp_ge_u32 s2, s3
	s_cselect_b32 s2, s29, s2
	s_xor_b32 s2, s2, s30
	s_sub_i32 s40, s2, s30
	s_ashr_i32 s41, s40, 31
	s_mul_hi_i32 s2, s40, s4
	s_mul_i32 s3, s40, s4
	s_ashr_i32 s56, s6, 31
	s_ashr_i32 s4, s28, 31
	s_add_u32 s29, s3, s28
	s_load_dwordx8 s[20:27], s[0:1], 0x0
	s_addc_u32 s2, s2, s4
	s_mul_hi_i32 s3, s6, s5
	s_mul_i32 s2, s33, s2
	s_mul_hi_u32 s4, s33, s29
	s_add_i32 s2, s4, s2
	s_mul_i32 s3, s3, s29
	s_add_i32 s3, s2, s3
	s_mul_i32 s2, s33, s29
	s_lshl_b64 s[2:3], s[2:3], 1
	s_mul_i32 s19, s19, s7
	s_waitcnt lgkmcnt(0)
	s_add_u32 s2, s20, s2
	s_addc_u32 s3, s21, s3
	s_ashr_i32 s58, s19, 31
	s_cmp_lt_i32 s17, 1
	s_cselect_b64 s[4:5], -1, 0
	s_add_i32 s15, s28, s15
	s_cmp_gt_i32 s18, 0
	s_cselect_b64 s[20:21], -1, 0
	s_cmp_gt_i32 s7, 0
	s_cselect_b64 s[28:29], -1, 0
	s_abs_i32 s59, s6
	v_cvt_f32_u32_e32 v1, s59
	s_abs_i32 s60, s8
	v_cvt_f32_u32_e32 v2, s60
	v_cmp_neq_f64_e64 s[36:37], s[24:25], 1.0
	v_rcp_iflag_f32_e32 v1, v1
	v_cmp_neq_f64_e64 s[38:39], s[26:27], 0
	v_rcp_iflag_f32_e32 v2, v2
	s_or_b64 s[36:37], s[36:37], s[38:39]
	s_load_dwordx2 s[38:39], s[0:1], 0x20
	s_nop 0
	s_load_dword s0, s[0:1], 0xec
	v_mul_f32_e32 v1, 0x4f7ffffe, v1
	v_cvt_u32_f32_e32 v1, v1
	v_mul_f32_e32 v2, 0x4f7ffffe, v2
	s_abs_i32 s62, s11
	v_cvt_u32_f32_e32 v2, v2
	s_waitcnt lgkmcnt(0)
	s_and_b32 s61, s0, 0xffff
	s_sub_i32 s0, 0, s59
	v_cvt_f32_u32_e32 v4, s62
	v_mul_lo_u32 v3, s0, v1
	v_mul_hi_u32 v3, v1, v3
	s_sub_i32 s0, 0, s60
	v_add_u32_e32 v18, v1, v3
	v_mul_lo_u32 v3, s0, v2
	v_rcp_iflag_f32_e32 v1, v4
	v_mul_hi_u32 v3, v2, v3
	s_abs_i32 s63, s12
	v_add_u32_e32 v19, v2, v3
	v_cvt_f32_u32_e32 v2, s63
	v_mul_f32_e32 v1, 0x4f7ffffe, v1
	v_cvt_u32_f32_e32 v1, v1
	s_sub_i32 s0, 0, s62
	v_rcp_iflag_f32_e32 v2, v2
	s_ashr_i32 s43, s7, 31
	v_readfirstlane_b32 s1, v1
	s_mul_i32 s0, s0, s1
	v_mul_f32_e32 v1, 0x4f7ffffe, v2
	v_cvt_u32_f32_e32 v1, v1
	s_mul_hi_u32 s0, s1, s0
	s_mov_b32 s42, s7
	s_add_i32 s64, s1, s0
	s_sub_i32 s0, 0, s63
	s_mov_b32 s57, s9
	v_mul_lo_u32 v2, s0, v1
	s_lshl_b64 s[0:1], s[42:43], 1
	s_mul_hi_i32 s42, s10, s9
	s_mul_i32 s9, s10, s9
	s_mul_i32 s41, s9, s41
	s_mul_hi_u32 s44, s9, s40
	s_ashr_i32 s45, s17, 31
	s_add_i32 s41, s44, s41
	s_mul_i32 s42, s42, s40
	s_mul_i32 s44, s18, s8
	s_add_i32 s41, s41, s42
	s_mul_i32 s40, s9, s40
	s_mul_i32 s9, s44, s45
	s_mul_hi_u32 s42, s44, s17
	s_mul_hi_i32 s45, s18, s8
	s_add_i32 s9, s42, s9
	s_mul_i32 s42, s45, s17
	s_mul_i32 s48, s44, s17
	s_add_i32 s49, s9, s42
	s_mul_i32 s9, s48, s43
	s_mul_hi_u32 s42, s48, s7
	s_add_i32 s9, s42, s9
	s_mul_i32 s42, s49, s7
	s_ashr_i32 s31, s8, 31
	s_mov_b32 s30, s8
	v_mul_hi_u32 v2, v1, v2
	s_add_i32 s43, s9, s42
	s_mul_i32 s42, s48, s7
	s_mov_b64 s[34:35], 0
	s_ashr_i32 s11, s11, 31
	s_ashr_i32 s12, s12, 31
	v_add_u32_e32 v20, v1, v2
	s_lshl_b64 s[40:41], s[40:41], 1
	s_lshl_b64 s[42:43], s[42:43], 1
	s_lshl_b64 s[44:45], s[44:45], 1
	s_lshl_b64 s[46:47], s[30:31], 1
	s_lshl_b64 s[48:49], s[48:49], 1
	s_branch .LBB40_3
.LBB40_2:                               ;   in Loop: Header=BB40_3 Depth=1
	v_add_u32_e32 v0, s61, v0
	v_cmp_le_i32_e32 vcc, s33, v0
	s_or_b64 s[34:35], vcc, s[34:35]
	s_andn2_b64 exec, exec, s[34:35]
	s_cbranch_execz .LBB40_30
.LBB40_3:                               ; =>This Loop Header: Depth=1
                                        ;     Child Loop BB40_8 Depth 2
                                        ;       Child Loop BB40_17 Depth 3
                                        ;         Child Loop BB40_24 Depth 4
	v_sub_u32_e32 v2, 0, v0
	v_max_i32_e32 v2, v0, v2
	v_mul_hi_u32 v3, v2, v18
	v_mul_lo_u32 v4, v3, s59
	v_sub_u32_e32 v2, v2, v4
	v_add_u32_e32 v4, 1, v3
	v_cmp_le_u32_e32 vcc, s59, v2
	v_ashrrev_i32_e32 v1, 31, v0
	v_xor_b32_e32 v1, s56, v1
	v_cndmask_b32_e32 v3, v3, v4, vcc
	v_subrev_u32_e32 v4, s59, v2
	v_cndmask_b32_e32 v2, v2, v4, vcc
	v_add_u32_e32 v4, 1, v3
	v_cmp_le_u32_e32 vcc, s59, v2
	s_nop 1
	v_cndmask_b32_e32 v2, v3, v4, vcc
	v_xor_b32_e32 v2, v2, v1
	v_sub_u32_e32 v3, v2, v1
	v_mul_lo_u32 v1, v3, s6
	v_sub_u32_e32 v10, v0, v1
	v_sub_u32_e32 v2, 0, v10
	v_max_i32_e32 v2, v10, v2
	v_mul_hi_u32 v4, v2, v19
	v_mul_lo_u32 v5, v4, s60
	v_sub_u32_e32 v2, v2, v5
	v_add_u32_e32 v5, 1, v4
	v_cmp_le_u32_e32 vcc, s60, v2
	v_ashrrev_i32_e32 v11, 31, v10
	v_xor_b32_e32 v1, s31, v11
	v_cndmask_b32_e32 v4, v4, v5, vcc
	v_subrev_u32_e32 v5, s60, v2
	v_cndmask_b32_e32 v2, v2, v5, vcc
	v_add_u32_e32 v5, 1, v4
	v_cmp_le_u32_e32 vcc, s60, v2
	s_nop 1
	v_cndmask_b32_e32 v2, v4, v5, vcc
	v_xor_b32_e32 v2, v2, v1
	v_sub_u32_e32 v2, v2, v1
	v_mul_lo_u32 v12, v2, s8
	v_sub_u32_e32 v4, v10, v12
	s_andn2_b64 vcc, exec, s[4:5]
	v_ashrrev_i32_e32 v1, 31, v2
	v_ashrrev_i32_e32 v5, 31, v4
	s_cbranch_vccnz .LBB40_5
; %bb.4:                                ;   in Loop: Header=BB40_3 Depth=1
	s_mov_b64 s[52:53], 0
	v_mov_b64_e32 v[6:7], s[52:53]
	s_cbranch_execz .LBB40_6
	s_branch .LBB40_26
.LBB40_5:                               ;   in Loop: Header=BB40_3 Depth=1
                                        ; implicit-def: $sgpr52_sgpr53
	v_mov_b64_e32 v[6:7], s[52:53]
.LBB40_6:                               ;   in Loop: Header=BB40_3 Depth=1
	v_mov_b64_e32 v[6:7], s[38:39]
	v_mad_u64_u32 v[8:9], s[50:51], s0, v2, v[6:7]
	v_mul_lo_u32 v6, s1, v2
	v_mul_lo_u32 v7, s0, v1
	v_add3_u32 v9, v6, v9, v7
	v_lshlrev_b64 v[6:7], 1, v[10:11]
	v_mul_lo_u32 v10, s43, v2
	v_mul_lo_u32 v11, s42, v1
	v_mad_u64_u32 v[6:7], s[50:51], s42, v2, v[6:7]
	v_ashrrev_i32_e32 v13, 31, v12
	v_add3_u32 v7, v10, v7, v11
	v_lshlrev_b64 v[10:11], 1, v[12:13]
	v_sub_co_u32_e32 v6, vcc, v6, v10
	v_add_u32_e32 v21, s16, v3
	s_nop 0
	v_subb_co_u32_e32 v7, vcc, v7, v11, vcc
	v_lshl_add_u64 v[10:11], s[22:23], 0, v[6:7]
	s_mov_b32 s9, 0
	v_mov_b64_e32 v[6:7], 0
	s_branch .LBB40_8
.LBB40_7:                               ;   in Loop: Header=BB40_8 Depth=2
	s_add_i32 s9, s9, 1
	s_cmp_eq_u32 s9, s17
	v_lshl_add_u64 v[10:11], v[10:11], 0, s[44:45]
	s_cbranch_scc1 .LBB40_26
.LBB40_8:                               ;   Parent Loop BB40_3 Depth=1
                                        ; =>  This Loop Header: Depth=2
                                        ;       Child Loop BB40_17 Depth 3
                                        ;         Child Loop BB40_24 Depth 4
	s_mul_i32 s50, s9, s13
	s_sub_i32 s68, s15, s50
	s_cmp_gt_i32 s68, -1
	s_cbranch_scc0 .LBB40_10
; %bb.9:                                ;   in Loop: Header=BB40_8 Depth=2
	s_abs_i32 s50, s68
	s_mul_hi_u32 s55, s50, s64
	s_mul_i32 s51, s55, s62
	s_sub_i32 s65, s50, s51
	s_ashr_i32 s54, s68, 31
	s_sub_i32 s66, s65, s62
	s_cmp_ge_u32 s65, s62
	s_cselect_b32 s50, s66, s65
	s_sub_i32 s51, s50, s62
	s_cmp_ge_u32 s50, s62
	s_cselect_b32 s50, s51, s50
	s_xor_b32 s50, s50, s54
	s_sub_i32 s50, s50, s54
	s_cmp_lg_u32 s50, 0
	s_mov_b32 s67, 1
	s_cselect_b64 s[50:51], -1, 0
	s_cbranch_execz .LBB40_11
	s_branch .LBB40_12
.LBB40_10:                              ;   in Loop: Header=BB40_8 Depth=2
	s_mov_b64 s[50:51], 0
                                        ; implicit-def: $sgpr67
                                        ; implicit-def: $sgpr54
                                        ; implicit-def: $sgpr55
                                        ; implicit-def: $sgpr65
                                        ; implicit-def: $sgpr66
.LBB40_11:                              ;   in Loop: Header=BB40_8 Depth=2
	s_abs_i32 s50, s68
	s_mul_hi_u32 s55, s50, s64
	s_mul_i32 s51, s55, s62
	s_sub_i32 s65, s50, s51
	s_ashr_i32 s54, s68, 31
	s_sub_i32 s66, s65, s62
	s_mov_b64 s[50:51], -1
                                        ; implicit-def: $sgpr67
.LBB40_12:                              ;   in Loop: Header=BB40_8 Depth=2
	s_andn2_b64 vcc, exec, s[50:51]
	s_cbranch_vccz .LBB40_14
; %bb.13:                               ;   in Loop: Header=BB40_8 Depth=2
	s_andn2_b64 vcc, exec, s[20:21]
	s_cbranch_vccz .LBB40_15
	s_branch .LBB40_7
.LBB40_14:                              ;   in Loop: Header=BB40_8 Depth=2
	s_mov_b32 s67, 0
	s_andn2_b64 vcc, exec, s[20:21]
	s_cbranch_vccnz .LBB40_7
.LBB40_15:                              ;   in Loop: Header=BB40_8 Depth=2
	s_xor_b32 s50, s54, s11
	s_add_i32 s51, s55, 1
	s_cmp_ge_u32 s65, s62
	s_cselect_b32 s51, s51, s55
	s_cselect_b32 s52, s66, s65
	s_add_i32 s53, s51, 1
	s_cmp_ge_u32 s52, s62
	s_cselect_b32 s51, s53, s51
	s_xor_b32 s51, s51, s50
	s_sub_i32 s50, s51, s50
	s_cmp_lt_i32 s50, s57
	s_mov_b32 s65, 0
	s_cselect_b32 s66, s67, 0
	s_mul_hi_i32 s51, s50, s10
	s_mul_i32 s50, s50, s10
	v_mov_b64_e32 v[12:13], v[10:11]
	s_branch .LBB40_17
.LBB40_16:                              ;   in Loop: Header=BB40_17 Depth=3
	s_add_i32 s65, s65, 1
	s_cmp_eq_u32 s65, s18
	v_lshl_add_u64 v[12:13], v[12:13], 0, s[46:47]
	s_cbranch_scc1 .LBB40_7
.LBB40_17:                              ;   Parent Loop BB40_3 Depth=1
                                        ;     Parent Loop BB40_8 Depth=2
                                        ; =>    This Loop Header: Depth=3
                                        ;         Child Loop BB40_24 Depth 4
	s_mul_i32 s52, s65, s14
	v_subrev_u32_e32 v14, s52, v21
	v_sub_u32_e32 v16, 0, v14
	v_cmp_gt_i32_e64 s[52:53], 0, v14
	v_cmp_lt_i32_e32 vcc, -1, v14
	v_ashrrev_i32_e32 v15, 31, v14
	v_max_i32_e32 v14, v14, v16
                                        ; implicit-def: $sgpr67
	s_and_saveexec_b64 s[54:55], vcc
	s_cbranch_execnz .LBB40_20
; %bb.18:                               ;   in Loop: Header=BB40_17 Depth=3
	s_or_b64 exec, exec, s[54:55]
	v_mov_b32_e32 v16, s67
	s_and_saveexec_b64 s[54:55], s[52:53]
	s_cbranch_execnz .LBB40_21
.LBB40_19:                              ;   in Loop: Header=BB40_17 Depth=3
	s_or_b64 exec, exec, s[54:55]
	s_andn2_b64 vcc, exec, s[28:29]
	s_cbranch_vccz .LBB40_22
	s_branch .LBB40_16
.LBB40_20:                              ;   in Loop: Header=BB40_17 Depth=3
	v_mul_hi_u32 v16, v14, v20
	v_mul_lo_u32 v16, v16, s63
	v_sub_u32_e32 v16, v14, v16
	v_subrev_u32_e32 v17, s63, v16
	v_cmp_le_u32_e32 vcc, s63, v16
	s_andn2_b64 s[52:53], s[52:53], exec
	s_mov_b32 s67, 1
	v_cndmask_b32_e32 v16, v16, v17, vcc
	v_subrev_u32_e32 v17, s63, v16
	v_cmp_le_u32_e32 vcc, s63, v16
	s_nop 1
	v_cndmask_b32_e32 v16, v16, v17, vcc
	v_xor_b32_e32 v16, v16, v15
	v_sub_u32_e32 v16, v16, v15
	v_cmp_ne_u32_e32 vcc, 0, v16
	s_and_b64 s[68:69], vcc, exec
	s_or_b64 s[52:53], s[52:53], s[68:69]
	s_or_b64 exec, exec, s[54:55]
	v_mov_b32_e32 v16, s67
	s_and_saveexec_b64 s[54:55], s[52:53]
	s_cbranch_execz .LBB40_19
.LBB40_21:                              ;   in Loop: Header=BB40_17 Depth=3
	v_mov_b32_e32 v16, 0
	s_or_b64 exec, exec, s[54:55]
	s_andn2_b64 vcc, exec, s[28:29]
	s_cbranch_vccnz .LBB40_16
.LBB40_22:                              ;   in Loop: Header=BB40_17 Depth=3
	v_mul_hi_u32 v17, v14, v20
	v_mul_lo_u32 v22, v17, s63
	v_sub_u32_e32 v14, v14, v22
	v_add_u32_e32 v22, 1, v17
	v_cmp_le_u32_e32 vcc, s63, v14
	v_xor_b32_e32 v15, s12, v15
	s_mov_b32 s54, s7
	v_cndmask_b32_e32 v17, v17, v22, vcc
	v_subrev_u32_e32 v22, s63, v14
	v_cndmask_b32_e32 v14, v14, v22, vcc
	v_add_u32_e32 v22, 1, v17
	v_cmp_le_u32_e32 vcc, s63, v14
	s_nop 1
	v_cndmask_b32_e32 v14, v17, v22, vcc
	v_xor_b32_e32 v14, v14, v15
	v_sub_u32_e32 v14, v14, v15
	v_cmp_gt_i32_e32 vcc, s10, v14
	s_nop 1
	v_cndmask_b32_e32 v15, 0, v16, vcc
	v_and_b32_e32 v15, s66, v15
	v_cmp_ne_u32_e32 vcc, 0, v15
	v_ashrrev_i32_e32 v15, 31, v14
	v_lshl_add_u64 v[14:15], s[50:51], 0, v[14:15]
	v_lshl_add_u64 v[14:15], v[14:15], 1, s[40:41]
	v_mul_lo_u32 v16, s19, v15
	v_mul_lo_u32 v17, s58, v14
	v_mad_u64_u32 v[14:15], s[52:53], s19, v14, v[8:9]
	v_add3_u32 v15, v17, v15, v16
	v_mov_b64_e32 v[16:17], v[12:13]
	s_branch .LBB40_24
.LBB40_23:                              ;   in Loop: Header=BB40_24 Depth=4
	s_or_b64 exec, exec, s[52:53]
	s_add_i32 s54, s54, -1
	v_lshl_add_u64 v[14:15], v[14:15], 0, 2
	s_cmp_eq_u32 s54, 0
	v_lshl_add_u64 v[16:17], v[16:17], 0, s[48:49]
	s_cbranch_scc1 .LBB40_16
.LBB40_24:                              ;   Parent Loop BB40_3 Depth=1
                                        ;     Parent Loop BB40_8 Depth=2
                                        ;       Parent Loop BB40_17 Depth=3
                                        ; =>      This Inner Loop Header: Depth=4
	s_and_saveexec_b64 s[52:53], vcc
	s_cbranch_execz .LBB40_23
; %bb.25:                               ;   in Loop: Header=BB40_24 Depth=4
	global_load_ushort v22, v[14:15], off
	global_load_ushort v23, v[16:17], off
	s_waitcnt vmcnt(1)
	v_cvt_f32_f16_e32 v22, v22
	s_waitcnt vmcnt(0)
	v_cvt_f32_f16_e32 v24, v23
	v_cvt_f64_f32_e32 v[22:23], v22
	v_cvt_f64_f32_e32 v[24:25], v24
	v_fmac_f64_e32 v[6:7], v[22:23], v[24:25]
	s_branch .LBB40_23
.LBB40_26:                              ;   in Loop: Header=BB40_3 Depth=1
	v_mad_i64_i32 v[4:5], s[50:51], v3, s6, v[4:5]
	v_mad_u64_u32 v[4:5], s[50:51], v2, s30, v[4:5]
	v_mul_lo_u32 v2, v2, s31
	v_mul_lo_u32 v1, v1, s30
	v_add3_u32 v5, v1, v5, v2
	s_mov_b64 s[50:51], -1
	s_and_b64 vcc, exec, s[36:37]
	v_lshl_add_u64 v[2:3], v[4:5], 1, s[2:3]
	s_cbranch_vccz .LBB40_28
; %bb.27:                               ;   in Loop: Header=BB40_3 Depth=1
	global_load_ushort v1, v[2:3], off
	s_mov_b64 s[50:51], 0
	s_waitcnt vmcnt(0)
	v_cvt_f32_f16_e32 v1, v1
	v_cvt_f64_f32_e32 v[4:5], v1
	v_mul_f64 v[4:5], v[4:5], s[26:27]
	v_fmac_f64_e32 v[4:5], s[24:25], v[6:7]
	v_cvt_f32_f64_e32 v1, v[4:5]
	v_cvt_f16_f32_e32 v1, v1
	global_store_short v[2:3], v1, off
.LBB40_28:                              ;   in Loop: Header=BB40_3 Depth=1
	s_andn2_b64 vcc, exec, s[50:51]
	s_cbranch_vccnz .LBB40_2
; %bb.29:                               ;   in Loop: Header=BB40_3 Depth=1
	v_cvt_f32_f64_e32 v1, v[6:7]
	v_cvt_f16_f32_e32 v1, v1
	global_store_short v[2:3], v1, off
	s_branch .LBB40_2
.LBB40_30:
	s_endpgm
	.section	.rodata,"a",@progbits
	.p2align	6, 0x0
	.amdhsa_kernel naive_conv_ab_packed_bwd_nhwc_half_double_half_0
		.amdhsa_group_segment_fixed_size 0
		.amdhsa_private_segment_fixed_size 0
		.amdhsa_kernarg_size 480
		.amdhsa_user_sgpr_count 2
		.amdhsa_user_sgpr_dispatch_ptr 0
		.amdhsa_user_sgpr_queue_ptr 0
		.amdhsa_user_sgpr_kernarg_segment_ptr 1
		.amdhsa_user_sgpr_dispatch_id 0
		.amdhsa_user_sgpr_kernarg_preload_length 0
		.amdhsa_user_sgpr_kernarg_preload_offset 0
		.amdhsa_user_sgpr_private_segment_size 0
		.amdhsa_uses_dynamic_stack 0
		.amdhsa_enable_private_segment 0
		.amdhsa_system_sgpr_workgroup_id_x 1
		.amdhsa_system_sgpr_workgroup_id_y 0
		.amdhsa_system_sgpr_workgroup_id_z 0
		.amdhsa_system_sgpr_workgroup_info 0
		.amdhsa_system_vgpr_workitem_id 0
		.amdhsa_next_free_vgpr 26
		.amdhsa_next_free_sgpr 70
		.amdhsa_accum_offset 28
		.amdhsa_reserve_vcc 1
		.amdhsa_float_round_mode_32 0
		.amdhsa_float_round_mode_16_64 0
		.amdhsa_float_denorm_mode_32 3
		.amdhsa_float_denorm_mode_16_64 3
		.amdhsa_dx10_clamp 1
		.amdhsa_ieee_mode 1
		.amdhsa_fp16_overflow 0
		.amdhsa_tg_split 0
		.amdhsa_exception_fp_ieee_invalid_op 0
		.amdhsa_exception_fp_denorm_src 0
		.amdhsa_exception_fp_ieee_div_zero 0
		.amdhsa_exception_fp_ieee_overflow 0
		.amdhsa_exception_fp_ieee_underflow 0
		.amdhsa_exception_fp_ieee_inexact 0
		.amdhsa_exception_int_div_zero 0
	.end_amdhsa_kernel
	.text
.Lfunc_end40:
	.size	naive_conv_ab_packed_bwd_nhwc_half_double_half_0, .Lfunc_end40-naive_conv_ab_packed_bwd_nhwc_half_double_half_0
                                        ; -- End function
	.section	.AMDGPU.csdata,"",@progbits
; Kernel info:
; codeLenInByte = 1956
; NumSgprs: 76
; NumVgprs: 26
; NumAgprs: 0
; TotalNumVgprs: 26
; ScratchSize: 0
; MemoryBound: 0
; FloatMode: 240
; IeeeMode: 1
; LDSByteSize: 0 bytes/workgroup (compile time only)
; SGPRBlocks: 9
; VGPRBlocks: 3
; NumSGPRsForWavesPerEU: 76
; NumVGPRsForWavesPerEU: 26
; AccumOffset: 28
; Occupancy: 8
; WaveLimiterHint : 0
; COMPUTE_PGM_RSRC2:SCRATCH_EN: 0
; COMPUTE_PGM_RSRC2:USER_SGPR: 2
; COMPUTE_PGM_RSRC2:TRAP_HANDLER: 0
; COMPUTE_PGM_RSRC2:TGID_X_EN: 1
; COMPUTE_PGM_RSRC2:TGID_Y_EN: 0
; COMPUTE_PGM_RSRC2:TGID_Z_EN: 0
; COMPUTE_PGM_RSRC2:TIDIG_COMP_CNT: 0
; COMPUTE_PGM_RSRC3_GFX90A:ACCUM_OFFSET: 6
; COMPUTE_PGM_RSRC3_GFX90A:TG_SPLIT: 0
	.text
	.protected	naive_conv_ab_nonpacked_bwd_nhwc_half_double_half_0 ; -- Begin function naive_conv_ab_nonpacked_bwd_nhwc_half_double_half_0
	.globl	naive_conv_ab_nonpacked_bwd_nhwc_half_double_half_0
	.p2align	8
	.type	naive_conv_ab_nonpacked_bwd_nhwc_half_double_half_0,@function
naive_conv_ab_nonpacked_bwd_nhwc_half_double_half_0: ; @naive_conv_ab_nonpacked_bwd_nhwc_half_double_half_0
; %bb.0:
	s_load_dwordx16 s[4:19], s[0:1], 0xa0
	s_abs_i32 s20, s2
	s_waitcnt lgkmcnt(0)
	s_abs_i32 s3, s4
	v_cvt_f32_u32_e32 v1, s3
	s_sub_i32 s21, 0, s3
	v_rcp_iflag_f32_e32 v1, v1
	s_nop 0
	v_mul_f32_e32 v1, 0x4f7ffffe, v1
	v_cvt_u32_f32_e32 v1, v1
	s_nop 0
	v_readfirstlane_b32 s22, v1
	s_mul_i32 s21, s21, s22
	s_mul_hi_u32 s21, s22, s21
	s_add_i32 s22, s22, s21
	s_mul_hi_u32 s21, s20, s22
	s_mul_i32 s22, s21, s3
	s_sub_i32 s20, s20, s22
	s_add_i32 s23, s21, 1
	s_sub_i32 s22, s20, s3
	s_cmp_ge_u32 s20, s3
	s_cselect_b32 s21, s23, s21
	s_cselect_b32 s20, s22, s20
	s_add_i32 s22, s21, 1
	s_cmp_ge_u32 s20, s3
	s_cselect_b32 s28, s22, s21
	s_abs_i32 s3, s6
	v_cvt_f32_u32_e32 v1, s3
	s_mul_i32 s6, s19, s8
	s_mul_i32 s19, s6, s5
	v_cmp_gt_i32_e32 vcc, s19, v0
	v_rcp_iflag_f32_e32 v1, v1
	s_nop 0
	v_mul_f32_e32 v1, 0x4f7ffffe, v1
	v_cvt_u32_f32_e32 v1, v1
	s_nop 0
	v_readfirstlane_b32 s5, v1
	s_and_saveexec_b64 s[20:21], vcc
	s_cbranch_execz .LBB41_30
; %bb.1:
	s_xor_b32 s29, s2, s4
	s_ashr_i32 s29, s29, 31
	s_xor_b32 s28, s28, s29
	s_sub_i32 s33, s28, s29
	s_sub_i32 s28, 0, s3
	s_mul_i32 s28, s28, s5
	s_mul_hi_u32 s28, s5, s28
	s_abs_i32 s35, s33
	s_add_i32 s5, s5, s28
	s_mul_hi_u32 s5, s35, s5
	s_ashr_i32 s34, s33, 31
	s_mul_i32 s33, s33, s4
	s_mul_i32 s5, s5, s3
	s_sub_i32 s33, s2, s33
	s_sub_i32 s2, s35, s5
	;; [unrolled: 1-line block ×3, first 2 shown]
	s_cmp_ge_u32 s2, s3
	s_cselect_b32 s2, s4, s2
	s_sub_i32 s4, s2, s3
	s_cmp_ge_u32 s2, s3
	s_cselect_b32 s2, s4, s2
	s_load_dwordx8 s[20:27], s[0:1], 0x0
	s_load_dwordx2 s[52:53], s[0:1], 0x20
	s_load_dwordx16 s[36:51], s[0:1], 0x28
	s_load_dwordx2 s[54:55], s[0:1], 0x98
	s_load_dwordx4 s[28:31], s[0:1], 0x88
	s_xor_b32 s2, s2, s34
	s_sub_i32 s56, s2, s34
	s_ashr_i32 s57, s56, 31
	s_waitcnt lgkmcnt(0)
	s_mul_i32 s2, s44, s57
	s_mul_hi_u32 s3, s44, s56
	s_ashr_i32 s4, s33, 31
	s_add_i32 s2, s3, s2
	s_mul_i32 s3, s45, s56
	s_mul_i32 s4, s42, s4
	s_mul_hi_u32 s5, s42, s33
	s_add_i32 s3, s2, s3
	s_mul_i32 s2, s44, s56
	s_add_i32 s4, s5, s4
	s_mul_i32 s5, s43, s33
	s_add_i32 s5, s4, s5
	s_lshl_b64 s[2:3], s[2:3], 1
	s_mul_i32 s4, s42, s33
	s_add_u32 s20, s20, s2
	s_addc_u32 s21, s21, s3
	s_lshl_b64 s[2:3], s[4:5], 1
	s_add_u32 s2, s20, s2
	s_addc_u32 s3, s21, s3
	s_cmp_lt_i32 s17, 1
	s_cselect_b64 s[4:5], -1, 0
	s_add_i32 s15, s33, s15
	s_cmp_gt_i32 s18, 0
	s_cselect_b64 s[20:21], -1, 0
	s_cmp_gt_i32 s7, 0
	s_cselect_b64 s[34:35], -1, 0
	s_abs_i32 s33, s11
	v_cvt_f32_u32_e32 v1, s33
	v_cmp_neq_f64_e64 s[42:43], s[24:25], 1.0
	v_cmp_neq_f64_e64 s[44:45], s[26:27], 0
	s_abs_i32 s66, s6
	v_rcp_iflag_f32_e32 v1, v1
	s_or_b64 s[42:43], s[42:43], s[44:45]
	s_abs_i32 s68, s8
	s_ashr_i32 s70, s12, 31
	v_mul_f32_e32 v1, 0x4f7ffffe, v1
	v_cvt_u32_f32_e32 v1, v1
	s_abs_i32 s12, s12
	v_cvt_f32_u32_e32 v3, s68
	v_cvt_f32_u32_e32 v5, s12
	v_readfirstlane_b32 s45, v1
	v_cvt_f32_u32_e32 v1, s66
	s_load_dword s58, s[0:1], 0xec
	v_rcp_iflag_f32_e32 v3, v3
	s_sub_i32 s44, 0, s33
	v_rcp_iflag_f32_e32 v1, v1
	v_rcp_iflag_f32_e32 v5, v5
	s_mul_i32 s44, s44, s45
	s_mul_hi_u32 s44, s45, s44
	v_mul_f32_e32 v1, 0x4f7ffffe, v1
	s_add_i32 s69, s45, s44
	s_mul_i32 s44, s54, s57
	s_mul_hi_u32 s45, s54, s56
	v_cvt_u32_f32_e32 v1, v1
	v_mul_f32_e32 v3, 0x4f7ffffe, v3
	s_waitcnt lgkmcnt(0)
	s_and_b32 s64, s58, 0xffff
	s_add_i32 s45, s45, s44
	s_mul_i32 s55, s55, s56
	s_mul_i32 s44, s54, s56
	s_load_dwordx8 s[56:63], s[0:1], 0x68
	v_cvt_u32_f32_e32 v3, v3
	v_mul_f32_e32 v5, 0x4f7ffffe, v5
	v_cvt_u32_f32_e32 v6, v5
	s_sub_i32 s71, 0, s66
	s_sub_i32 s72, 0, s68
	v_mul_lo_u32 v2, s71, v1
	s_add_i32 s45, s45, s55
	s_sub_i32 s73, 0, s12
	v_mul_lo_u32 v4, s72, v3
	v_mul_hi_u32 v2, v1, v2
	s_ashr_i32 s65, s6, 31
	s_ashr_i32 s67, s8, 31
	;; [unrolled: 1-line block ×3, first 2 shown]
	s_lshl_b64 s[54:55], s[44:45], 1
	s_lshl_b64 s[44:45], s[46:47], 1
	s_waitcnt lgkmcnt(0)
	s_lshl_b64 s[0:1], s[58:59], 1
	s_lshl_b64 s[46:47], s[50:51], 1
	;; [unrolled: 1-line block ×4, first 2 shown]
	v_mul_lo_u32 v7, s73, v6
	v_add_u32_e32 v5, v1, v2
	v_mul_hi_u32 v1, v3, v4
	s_add_u32 s52, s52, s54
	v_add_u32_e32 v20, v3, v1
	v_mul_hi_u32 v1, v6, v7
	s_addc_u32 s53, s53, s55
	s_lshl_b64 s[54:55], s[62:63], 1
	s_lshl_b64 s[56:57], s[60:61], 1
	s_lshl_b64 s[30:31], s[30:31], 1
	s_lshl_b64 s[28:29], s[28:29], 1
	v_add_u32_e32 v21, v6, v1
	s_mov_b64 s[58:59], 0
	s_branch .LBB41_3
.LBB41_2:                               ;   in Loop: Header=BB41_3 Depth=1
	v_add_u32_e32 v0, s64, v0
	v_cmp_le_i32_e32 vcc, s19, v0
	s_or_b64 s[58:59], vcc, s[58:59]
	s_andn2_b64 exec, exec, s[58:59]
	s_cbranch_execz .LBB41_30
.LBB41_3:                               ; =>This Loop Header: Depth=1
                                        ;     Child Loop BB41_8 Depth 2
                                        ;       Child Loop BB41_17 Depth 3
                                        ;         Child Loop BB41_24 Depth 4
	v_sub_u32_e32 v2, 0, v0
	v_max_i32_e32 v2, v0, v2
	v_mul_hi_u32 v3, v2, v5
	v_mul_lo_u32 v4, v3, s66
	v_sub_u32_e32 v2, v2, v4
	v_add_u32_e32 v4, 1, v3
	v_cmp_le_u32_e32 vcc, s66, v2
	v_ashrrev_i32_e32 v1, 31, v0
	v_xor_b32_e32 v1, s65, v1
	v_cndmask_b32_e32 v3, v3, v4, vcc
	v_subrev_u32_e32 v4, s66, v2
	v_cndmask_b32_e32 v2, v2, v4, vcc
	v_add_u32_e32 v4, 1, v3
	v_cmp_le_u32_e32 vcc, s66, v2
	s_nop 1
	v_cndmask_b32_e32 v2, v3, v4, vcc
	v_xor_b32_e32 v2, v2, v1
	v_sub_u32_e32 v22, v2, v1
	v_mul_lo_u32 v1, v22, s6
	v_sub_u32_e32 v8, v0, v1
	v_sub_u32_e32 v2, 0, v8
	v_max_i32_e32 v2, v8, v2
	v_mul_hi_u32 v3, v2, v20
	v_mul_lo_u32 v4, v3, s68
	v_sub_u32_e32 v2, v2, v4
	v_add_u32_e32 v4, 1, v3
	v_cmp_le_u32_e32 vcc, s68, v2
	v_ashrrev_i32_e32 v9, 31, v8
	v_xor_b32_e32 v1, s67, v9
	v_cndmask_b32_e32 v3, v3, v4, vcc
	v_subrev_u32_e32 v4, s68, v2
	v_cndmask_b32_e32 v2, v2, v4, vcc
	v_add_u32_e32 v4, 1, v3
	v_cmp_le_u32_e32 vcc, s68, v2
	s_nop 1
	v_cndmask_b32_e32 v2, v3, v4, vcc
	v_xor_b32_e32 v2, v2, v1
	v_sub_u32_e32 v2, v2, v1
	v_mul_lo_u32 v10, v2, s8
	v_sub_u32_e32 v4, v8, v10
	s_andn2_b64 vcc, exec, s[4:5]
	v_ashrrev_i32_e32 v1, 31, v2
	v_ashrrev_i32_e32 v3, 31, v4
	s_cbranch_vccnz .LBB41_5
; %bb.4:                                ;   in Loop: Header=BB41_3 Depth=1
	s_mov_b64 s[62:63], 0
	v_mov_b64_e32 v[6:7], s[62:63]
	s_cbranch_execz .LBB41_6
	s_branch .LBB41_26
.LBB41_5:                               ;   in Loop: Header=BB41_3 Depth=1
                                        ; implicit-def: $sgpr62_sgpr63
	v_mov_b64_e32 v[6:7], s[62:63]
.LBB41_6:                               ;   in Loop: Header=BB41_3 Depth=1
	v_ashrrev_i32_e32 v6, 31, v10
	v_sub_co_u32_e32 v8, vcc, v8, v10
	v_mul_lo_u32 v10, s1, v2
	s_nop 0
	v_subb_co_u32_e32 v9, vcc, v9, v6, vcc
	v_mul_lo_u32 v11, s0, v1
	v_mad_u64_u32 v[6:7], s[60:61], s0, v2, 0
	v_add3_u32 v7, v7, v11, v10
	v_mad_u64_u32 v[6:7], s[60:61], s44, v8, v[6:7]
	v_mul_lo_u32 v9, s44, v9
	v_mul_lo_u32 v8, s45, v8
	v_add3_u32 v7, v8, v7, v9
	v_lshl_add_u64 v[8:9], s[22:23], 0, v[6:7]
	v_mov_b64_e32 v[6:7], s[52:53]
	v_mad_u64_u32 v[10:11], s[60:61], s54, v2, v[6:7]
	v_mul_lo_u32 v6, s55, v2
	v_mul_lo_u32 v7, s54, v1
	v_add_u32_e32 v23, s16, v22
	v_add3_u32 v11, v6, v11, v7
	s_mov_b32 s71, 0
	v_mov_b64_e32 v[6:7], 0
	s_branch .LBB41_8
.LBB41_7:                               ;   in Loop: Header=BB41_8 Depth=2
	s_add_i32 s71, s71, 1
	s_cmp_eq_u32 s71, s17
	v_lshl_add_u64 v[8:9], v[8:9], 0, s[46:47]
	s_cbranch_scc1 .LBB41_26
.LBB41_8:                               ;   Parent Loop BB41_3 Depth=1
                                        ; =>  This Loop Header: Depth=2
                                        ;       Child Loop BB41_17 Depth 3
                                        ;         Child Loop BB41_24 Depth 4
	s_mul_i32 s60, s71, s13
	s_sub_i32 s77, s15, s60
	s_cmp_gt_i32 s77, -1
	s_cbranch_scc0 .LBB41_10
; %bb.9:                                ;   in Loop: Header=BB41_8 Depth=2
	s_abs_i32 s60, s77
	s_mul_hi_u32 s73, s60, s69
	s_mul_i32 s61, s73, s33
	s_sub_i32 s74, s60, s61
	s_ashr_i32 s72, s77, 31
	s_sub_i32 s75, s74, s33
	s_cmp_ge_u32 s74, s33
	s_cselect_b32 s60, s75, s74
	s_sub_i32 s61, s60, s33
	s_cmp_ge_u32 s60, s33
	s_cselect_b32 s60, s61, s60
	s_xor_b32 s60, s60, s72
	s_sub_i32 s60, s60, s72
	s_cmp_lg_u32 s60, 0
	s_mov_b32 s76, 1
	s_cselect_b64 s[60:61], -1, 0
	s_cbranch_execz .LBB41_11
	s_branch .LBB41_12
.LBB41_10:                              ;   in Loop: Header=BB41_8 Depth=2
	s_mov_b64 s[60:61], 0
                                        ; implicit-def: $sgpr76
                                        ; implicit-def: $sgpr72
                                        ; implicit-def: $sgpr73
                                        ; implicit-def: $sgpr74
                                        ; implicit-def: $sgpr75
.LBB41_11:                              ;   in Loop: Header=BB41_8 Depth=2
	s_abs_i32 s60, s77
	s_mul_hi_u32 s73, s60, s69
	s_mul_i32 s61, s73, s33
	s_sub_i32 s74, s60, s61
	s_ashr_i32 s72, s77, 31
	s_sub_i32 s75, s74, s33
	s_mov_b64 s[60:61], -1
                                        ; implicit-def: $sgpr76
.LBB41_12:                              ;   in Loop: Header=BB41_8 Depth=2
	s_andn2_b64 vcc, exec, s[60:61]
	s_cbranch_vccz .LBB41_14
; %bb.13:                               ;   in Loop: Header=BB41_8 Depth=2
	s_andn2_b64 vcc, exec, s[20:21]
	s_cbranch_vccz .LBB41_15
	s_branch .LBB41_7
.LBB41_14:                              ;   in Loop: Header=BB41_8 Depth=2
	s_mov_b32 s76, 0
	s_andn2_b64 vcc, exec, s[20:21]
	s_cbranch_vccnz .LBB41_7
.LBB41_15:                              ;   in Loop: Header=BB41_8 Depth=2
	s_xor_b32 s60, s72, s11
	s_add_i32 s61, s73, 1
	s_cmp_ge_u32 s74, s33
	s_cselect_b32 s61, s61, s73
	s_cselect_b32 s62, s75, s74
	s_add_i32 s63, s61, 1
	s_cmp_ge_u32 s62, s33
	s_cselect_b32 s61, s63, s61
	s_xor_b32 s61, s61, s60
	s_sub_i32 s60, s61, s60
	s_cmp_lt_i32 s60, s9
	s_cselect_b32 s73, s76, 0
	s_ashr_i32 s61, s60, 31
	s_mul_i32 s61, s30, s61
	s_mul_i32 s62, s31, s60
	v_mov_b32_e32 v12, s60
	s_add_i32 s62, s61, s62
	v_mad_u64_u32 v[12:13], s[60:61], s30, v12, v[10:11]
	s_mov_b32 s72, 0
	v_add_u32_e32 v13, s62, v13
	v_mov_b64_e32 v[14:15], v[8:9]
	s_branch .LBB41_17
.LBB41_16:                              ;   in Loop: Header=BB41_17 Depth=3
	s_add_i32 s72, s72, 1
	s_cmp_eq_u32 s72, s18
	v_lshl_add_u64 v[14:15], v[14:15], 0, s[48:49]
	s_cbranch_scc1 .LBB41_7
.LBB41_17:                              ;   Parent Loop BB41_3 Depth=1
                                        ;     Parent Loop BB41_8 Depth=2
                                        ; =>    This Loop Header: Depth=3
                                        ;         Child Loop BB41_24 Depth 4
	s_mul_i32 s60, s72, s14
	v_subrev_u32_e32 v16, s60, v23
	v_sub_u32_e32 v18, 0, v16
	v_cmp_gt_i32_e64 s[60:61], 0, v16
	v_cmp_lt_i32_e32 vcc, -1, v16
	v_ashrrev_i32_e32 v17, 31, v16
	v_max_i32_e32 v16, v16, v18
                                        ; implicit-def: $sgpr74
	s_and_saveexec_b64 s[62:63], vcc
	s_cbranch_execnz .LBB41_20
; %bb.18:                               ;   in Loop: Header=BB41_17 Depth=3
	s_or_b64 exec, exec, s[62:63]
	v_mov_b32_e32 v18, s74
	s_and_saveexec_b64 s[62:63], s[60:61]
	s_cbranch_execnz .LBB41_21
.LBB41_19:                              ;   in Loop: Header=BB41_17 Depth=3
	s_or_b64 exec, exec, s[62:63]
	s_andn2_b64 vcc, exec, s[34:35]
	s_cbranch_vccz .LBB41_22
	s_branch .LBB41_16
.LBB41_20:                              ;   in Loop: Header=BB41_17 Depth=3
	v_mul_hi_u32 v18, v16, v21
	v_mul_lo_u32 v18, v18, s12
	v_sub_u32_e32 v18, v16, v18
	v_subrev_u32_e32 v19, s12, v18
	v_cmp_le_u32_e32 vcc, s12, v18
	s_andn2_b64 s[60:61], s[60:61], exec
	s_mov_b32 s74, 1
	v_cndmask_b32_e32 v18, v18, v19, vcc
	v_subrev_u32_e32 v19, s12, v18
	v_cmp_le_u32_e32 vcc, s12, v18
	s_nop 1
	v_cndmask_b32_e32 v18, v18, v19, vcc
	v_xor_b32_e32 v18, v18, v17
	v_sub_u32_e32 v18, v18, v17
	v_cmp_ne_u32_e32 vcc, 0, v18
	s_and_b64 s[76:77], vcc, exec
	s_or_b64 s[60:61], s[60:61], s[76:77]
	s_or_b64 exec, exec, s[62:63]
	v_mov_b32_e32 v18, s74
	s_and_saveexec_b64 s[62:63], s[60:61]
	s_cbranch_execz .LBB41_19
.LBB41_21:                              ;   in Loop: Header=BB41_17 Depth=3
	v_mov_b32_e32 v18, 0
	s_or_b64 exec, exec, s[62:63]
	s_andn2_b64 vcc, exec, s[34:35]
	s_cbranch_vccnz .LBB41_16
.LBB41_22:                              ;   in Loop: Header=BB41_17 Depth=3
	v_mul_hi_u32 v19, v16, v21
	v_mul_lo_u32 v24, v19, s12
	v_sub_u32_e32 v16, v16, v24
	v_add_u32_e32 v24, 1, v19
	v_cmp_le_u32_e32 vcc, s12, v16
	v_xor_b32_e32 v17, s70, v17
	s_mov_b32 s62, s7
	v_cndmask_b32_e32 v19, v19, v24, vcc
	v_subrev_u32_e32 v24, s12, v16
	v_cndmask_b32_e32 v16, v16, v24, vcc
	v_add_u32_e32 v24, 1, v19
	v_cmp_le_u32_e32 vcc, s12, v16
	s_nop 1
	v_cndmask_b32_e32 v16, v19, v24, vcc
	v_xor_b32_e32 v16, v16, v17
	v_sub_u32_e32 v16, v16, v17
	v_cmp_gt_i32_e32 vcc, s10, v16
	v_mul_lo_u32 v19, s29, v16
	s_nop 0
	v_cndmask_b32_e32 v17, 0, v18, vcc
	v_and_b32_e32 v17, s73, v17
	v_cmp_ne_u32_e32 vcc, 0, v17
	v_ashrrev_i32_e32 v17, 31, v16
	v_mul_lo_u32 v18, s28, v17
	v_mad_u64_u32 v[16:17], s[60:61], s28, v16, v[12:13]
	v_add3_u32 v17, v19, v17, v18
	v_mov_b64_e32 v[18:19], v[14:15]
	s_branch .LBB41_24
.LBB41_23:                              ;   in Loop: Header=BB41_24 Depth=4
	s_or_b64 exec, exec, s[60:61]
	s_add_i32 s62, s62, -1
	v_lshl_add_u64 v[18:19], v[18:19], 0, s[50:51]
	s_cmp_eq_u32 s62, 0
	v_lshl_add_u64 v[16:17], v[16:17], 0, s[56:57]
	s_cbranch_scc1 .LBB41_16
.LBB41_24:                              ;   Parent Loop BB41_3 Depth=1
                                        ;     Parent Loop BB41_8 Depth=2
                                        ;       Parent Loop BB41_17 Depth=3
                                        ; =>      This Inner Loop Header: Depth=4
	s_and_saveexec_b64 s[60:61], vcc
	s_cbranch_execz .LBB41_23
; %bb.25:                               ;   in Loop: Header=BB41_24 Depth=4
	global_load_ushort v24, v[16:17], off
	global_load_ushort v25, v[18:19], off
	s_waitcnt vmcnt(1)
	v_cvt_f32_f16_e32 v24, v24
	s_waitcnt vmcnt(0)
	v_cvt_f32_f16_e32 v26, v25
	v_cvt_f64_f32_e32 v[24:25], v24
	v_cvt_f64_f32_e32 v[26:27], v26
	v_fmac_f64_e32 v[6:7], v[24:25], v[26:27]
	s_branch .LBB41_23
.LBB41_26:                              ;   in Loop: Header=BB41_3 Depth=1
	v_ashrrev_i32_e32 v8, 31, v22
	v_mul_lo_u32 v10, s41, v22
	v_mul_lo_u32 v11, s40, v8
	v_mad_u64_u32 v[8:9], s[60:61], s40, v22, 0
	v_add3_u32 v9, v9, v11, v10
	v_mad_u64_u32 v[8:9], s[60:61], v4, s36, v[8:9]
	v_mul_lo_u32 v4, v4, s37
	v_mul_lo_u32 v3, v3, s36
	v_add3_u32 v9, v3, v9, v4
	v_mad_u64_u32 v[8:9], s[60:61], v2, s38, v[8:9]
	v_mul_lo_u32 v2, v2, s39
	v_mul_lo_u32 v1, v1, s38
	v_add3_u32 v9, v1, v9, v2
	s_mov_b64 s[60:61], -1
	s_and_b64 vcc, exec, s[42:43]
	v_lshl_add_u64 v[2:3], v[8:9], 1, s[2:3]
	s_cbranch_vccz .LBB41_28
; %bb.27:                               ;   in Loop: Header=BB41_3 Depth=1
	global_load_ushort v1, v[2:3], off
	s_mov_b64 s[60:61], 0
	s_waitcnt vmcnt(0)
	v_cvt_f32_f16_e32 v1, v1
	v_cvt_f64_f32_e32 v[8:9], v1
	v_mul_f64 v[8:9], v[8:9], s[26:27]
	v_fmac_f64_e32 v[8:9], s[24:25], v[6:7]
	v_cvt_f32_f64_e32 v1, v[8:9]
	v_cvt_f16_f32_e32 v1, v1
	global_store_short v[2:3], v1, off
.LBB41_28:                              ;   in Loop: Header=BB41_3 Depth=1
	s_andn2_b64 vcc, exec, s[60:61]
	s_cbranch_vccnz .LBB41_2
; %bb.29:                               ;   in Loop: Header=BB41_3 Depth=1
	v_cvt_f32_f64_e32 v1, v[6:7]
	v_cvt_f16_f32_e32 v1, v1
	global_store_short v[2:3], v1, off
	s_branch .LBB41_2
.LBB41_30:
	s_endpgm
	.section	.rodata,"a",@progbits
	.p2align	6, 0x0
	.amdhsa_kernel naive_conv_ab_nonpacked_bwd_nhwc_half_double_half_0
		.amdhsa_group_segment_fixed_size 0
		.amdhsa_private_segment_fixed_size 0
		.amdhsa_kernarg_size 480
		.amdhsa_user_sgpr_count 2
		.amdhsa_user_sgpr_dispatch_ptr 0
		.amdhsa_user_sgpr_queue_ptr 0
		.amdhsa_user_sgpr_kernarg_segment_ptr 1
		.amdhsa_user_sgpr_dispatch_id 0
		.amdhsa_user_sgpr_kernarg_preload_length 0
		.amdhsa_user_sgpr_kernarg_preload_offset 0
		.amdhsa_user_sgpr_private_segment_size 0
		.amdhsa_uses_dynamic_stack 0
		.amdhsa_enable_private_segment 0
		.amdhsa_system_sgpr_workgroup_id_x 1
		.amdhsa_system_sgpr_workgroup_id_y 0
		.amdhsa_system_sgpr_workgroup_id_z 0
		.amdhsa_system_sgpr_workgroup_info 0
		.amdhsa_system_vgpr_workitem_id 0
		.amdhsa_next_free_vgpr 28
		.amdhsa_next_free_sgpr 78
		.amdhsa_accum_offset 28
		.amdhsa_reserve_vcc 1
		.amdhsa_float_round_mode_32 0
		.amdhsa_float_round_mode_16_64 0
		.amdhsa_float_denorm_mode_32 3
		.amdhsa_float_denorm_mode_16_64 3
		.amdhsa_dx10_clamp 1
		.amdhsa_ieee_mode 1
		.amdhsa_fp16_overflow 0
		.amdhsa_tg_split 0
		.amdhsa_exception_fp_ieee_invalid_op 0
		.amdhsa_exception_fp_denorm_src 0
		.amdhsa_exception_fp_ieee_div_zero 0
		.amdhsa_exception_fp_ieee_overflow 0
		.amdhsa_exception_fp_ieee_underflow 0
		.amdhsa_exception_fp_ieee_inexact 0
		.amdhsa_exception_int_div_zero 0
	.end_amdhsa_kernel
	.text
.Lfunc_end41:
	.size	naive_conv_ab_nonpacked_bwd_nhwc_half_double_half_0, .Lfunc_end41-naive_conv_ab_nonpacked_bwd_nhwc_half_double_half_0
                                        ; -- End function
	.section	.AMDGPU.csdata,"",@progbits
; Kernel info:
; codeLenInByte = 2020
; NumSgprs: 84
; NumVgprs: 28
; NumAgprs: 0
; TotalNumVgprs: 28
; ScratchSize: 0
; MemoryBound: 0
; FloatMode: 240
; IeeeMode: 1
; LDSByteSize: 0 bytes/workgroup (compile time only)
; SGPRBlocks: 10
; VGPRBlocks: 3
; NumSGPRsForWavesPerEU: 84
; NumVGPRsForWavesPerEU: 28
; AccumOffset: 28
; Occupancy: 8
; WaveLimiterHint : 0
; COMPUTE_PGM_RSRC2:SCRATCH_EN: 0
; COMPUTE_PGM_RSRC2:USER_SGPR: 2
; COMPUTE_PGM_RSRC2:TRAP_HANDLER: 0
; COMPUTE_PGM_RSRC2:TGID_X_EN: 1
; COMPUTE_PGM_RSRC2:TGID_Y_EN: 0
; COMPUTE_PGM_RSRC2:TGID_Z_EN: 0
; COMPUTE_PGM_RSRC2:TIDIG_COMP_CNT: 0
; COMPUTE_PGM_RSRC3_GFX90A:ACCUM_OFFSET: 6
; COMPUTE_PGM_RSRC3_GFX90A:TG_SPLIT: 0
	.text
	.protected	naive_conv_ab_packed_bwd_nhwc_ushort_double_ushort_0 ; -- Begin function naive_conv_ab_packed_bwd_nhwc_ushort_double_ushort_0
	.globl	naive_conv_ab_packed_bwd_nhwc_ushort_double_ushort_0
	.p2align	8
	.type	naive_conv_ab_packed_bwd_nhwc_ushort_double_ushort_0,@function
naive_conv_ab_packed_bwd_nhwc_ushort_double_ushort_0: ; @naive_conv_ab_packed_bwd_nhwc_ushort_double_ushort_0
; %bb.0:
	s_load_dwordx16 s[4:19], s[0:1], 0xa0
	s_abs_i32 s20, s2
	s_waitcnt lgkmcnt(0)
	s_abs_i32 s3, s4
	v_cvt_f32_u32_e32 v1, s3
	s_sub_i32 s21, 0, s3
	v_rcp_iflag_f32_e32 v1, v1
	s_nop 0
	v_mul_f32_e32 v1, 0x4f7ffffe, v1
	v_cvt_u32_f32_e32 v1, v1
	s_nop 0
	v_readfirstlane_b32 s22, v1
	s_mul_i32 s21, s21, s22
	s_mul_hi_u32 s21, s22, s21
	s_add_i32 s22, s22, s21
	s_mul_hi_u32 s21, s20, s22
	s_mul_i32 s22, s21, s3
	s_sub_i32 s20, s20, s22
	s_add_i32 s23, s21, 1
	s_sub_i32 s22, s20, s3
	s_cmp_ge_u32 s20, s3
	s_cselect_b32 s21, s23, s21
	s_cselect_b32 s20, s22, s20
	s_add_i32 s22, s21, 1
	s_cmp_ge_u32 s20, s3
	s_cselect_b32 s28, s22, s21
	s_abs_i32 s3, s6
	v_cvt_f32_u32_e32 v1, s3
	s_mul_i32 s6, s19, s8
	s_mul_i32 s33, s6, s5
	v_cmp_gt_i32_e32 vcc, s33, v0
	v_rcp_iflag_f32_e32 v1, v1
	s_nop 0
	v_mul_f32_e32 v1, 0x4f7ffffe, v1
	v_cvt_u32_f32_e32 v1, v1
	s_nop 0
	v_readfirstlane_b32 s29, v1
	s_and_saveexec_b64 s[20:21], vcc
	s_cbranch_execz .LBB42_30
; %bb.1:
	s_xor_b32 s30, s2, s4
	s_ashr_i32 s30, s30, 31
	s_sub_i32 s34, 0, s3
	s_xor_b32 s28, s28, s30
	s_mul_i32 s34, s34, s29
	s_sub_i32 s28, s28, s30
	s_mul_hi_u32 s34, s29, s34
	s_abs_i32 s31, s28
	s_add_i32 s29, s29, s34
	s_mul_hi_u32 s29, s31, s29
	s_ashr_i32 s30, s28, 31
	s_mul_i32 s28, s28, s4
	s_mul_i32 s29, s29, s3
	s_sub_i32 s28, s2, s28
	s_sub_i32 s2, s31, s29
	;; [unrolled: 1-line block ×3, first 2 shown]
	s_cmp_ge_u32 s2, s3
	s_cselect_b32 s2, s29, s2
	s_sub_i32 s29, s2, s3
	s_cmp_ge_u32 s2, s3
	s_cselect_b32 s2, s29, s2
	s_xor_b32 s2, s2, s30
	s_sub_i32 s40, s2, s30
	s_ashr_i32 s41, s40, 31
	s_mul_hi_i32 s2, s40, s4
	s_mul_i32 s3, s40, s4
	s_ashr_i32 s56, s6, 31
	s_ashr_i32 s4, s28, 31
	s_add_u32 s29, s3, s28
	s_load_dwordx8 s[20:27], s[0:1], 0x0
	s_addc_u32 s2, s2, s4
	s_mul_hi_i32 s3, s6, s5
	s_mul_i32 s2, s33, s2
	s_mul_hi_u32 s4, s33, s29
	s_add_i32 s2, s4, s2
	s_mul_i32 s3, s3, s29
	s_add_i32 s3, s2, s3
	s_mul_i32 s2, s33, s29
	s_lshl_b64 s[2:3], s[2:3], 1
	s_mul_i32 s19, s19, s7
	s_waitcnt lgkmcnt(0)
	s_add_u32 s2, s20, s2
	s_addc_u32 s3, s21, s3
	s_ashr_i32 s58, s19, 31
	s_cmp_lt_i32 s17, 1
	s_cselect_b64 s[4:5], -1, 0
	s_add_i32 s15, s28, s15
	s_cmp_gt_i32 s18, 0
	s_cselect_b64 s[20:21], -1, 0
	s_cmp_gt_i32 s7, 0
	s_cselect_b64 s[28:29], -1, 0
	s_abs_i32 s59, s6
	v_cvt_f32_u32_e32 v1, s59
	s_abs_i32 s60, s8
	v_cvt_f32_u32_e32 v2, s60
	v_cmp_neq_f64_e64 s[36:37], s[24:25], 1.0
	v_rcp_iflag_f32_e32 v1, v1
	v_cmp_neq_f64_e64 s[38:39], s[26:27], 0
	v_rcp_iflag_f32_e32 v2, v2
	s_or_b64 s[36:37], s[36:37], s[38:39]
	s_load_dwordx2 s[38:39], s[0:1], 0x20
	s_nop 0
	s_load_dword s0, s[0:1], 0xec
	v_mul_f32_e32 v1, 0x4f7ffffe, v1
	v_cvt_u32_f32_e32 v1, v1
	v_mul_f32_e32 v2, 0x4f7ffffe, v2
	s_abs_i32 s62, s11
	v_cvt_u32_f32_e32 v2, v2
	s_waitcnt lgkmcnt(0)
	s_and_b32 s61, s0, 0xffff
	s_sub_i32 s0, 0, s59
	v_cvt_f32_u32_e32 v4, s62
	v_mul_lo_u32 v3, s0, v1
	v_mul_hi_u32 v3, v1, v3
	s_sub_i32 s0, 0, s60
	v_add_u32_e32 v18, v1, v3
	v_mul_lo_u32 v3, s0, v2
	v_rcp_iflag_f32_e32 v1, v4
	v_mul_hi_u32 v3, v2, v3
	s_abs_i32 s63, s12
	v_add_u32_e32 v19, v2, v3
	v_cvt_f32_u32_e32 v2, s63
	v_mul_f32_e32 v1, 0x4f7ffffe, v1
	v_cvt_u32_f32_e32 v1, v1
	s_sub_i32 s0, 0, s62
	v_rcp_iflag_f32_e32 v2, v2
	s_ashr_i32 s43, s7, 31
	v_readfirstlane_b32 s1, v1
	s_mul_i32 s0, s0, s1
	v_mul_f32_e32 v1, 0x4f7ffffe, v2
	v_cvt_u32_f32_e32 v1, v1
	s_mul_hi_u32 s0, s1, s0
	s_mov_b32 s42, s7
	s_add_i32 s64, s1, s0
	s_sub_i32 s0, 0, s63
	s_mov_b32 s57, s9
	v_mul_lo_u32 v2, s0, v1
	s_lshl_b64 s[0:1], s[42:43], 1
	s_mul_hi_i32 s42, s10, s9
	s_mul_i32 s9, s10, s9
	s_mul_i32 s41, s9, s41
	s_mul_hi_u32 s44, s9, s40
	s_ashr_i32 s45, s17, 31
	s_add_i32 s41, s44, s41
	s_mul_i32 s42, s42, s40
	s_mul_i32 s44, s18, s8
	s_add_i32 s41, s41, s42
	s_mul_i32 s40, s9, s40
	s_mul_i32 s9, s44, s45
	s_mul_hi_u32 s42, s44, s17
	s_mul_hi_i32 s45, s18, s8
	s_add_i32 s9, s42, s9
	s_mul_i32 s42, s45, s17
	s_mul_i32 s48, s44, s17
	s_add_i32 s49, s9, s42
	s_mul_i32 s9, s48, s43
	s_mul_hi_u32 s42, s48, s7
	s_add_i32 s9, s42, s9
	s_mul_i32 s42, s49, s7
	s_ashr_i32 s31, s8, 31
	s_mov_b32 s30, s8
	v_mul_hi_u32 v2, v1, v2
	s_add_i32 s43, s9, s42
	s_mul_i32 s42, s48, s7
	s_mov_b64 s[34:35], 0
	s_ashr_i32 s11, s11, 31
	s_ashr_i32 s12, s12, 31
	v_add_u32_e32 v20, v1, v2
	s_lshl_b64 s[40:41], s[40:41], 1
	s_lshl_b64 s[42:43], s[42:43], 1
	;; [unrolled: 1-line block ×5, first 2 shown]
	s_mov_b32 s9, 0x7f800000
	v_mov_b32_e32 v21, 0
	s_branch .LBB42_3
.LBB42_2:                               ;   in Loop: Header=BB42_3 Depth=1
	v_add_u32_e32 v0, s61, v0
	v_cmp_le_i32_e32 vcc, s33, v0
	s_or_b64 s[34:35], vcc, s[34:35]
	s_andn2_b64 exec, exec, s[34:35]
	s_cbranch_execz .LBB42_30
.LBB42_3:                               ; =>This Loop Header: Depth=1
                                        ;     Child Loop BB42_8 Depth 2
                                        ;       Child Loop BB42_17 Depth 3
                                        ;         Child Loop BB42_24 Depth 4
	v_sub_u32_e32 v2, 0, v0
	v_max_i32_e32 v2, v0, v2
	v_mul_hi_u32 v3, v2, v18
	v_mul_lo_u32 v4, v3, s59
	v_sub_u32_e32 v2, v2, v4
	v_add_u32_e32 v4, 1, v3
	v_cmp_le_u32_e32 vcc, s59, v2
	v_ashrrev_i32_e32 v1, 31, v0
	v_xor_b32_e32 v1, s56, v1
	v_cndmask_b32_e32 v3, v3, v4, vcc
	v_subrev_u32_e32 v4, s59, v2
	v_cndmask_b32_e32 v2, v2, v4, vcc
	v_add_u32_e32 v4, 1, v3
	v_cmp_le_u32_e32 vcc, s59, v2
	s_nop 1
	v_cndmask_b32_e32 v2, v3, v4, vcc
	v_xor_b32_e32 v2, v2, v1
	v_sub_u32_e32 v3, v2, v1
	v_mul_lo_u32 v1, v3, s6
	v_sub_u32_e32 v10, v0, v1
	v_sub_u32_e32 v2, 0, v10
	v_max_i32_e32 v2, v10, v2
	v_mul_hi_u32 v4, v2, v19
	v_mul_lo_u32 v5, v4, s60
	v_sub_u32_e32 v2, v2, v5
	v_add_u32_e32 v5, 1, v4
	v_cmp_le_u32_e32 vcc, s60, v2
	v_ashrrev_i32_e32 v11, 31, v10
	v_xor_b32_e32 v1, s31, v11
	v_cndmask_b32_e32 v4, v4, v5, vcc
	v_subrev_u32_e32 v5, s60, v2
	v_cndmask_b32_e32 v2, v2, v5, vcc
	v_add_u32_e32 v5, 1, v4
	v_cmp_le_u32_e32 vcc, s60, v2
	s_nop 1
	v_cndmask_b32_e32 v2, v4, v5, vcc
	v_xor_b32_e32 v2, v2, v1
	v_sub_u32_e32 v2, v2, v1
	v_mul_lo_u32 v12, v2, s8
	v_sub_u32_e32 v4, v10, v12
	s_andn2_b64 vcc, exec, s[4:5]
	v_ashrrev_i32_e32 v1, 31, v2
	v_ashrrev_i32_e32 v5, 31, v4
	s_cbranch_vccnz .LBB42_5
; %bb.4:                                ;   in Loop: Header=BB42_3 Depth=1
	s_mov_b64 s[52:53], 0
	v_mov_b64_e32 v[6:7], s[52:53]
	s_cbranch_execz .LBB42_6
	s_branch .LBB42_26
.LBB42_5:                               ;   in Loop: Header=BB42_3 Depth=1
                                        ; implicit-def: $sgpr52_sgpr53
	v_mov_b64_e32 v[6:7], s[52:53]
.LBB42_6:                               ;   in Loop: Header=BB42_3 Depth=1
	v_mov_b64_e32 v[6:7], s[38:39]
	v_mad_u64_u32 v[8:9], s[50:51], s0, v2, v[6:7]
	v_mul_lo_u32 v6, s1, v2
	v_mul_lo_u32 v7, s0, v1
	v_add3_u32 v9, v6, v9, v7
	v_lshlrev_b64 v[6:7], 1, v[10:11]
	v_mul_lo_u32 v10, s43, v2
	v_mul_lo_u32 v11, s42, v1
	v_mad_u64_u32 v[6:7], s[50:51], s42, v2, v[6:7]
	v_ashrrev_i32_e32 v13, 31, v12
	v_add3_u32 v7, v10, v7, v11
	v_lshlrev_b64 v[10:11], 1, v[12:13]
	v_sub_co_u32_e32 v6, vcc, v6, v10
	v_add_u32_e32 v22, s16, v3
	s_nop 0
	v_subb_co_u32_e32 v7, vcc, v7, v11, vcc
	v_lshl_add_u64 v[10:11], s[22:23], 0, v[6:7]
	s_mov_b32 s65, 0
	v_mov_b64_e32 v[6:7], 0
	s_branch .LBB42_8
.LBB42_7:                               ;   in Loop: Header=BB42_8 Depth=2
	s_add_i32 s65, s65, 1
	s_cmp_eq_u32 s65, s17
	v_lshl_add_u64 v[10:11], v[10:11], 0, s[44:45]
	s_cbranch_scc1 .LBB42_26
.LBB42_8:                               ;   Parent Loop BB42_3 Depth=1
                                        ; =>  This Loop Header: Depth=2
                                        ;       Child Loop BB42_17 Depth 3
                                        ;         Child Loop BB42_24 Depth 4
	s_mul_i32 s50, s65, s13
	s_sub_i32 s69, s15, s50
	s_cmp_gt_i32 s69, -1
	s_cbranch_scc0 .LBB42_10
; %bb.9:                                ;   in Loop: Header=BB42_8 Depth=2
	s_abs_i32 s50, s69
	s_mul_hi_u32 s55, s50, s64
	s_mul_i32 s51, s55, s62
	s_sub_i32 s66, s50, s51
	s_ashr_i32 s54, s69, 31
	s_sub_i32 s67, s66, s62
	s_cmp_ge_u32 s66, s62
	s_cselect_b32 s50, s67, s66
	s_sub_i32 s51, s50, s62
	s_cmp_ge_u32 s50, s62
	s_cselect_b32 s50, s51, s50
	s_xor_b32 s50, s50, s54
	s_sub_i32 s50, s50, s54
	s_cmp_lg_u32 s50, 0
	s_mov_b32 s68, 1
	s_cselect_b64 s[50:51], -1, 0
	s_cbranch_execz .LBB42_11
	s_branch .LBB42_12
.LBB42_10:                              ;   in Loop: Header=BB42_8 Depth=2
	s_mov_b64 s[50:51], 0
                                        ; implicit-def: $sgpr68
                                        ; implicit-def: $sgpr54
                                        ; implicit-def: $sgpr55
                                        ; implicit-def: $sgpr66
                                        ; implicit-def: $sgpr67
.LBB42_11:                              ;   in Loop: Header=BB42_8 Depth=2
	s_abs_i32 s50, s69
	s_mul_hi_u32 s55, s50, s64
	s_mul_i32 s51, s55, s62
	s_sub_i32 s66, s50, s51
	s_ashr_i32 s54, s69, 31
	s_sub_i32 s67, s66, s62
	s_mov_b64 s[50:51], -1
                                        ; implicit-def: $sgpr68
.LBB42_12:                              ;   in Loop: Header=BB42_8 Depth=2
	s_andn2_b64 vcc, exec, s[50:51]
	s_cbranch_vccz .LBB42_14
; %bb.13:                               ;   in Loop: Header=BB42_8 Depth=2
	s_andn2_b64 vcc, exec, s[20:21]
	s_cbranch_vccz .LBB42_15
	s_branch .LBB42_7
.LBB42_14:                              ;   in Loop: Header=BB42_8 Depth=2
	s_mov_b32 s68, 0
	s_andn2_b64 vcc, exec, s[20:21]
	s_cbranch_vccnz .LBB42_7
.LBB42_15:                              ;   in Loop: Header=BB42_8 Depth=2
	s_xor_b32 s50, s54, s11
	s_add_i32 s51, s55, 1
	s_cmp_ge_u32 s66, s62
	s_cselect_b32 s51, s51, s55
	s_cselect_b32 s52, s67, s66
	s_add_i32 s53, s51, 1
	s_cmp_ge_u32 s52, s62
	s_cselect_b32 s51, s53, s51
	s_xor_b32 s51, s51, s50
	s_sub_i32 s50, s51, s50
	s_cmp_lt_i32 s50, s57
	s_mov_b32 s66, 0
	s_cselect_b32 s67, s68, 0
	s_mul_hi_i32 s51, s50, s10
	s_mul_i32 s50, s50, s10
	v_mov_b64_e32 v[12:13], v[10:11]
	s_branch .LBB42_17
.LBB42_16:                              ;   in Loop: Header=BB42_17 Depth=3
	s_add_i32 s66, s66, 1
	s_cmp_eq_u32 s66, s18
	v_lshl_add_u64 v[12:13], v[12:13], 0, s[46:47]
	s_cbranch_scc1 .LBB42_7
.LBB42_17:                              ;   Parent Loop BB42_3 Depth=1
                                        ;     Parent Loop BB42_8 Depth=2
                                        ; =>    This Loop Header: Depth=3
                                        ;         Child Loop BB42_24 Depth 4
	s_mul_i32 s52, s66, s14
	v_subrev_u32_e32 v14, s52, v22
	v_sub_u32_e32 v16, 0, v14
	v_cmp_gt_i32_e64 s[52:53], 0, v14
	v_cmp_lt_i32_e32 vcc, -1, v14
	v_ashrrev_i32_e32 v15, 31, v14
	v_max_i32_e32 v14, v14, v16
                                        ; implicit-def: $sgpr68
	s_and_saveexec_b64 s[54:55], vcc
	s_cbranch_execnz .LBB42_20
; %bb.18:                               ;   in Loop: Header=BB42_17 Depth=3
	s_or_b64 exec, exec, s[54:55]
	v_mov_b32_e32 v16, s68
	s_and_saveexec_b64 s[54:55], s[52:53]
	s_cbranch_execnz .LBB42_21
.LBB42_19:                              ;   in Loop: Header=BB42_17 Depth=3
	s_or_b64 exec, exec, s[54:55]
	s_andn2_b64 vcc, exec, s[28:29]
	s_cbranch_vccz .LBB42_22
	s_branch .LBB42_16
.LBB42_20:                              ;   in Loop: Header=BB42_17 Depth=3
	v_mul_hi_u32 v16, v14, v20
	v_mul_lo_u32 v16, v16, s63
	v_sub_u32_e32 v16, v14, v16
	v_subrev_u32_e32 v17, s63, v16
	v_cmp_le_u32_e32 vcc, s63, v16
	s_andn2_b64 s[52:53], s[52:53], exec
	s_mov_b32 s68, 1
	v_cndmask_b32_e32 v16, v16, v17, vcc
	v_subrev_u32_e32 v17, s63, v16
	v_cmp_le_u32_e32 vcc, s63, v16
	s_nop 1
	v_cndmask_b32_e32 v16, v16, v17, vcc
	v_xor_b32_e32 v16, v16, v15
	v_sub_u32_e32 v16, v16, v15
	v_cmp_ne_u32_e32 vcc, 0, v16
	s_and_b64 s[70:71], vcc, exec
	s_or_b64 s[52:53], s[52:53], s[70:71]
	s_or_b64 exec, exec, s[54:55]
	v_mov_b32_e32 v16, s68
	s_and_saveexec_b64 s[54:55], s[52:53]
	s_cbranch_execz .LBB42_19
.LBB42_21:                              ;   in Loop: Header=BB42_17 Depth=3
	v_mov_b32_e32 v16, 0
	s_or_b64 exec, exec, s[54:55]
	s_andn2_b64 vcc, exec, s[28:29]
	s_cbranch_vccnz .LBB42_16
.LBB42_22:                              ;   in Loop: Header=BB42_17 Depth=3
	v_mul_hi_u32 v17, v14, v20
	v_mul_lo_u32 v23, v17, s63
	v_sub_u32_e32 v14, v14, v23
	v_add_u32_e32 v23, 1, v17
	v_cmp_le_u32_e32 vcc, s63, v14
	v_xor_b32_e32 v15, s12, v15
	s_mov_b32 s54, s7
	v_cndmask_b32_e32 v17, v17, v23, vcc
	v_subrev_u32_e32 v23, s63, v14
	v_cndmask_b32_e32 v14, v14, v23, vcc
	v_add_u32_e32 v23, 1, v17
	v_cmp_le_u32_e32 vcc, s63, v14
	s_nop 1
	v_cndmask_b32_e32 v14, v17, v23, vcc
	v_xor_b32_e32 v14, v14, v15
	v_sub_u32_e32 v14, v14, v15
	v_cmp_gt_i32_e32 vcc, s10, v14
	s_nop 1
	v_cndmask_b32_e32 v15, 0, v16, vcc
	v_and_b32_e32 v15, s67, v15
	v_cmp_ne_u32_e32 vcc, 0, v15
	v_ashrrev_i32_e32 v15, 31, v14
	v_lshl_add_u64 v[14:15], s[50:51], 0, v[14:15]
	v_lshl_add_u64 v[14:15], v[14:15], 1, s[40:41]
	v_mul_lo_u32 v16, s19, v15
	v_mul_lo_u32 v17, s58, v14
	v_mad_u64_u32 v[14:15], s[52:53], s19, v14, v[8:9]
	v_add3_u32 v15, v17, v15, v16
	v_mov_b64_e32 v[16:17], v[12:13]
	s_branch .LBB42_24
.LBB42_23:                              ;   in Loop: Header=BB42_24 Depth=4
	s_or_b64 exec, exec, s[52:53]
	s_add_i32 s54, s54, -1
	v_lshl_add_u64 v[14:15], v[14:15], 0, 2
	s_cmp_eq_u32 s54, 0
	v_lshl_add_u64 v[16:17], v[16:17], 0, s[48:49]
	s_cbranch_scc1 .LBB42_16
.LBB42_24:                              ;   Parent Loop BB42_3 Depth=1
                                        ;     Parent Loop BB42_8 Depth=2
                                        ;       Parent Loop BB42_17 Depth=3
                                        ; =>      This Inner Loop Header: Depth=4
	s_and_saveexec_b64 s[52:53], vcc
	s_cbranch_execz .LBB42_23
; %bb.25:                               ;   in Loop: Header=BB42_24 Depth=4
	global_load_ushort v23, v[14:15], off
	global_load_ushort v24, v[16:17], off
	s_waitcnt vmcnt(1)
	v_lshlrev_b32_e32 v23, 16, v23
	s_waitcnt vmcnt(0)
	v_lshlrev_b32_e32 v26, 16, v24
	v_cvt_f64_f32_e32 v[24:25], v23
	v_cvt_f64_f32_e32 v[26:27], v26
	v_fmac_f64_e32 v[6:7], v[24:25], v[26:27]
	s_branch .LBB42_23
.LBB42_26:                              ;   in Loop: Header=BB42_3 Depth=1
	v_mad_i64_i32 v[4:5], s[50:51], v3, s6, v[4:5]
	v_mad_u64_u32 v[4:5], s[50:51], v2, s30, v[4:5]
	v_mul_lo_u32 v2, v2, s31
	v_mul_lo_u32 v1, v1, s30
	v_add3_u32 v5, v1, v5, v2
	s_mov_b64 s[50:51], -1
	s_and_b64 vcc, exec, s[36:37]
	v_lshl_add_u64 v[2:3], v[4:5], 1, s[2:3]
	s_cbranch_vccz .LBB42_28
; %bb.27:                               ;   in Loop: Header=BB42_3 Depth=1
	global_load_ushort v1, v[2:3], off
	s_waitcnt vmcnt(0)
	v_lshlrev_b32_e32 v1, 16, v1
	v_cvt_f64_f32_e32 v[4:5], v1
	v_mul_f64 v[4:5], v[4:5], s[26:27]
	v_fmac_f64_e32 v[4:5], s[24:25], v[6:7]
	v_cvt_f32_f64_e32 v1, v[4:5]
	v_and_b32_e32 v4, 0x7f800000, v1
	v_cmp_ne_u32_sdwa s[50:51], v1, v21 src0_sel:WORD_0 src1_sel:DWORD
	v_cmp_eq_u32_e32 vcc, s9, v4
	s_and_b64 s[50:51], vcc, s[50:51]
	v_cndmask_b32_e64 v4, 0, 1, s[50:51]
	v_or_b32_sdwa v1, v1, v4 dst_sel:DWORD dst_unused:UNUSED_PAD src0_sel:WORD_1 src1_sel:DWORD
	global_store_short v[2:3], v1, off
	s_mov_b64 s[50:51], 0
.LBB42_28:                              ;   in Loop: Header=BB42_3 Depth=1
	s_andn2_b64 vcc, exec, s[50:51]
	s_cbranch_vccnz .LBB42_2
; %bb.29:                               ;   in Loop: Header=BB42_3 Depth=1
	v_cvt_f32_f64_e32 v1, v[6:7]
	v_and_b32_e32 v4, 0x7f800000, v1
	v_cmp_eq_u32_e32 vcc, s9, v4
	v_cmp_ne_u32_sdwa s[50:51], v1, v21 src0_sel:WORD_0 src1_sel:DWORD
	s_and_b64 s[50:51], vcc, s[50:51]
	s_nop 0
	v_cndmask_b32_e64 v4, 0, 1, s[50:51]
	v_or_b32_sdwa v1, v1, v4 dst_sel:DWORD dst_unused:UNUSED_PAD src0_sel:WORD_1 src1_sel:DWORD
	global_store_short v[2:3], v1, off
	s_branch .LBB42_2
.LBB42_30:
	s_endpgm
	.section	.rodata,"a",@progbits
	.p2align	6, 0x0
	.amdhsa_kernel naive_conv_ab_packed_bwd_nhwc_ushort_double_ushort_0
		.amdhsa_group_segment_fixed_size 0
		.amdhsa_private_segment_fixed_size 0
		.amdhsa_kernarg_size 480
		.amdhsa_user_sgpr_count 2
		.amdhsa_user_sgpr_dispatch_ptr 0
		.amdhsa_user_sgpr_queue_ptr 0
		.amdhsa_user_sgpr_kernarg_segment_ptr 1
		.amdhsa_user_sgpr_dispatch_id 0
		.amdhsa_user_sgpr_kernarg_preload_length 0
		.amdhsa_user_sgpr_kernarg_preload_offset 0
		.amdhsa_user_sgpr_private_segment_size 0
		.amdhsa_uses_dynamic_stack 0
		.amdhsa_enable_private_segment 0
		.amdhsa_system_sgpr_workgroup_id_x 1
		.amdhsa_system_sgpr_workgroup_id_y 0
		.amdhsa_system_sgpr_workgroup_id_z 0
		.amdhsa_system_sgpr_workgroup_info 0
		.amdhsa_system_vgpr_workitem_id 0
		.amdhsa_next_free_vgpr 28
		.amdhsa_next_free_sgpr 72
		.amdhsa_accum_offset 28
		.amdhsa_reserve_vcc 1
		.amdhsa_float_round_mode_32 0
		.amdhsa_float_round_mode_16_64 0
		.amdhsa_float_denorm_mode_32 3
		.amdhsa_float_denorm_mode_16_64 3
		.amdhsa_dx10_clamp 1
		.amdhsa_ieee_mode 1
		.amdhsa_fp16_overflow 0
		.amdhsa_tg_split 0
		.amdhsa_exception_fp_ieee_invalid_op 0
		.amdhsa_exception_fp_denorm_src 0
		.amdhsa_exception_fp_ieee_div_zero 0
		.amdhsa_exception_fp_ieee_overflow 0
		.amdhsa_exception_fp_ieee_underflow 0
		.amdhsa_exception_fp_ieee_inexact 0
		.amdhsa_exception_int_div_zero 0
	.end_amdhsa_kernel
	.text
.Lfunc_end42:
	.size	naive_conv_ab_packed_bwd_nhwc_ushort_double_ushort_0, .Lfunc_end42-naive_conv_ab_packed_bwd_nhwc_ushort_double_ushort_0
                                        ; -- End function
	.section	.AMDGPU.csdata,"",@progbits
; Kernel info:
; codeLenInByte = 2044
; NumSgprs: 78
; NumVgprs: 28
; NumAgprs: 0
; TotalNumVgprs: 28
; ScratchSize: 0
; MemoryBound: 0
; FloatMode: 240
; IeeeMode: 1
; LDSByteSize: 0 bytes/workgroup (compile time only)
; SGPRBlocks: 9
; VGPRBlocks: 3
; NumSGPRsForWavesPerEU: 78
; NumVGPRsForWavesPerEU: 28
; AccumOffset: 28
; Occupancy: 8
; WaveLimiterHint : 0
; COMPUTE_PGM_RSRC2:SCRATCH_EN: 0
; COMPUTE_PGM_RSRC2:USER_SGPR: 2
; COMPUTE_PGM_RSRC2:TRAP_HANDLER: 0
; COMPUTE_PGM_RSRC2:TGID_X_EN: 1
; COMPUTE_PGM_RSRC2:TGID_Y_EN: 0
; COMPUTE_PGM_RSRC2:TGID_Z_EN: 0
; COMPUTE_PGM_RSRC2:TIDIG_COMP_CNT: 0
; COMPUTE_PGM_RSRC3_GFX90A:ACCUM_OFFSET: 6
; COMPUTE_PGM_RSRC3_GFX90A:TG_SPLIT: 0
	.text
	.protected	naive_conv_ab_nonpacked_bwd_nhwc_ushort_double_ushort_0 ; -- Begin function naive_conv_ab_nonpacked_bwd_nhwc_ushort_double_ushort_0
	.globl	naive_conv_ab_nonpacked_bwd_nhwc_ushort_double_ushort_0
	.p2align	8
	.type	naive_conv_ab_nonpacked_bwd_nhwc_ushort_double_ushort_0,@function
naive_conv_ab_nonpacked_bwd_nhwc_ushort_double_ushort_0: ; @naive_conv_ab_nonpacked_bwd_nhwc_ushort_double_ushort_0
; %bb.0:
	s_load_dwordx16 s[4:19], s[0:1], 0xa0
	s_abs_i32 s20, s2
	s_waitcnt lgkmcnt(0)
	s_abs_i32 s3, s4
	v_cvt_f32_u32_e32 v1, s3
	s_sub_i32 s21, 0, s3
	v_rcp_iflag_f32_e32 v1, v1
	s_nop 0
	v_mul_f32_e32 v1, 0x4f7ffffe, v1
	v_cvt_u32_f32_e32 v1, v1
	s_nop 0
	v_readfirstlane_b32 s22, v1
	s_mul_i32 s21, s21, s22
	s_mul_hi_u32 s21, s22, s21
	s_add_i32 s22, s22, s21
	s_mul_hi_u32 s21, s20, s22
	s_mul_i32 s22, s21, s3
	s_sub_i32 s20, s20, s22
	s_add_i32 s23, s21, 1
	s_sub_i32 s22, s20, s3
	s_cmp_ge_u32 s20, s3
	s_cselect_b32 s21, s23, s21
	s_cselect_b32 s20, s22, s20
	s_add_i32 s22, s21, 1
	s_cmp_ge_u32 s20, s3
	s_cselect_b32 s28, s22, s21
	s_abs_i32 s3, s6
	v_cvt_f32_u32_e32 v1, s3
	s_mul_i32 s6, s19, s8
	s_mul_i32 s19, s6, s5
	v_cmp_gt_i32_e32 vcc, s19, v0
	v_rcp_iflag_f32_e32 v1, v1
	s_nop 0
	v_mul_f32_e32 v1, 0x4f7ffffe, v1
	v_cvt_u32_f32_e32 v1, v1
	s_nop 0
	v_readfirstlane_b32 s5, v1
	s_and_saveexec_b64 s[20:21], vcc
	s_cbranch_execz .LBB43_30
; %bb.1:
	s_xor_b32 s29, s2, s4
	s_ashr_i32 s29, s29, 31
	s_xor_b32 s28, s28, s29
	s_sub_i32 s33, s28, s29
	s_sub_i32 s28, 0, s3
	s_mul_i32 s28, s28, s5
	s_mul_hi_u32 s28, s5, s28
	s_abs_i32 s35, s33
	s_add_i32 s5, s5, s28
	s_mul_hi_u32 s5, s35, s5
	s_ashr_i32 s34, s33, 31
	s_mul_i32 s33, s33, s4
	s_mul_i32 s5, s5, s3
	s_sub_i32 s33, s2, s33
	s_sub_i32 s2, s35, s5
	;; [unrolled: 1-line block ×3, first 2 shown]
	s_cmp_ge_u32 s2, s3
	s_cselect_b32 s2, s4, s2
	s_sub_i32 s4, s2, s3
	s_cmp_ge_u32 s2, s3
	s_cselect_b32 s2, s4, s2
	s_load_dwordx8 s[20:27], s[0:1], 0x0
	s_load_dwordx2 s[52:53], s[0:1], 0x20
	s_load_dwordx16 s[36:51], s[0:1], 0x28
	s_load_dwordx2 s[54:55], s[0:1], 0x98
	s_load_dwordx4 s[28:31], s[0:1], 0x88
	s_xor_b32 s2, s2, s34
	s_sub_i32 s56, s2, s34
	s_ashr_i32 s57, s56, 31
	s_waitcnt lgkmcnt(0)
	s_mul_i32 s2, s44, s57
	s_mul_hi_u32 s3, s44, s56
	s_ashr_i32 s4, s33, 31
	s_add_i32 s2, s3, s2
	s_mul_i32 s3, s45, s56
	s_mul_i32 s4, s42, s4
	s_mul_hi_u32 s5, s42, s33
	s_add_i32 s3, s2, s3
	s_mul_i32 s2, s44, s56
	s_add_i32 s4, s5, s4
	s_mul_i32 s5, s43, s33
	s_add_i32 s5, s4, s5
	s_lshl_b64 s[2:3], s[2:3], 1
	s_mul_i32 s4, s42, s33
	s_add_u32 s20, s20, s2
	s_addc_u32 s21, s21, s3
	s_lshl_b64 s[2:3], s[4:5], 1
	s_add_u32 s2, s20, s2
	s_addc_u32 s3, s21, s3
	s_cmp_lt_i32 s17, 1
	s_cselect_b64 s[4:5], -1, 0
	s_add_i32 s15, s33, s15
	s_cmp_gt_i32 s18, 0
	s_cselect_b64 s[20:21], -1, 0
	s_cmp_gt_i32 s7, 0
	s_cselect_b64 s[34:35], -1, 0
	s_abs_i32 s33, s11
	v_cvt_f32_u32_e32 v1, s33
	v_cmp_neq_f64_e64 s[42:43], s[24:25], 1.0
	v_cmp_neq_f64_e64 s[44:45], s[26:27], 0
	s_abs_i32 s66, s6
	v_rcp_iflag_f32_e32 v1, v1
	s_or_b64 s[42:43], s[42:43], s[44:45]
	s_abs_i32 s68, s8
	s_ashr_i32 s70, s12, 31
	v_mul_f32_e32 v1, 0x4f7ffffe, v1
	v_cvt_u32_f32_e32 v1, v1
	s_abs_i32 s12, s12
	v_cvt_f32_u32_e32 v3, s68
	v_cvt_f32_u32_e32 v5, s12
	v_readfirstlane_b32 s45, v1
	v_cvt_f32_u32_e32 v1, s66
	s_load_dword s58, s[0:1], 0xec
	v_rcp_iflag_f32_e32 v3, v3
	s_sub_i32 s44, 0, s33
	v_rcp_iflag_f32_e32 v1, v1
	v_rcp_iflag_f32_e32 v5, v5
	s_mul_i32 s44, s44, s45
	s_mul_hi_u32 s44, s45, s44
	v_mul_f32_e32 v1, 0x4f7ffffe, v1
	s_add_i32 s69, s45, s44
	s_mul_i32 s44, s54, s57
	s_mul_hi_u32 s45, s54, s56
	v_cvt_u32_f32_e32 v1, v1
	v_mul_f32_e32 v3, 0x4f7ffffe, v3
	s_waitcnt lgkmcnt(0)
	s_and_b32 s64, s58, 0xffff
	s_add_i32 s45, s45, s44
	s_mul_i32 s55, s55, s56
	s_mul_i32 s44, s54, s56
	s_load_dwordx8 s[56:63], s[0:1], 0x68
	v_cvt_u32_f32_e32 v3, v3
	v_mul_f32_e32 v5, 0x4f7ffffe, v5
	v_cvt_u32_f32_e32 v6, v5
	s_sub_i32 s71, 0, s66
	s_sub_i32 s72, 0, s68
	v_mul_lo_u32 v2, s71, v1
	s_add_i32 s45, s45, s55
	s_sub_i32 s73, 0, s12
	v_mul_lo_u32 v4, s72, v3
	v_mul_hi_u32 v2, v1, v2
	s_ashr_i32 s65, s6, 31
	s_ashr_i32 s67, s8, 31
	;; [unrolled: 1-line block ×3, first 2 shown]
	s_lshl_b64 s[54:55], s[44:45], 1
	s_lshl_b64 s[44:45], s[46:47], 1
	s_waitcnt lgkmcnt(0)
	s_lshl_b64 s[0:1], s[58:59], 1
	s_lshl_b64 s[46:47], s[50:51], 1
	;; [unrolled: 1-line block ×4, first 2 shown]
	v_mul_lo_u32 v7, s73, v6
	v_add_u32_e32 v5, v1, v2
	v_mul_hi_u32 v1, v3, v4
	s_add_u32 s52, s52, s54
	v_add_u32_e32 v20, v3, v1
	v_mul_hi_u32 v1, v6, v7
	s_addc_u32 s53, s53, s55
	s_lshl_b64 s[54:55], s[62:63], 1
	s_lshl_b64 s[56:57], s[60:61], 1
	;; [unrolled: 1-line block ×4, first 2 shown]
	v_add_u32_e32 v21, v6, v1
	v_mov_b32_e32 v22, 0
	s_mov_b32 s71, 0x7f800000
	s_mov_b64 s[58:59], 0
	s_branch .LBB43_3
.LBB43_2:                               ;   in Loop: Header=BB43_3 Depth=1
	v_add_u32_e32 v0, s64, v0
	v_cmp_le_i32_e32 vcc, s19, v0
	s_or_b64 s[58:59], vcc, s[58:59]
	s_andn2_b64 exec, exec, s[58:59]
	s_cbranch_execz .LBB43_30
.LBB43_3:                               ; =>This Loop Header: Depth=1
                                        ;     Child Loop BB43_8 Depth 2
                                        ;       Child Loop BB43_17 Depth 3
                                        ;         Child Loop BB43_24 Depth 4
	v_sub_u32_e32 v2, 0, v0
	v_max_i32_e32 v2, v0, v2
	v_mul_hi_u32 v3, v2, v5
	v_mul_lo_u32 v4, v3, s66
	v_sub_u32_e32 v2, v2, v4
	v_add_u32_e32 v4, 1, v3
	v_cmp_le_u32_e32 vcc, s66, v2
	v_ashrrev_i32_e32 v1, 31, v0
	v_xor_b32_e32 v1, s65, v1
	v_cndmask_b32_e32 v3, v3, v4, vcc
	v_subrev_u32_e32 v4, s66, v2
	v_cndmask_b32_e32 v2, v2, v4, vcc
	v_add_u32_e32 v4, 1, v3
	v_cmp_le_u32_e32 vcc, s66, v2
	s_nop 1
	v_cndmask_b32_e32 v2, v3, v4, vcc
	v_xor_b32_e32 v2, v2, v1
	v_sub_u32_e32 v23, v2, v1
	v_mul_lo_u32 v1, v23, s6
	v_sub_u32_e32 v8, v0, v1
	v_sub_u32_e32 v2, 0, v8
	v_max_i32_e32 v2, v8, v2
	v_mul_hi_u32 v3, v2, v20
	v_mul_lo_u32 v4, v3, s68
	v_sub_u32_e32 v2, v2, v4
	v_add_u32_e32 v4, 1, v3
	v_cmp_le_u32_e32 vcc, s68, v2
	v_ashrrev_i32_e32 v9, 31, v8
	v_xor_b32_e32 v1, s67, v9
	v_cndmask_b32_e32 v3, v3, v4, vcc
	v_subrev_u32_e32 v4, s68, v2
	v_cndmask_b32_e32 v2, v2, v4, vcc
	v_add_u32_e32 v4, 1, v3
	v_cmp_le_u32_e32 vcc, s68, v2
	s_nop 1
	v_cndmask_b32_e32 v2, v3, v4, vcc
	v_xor_b32_e32 v2, v2, v1
	v_sub_u32_e32 v2, v2, v1
	v_mul_lo_u32 v10, v2, s8
	v_sub_u32_e32 v4, v8, v10
	s_andn2_b64 vcc, exec, s[4:5]
	v_ashrrev_i32_e32 v1, 31, v2
	v_ashrrev_i32_e32 v3, 31, v4
	s_cbranch_vccnz .LBB43_5
; %bb.4:                                ;   in Loop: Header=BB43_3 Depth=1
	s_mov_b64 s[62:63], 0
	v_mov_b64_e32 v[6:7], s[62:63]
	s_cbranch_execz .LBB43_6
	s_branch .LBB43_26
.LBB43_5:                               ;   in Loop: Header=BB43_3 Depth=1
                                        ; implicit-def: $sgpr62_sgpr63
	v_mov_b64_e32 v[6:7], s[62:63]
.LBB43_6:                               ;   in Loop: Header=BB43_3 Depth=1
	v_ashrrev_i32_e32 v6, 31, v10
	v_sub_co_u32_e32 v8, vcc, v8, v10
	v_mul_lo_u32 v10, s1, v2
	s_nop 0
	v_subb_co_u32_e32 v9, vcc, v9, v6, vcc
	v_mul_lo_u32 v11, s0, v1
	v_mad_u64_u32 v[6:7], s[60:61], s0, v2, 0
	v_add3_u32 v7, v7, v11, v10
	v_mad_u64_u32 v[6:7], s[60:61], s44, v8, v[6:7]
	v_mul_lo_u32 v9, s44, v9
	v_mul_lo_u32 v8, s45, v8
	v_add3_u32 v7, v8, v7, v9
	v_lshl_add_u64 v[8:9], s[22:23], 0, v[6:7]
	v_mov_b64_e32 v[6:7], s[52:53]
	v_mad_u64_u32 v[10:11], s[60:61], s54, v2, v[6:7]
	v_mul_lo_u32 v6, s55, v2
	v_mul_lo_u32 v7, s54, v1
	v_add_u32_e32 v24, s16, v23
	v_add3_u32 v11, v6, v11, v7
	s_mov_b32 s72, 0
	v_mov_b64_e32 v[6:7], 0
	s_branch .LBB43_8
.LBB43_7:                               ;   in Loop: Header=BB43_8 Depth=2
	s_add_i32 s72, s72, 1
	s_cmp_eq_u32 s72, s17
	v_lshl_add_u64 v[8:9], v[8:9], 0, s[46:47]
	s_cbranch_scc1 .LBB43_26
.LBB43_8:                               ;   Parent Loop BB43_3 Depth=1
                                        ; =>  This Loop Header: Depth=2
                                        ;       Child Loop BB43_17 Depth 3
                                        ;         Child Loop BB43_24 Depth 4
	s_mul_i32 s60, s72, s13
	s_sub_i32 s78, s15, s60
	s_cmp_gt_i32 s78, -1
	s_cbranch_scc0 .LBB43_10
; %bb.9:                                ;   in Loop: Header=BB43_8 Depth=2
	s_abs_i32 s60, s78
	s_mul_hi_u32 s74, s60, s69
	s_mul_i32 s61, s74, s33
	s_sub_i32 s75, s60, s61
	s_ashr_i32 s73, s78, 31
	s_sub_i32 s76, s75, s33
	s_cmp_ge_u32 s75, s33
	s_cselect_b32 s60, s76, s75
	s_sub_i32 s61, s60, s33
	s_cmp_ge_u32 s60, s33
	s_cselect_b32 s60, s61, s60
	s_xor_b32 s60, s60, s73
	s_sub_i32 s60, s60, s73
	s_cmp_lg_u32 s60, 0
	s_mov_b32 s77, 1
	s_cselect_b64 s[60:61], -1, 0
	s_cbranch_execz .LBB43_11
	s_branch .LBB43_12
.LBB43_10:                              ;   in Loop: Header=BB43_8 Depth=2
	s_mov_b64 s[60:61], 0
                                        ; implicit-def: $sgpr77
                                        ; implicit-def: $sgpr73
                                        ; implicit-def: $sgpr74
                                        ; implicit-def: $sgpr75
                                        ; implicit-def: $sgpr76
.LBB43_11:                              ;   in Loop: Header=BB43_8 Depth=2
	s_abs_i32 s60, s78
	s_mul_hi_u32 s74, s60, s69
	s_mul_i32 s61, s74, s33
	s_sub_i32 s75, s60, s61
	s_ashr_i32 s73, s78, 31
	s_sub_i32 s76, s75, s33
	s_mov_b64 s[60:61], -1
                                        ; implicit-def: $sgpr77
.LBB43_12:                              ;   in Loop: Header=BB43_8 Depth=2
	s_andn2_b64 vcc, exec, s[60:61]
	s_cbranch_vccz .LBB43_14
; %bb.13:                               ;   in Loop: Header=BB43_8 Depth=2
	s_andn2_b64 vcc, exec, s[20:21]
	s_cbranch_vccz .LBB43_15
	s_branch .LBB43_7
.LBB43_14:                              ;   in Loop: Header=BB43_8 Depth=2
	s_mov_b32 s77, 0
	s_andn2_b64 vcc, exec, s[20:21]
	s_cbranch_vccnz .LBB43_7
.LBB43_15:                              ;   in Loop: Header=BB43_8 Depth=2
	s_xor_b32 s60, s73, s11
	s_add_i32 s61, s74, 1
	s_cmp_ge_u32 s75, s33
	s_cselect_b32 s61, s61, s74
	s_cselect_b32 s62, s76, s75
	s_add_i32 s63, s61, 1
	s_cmp_ge_u32 s62, s33
	s_cselect_b32 s61, s63, s61
	s_xor_b32 s61, s61, s60
	s_sub_i32 s60, s61, s60
	s_cmp_lt_i32 s60, s9
	s_cselect_b32 s74, s77, 0
	s_ashr_i32 s61, s60, 31
	s_mul_i32 s61, s30, s61
	s_mul_i32 s62, s31, s60
	v_mov_b32_e32 v12, s60
	s_add_i32 s62, s61, s62
	v_mad_u64_u32 v[12:13], s[60:61], s30, v12, v[10:11]
	s_mov_b32 s73, 0
	v_add_u32_e32 v13, s62, v13
	v_mov_b64_e32 v[14:15], v[8:9]
	s_branch .LBB43_17
.LBB43_16:                              ;   in Loop: Header=BB43_17 Depth=3
	s_add_i32 s73, s73, 1
	s_cmp_eq_u32 s73, s18
	v_lshl_add_u64 v[14:15], v[14:15], 0, s[48:49]
	s_cbranch_scc1 .LBB43_7
.LBB43_17:                              ;   Parent Loop BB43_3 Depth=1
                                        ;     Parent Loop BB43_8 Depth=2
                                        ; =>    This Loop Header: Depth=3
                                        ;         Child Loop BB43_24 Depth 4
	s_mul_i32 s60, s73, s14
	v_subrev_u32_e32 v16, s60, v24
	v_sub_u32_e32 v18, 0, v16
	v_cmp_gt_i32_e64 s[60:61], 0, v16
	v_cmp_lt_i32_e32 vcc, -1, v16
	v_ashrrev_i32_e32 v17, 31, v16
	v_max_i32_e32 v16, v16, v18
                                        ; implicit-def: $sgpr75
	s_and_saveexec_b64 s[62:63], vcc
	s_cbranch_execnz .LBB43_20
; %bb.18:                               ;   in Loop: Header=BB43_17 Depth=3
	s_or_b64 exec, exec, s[62:63]
	v_mov_b32_e32 v18, s75
	s_and_saveexec_b64 s[62:63], s[60:61]
	s_cbranch_execnz .LBB43_21
.LBB43_19:                              ;   in Loop: Header=BB43_17 Depth=3
	s_or_b64 exec, exec, s[62:63]
	s_andn2_b64 vcc, exec, s[34:35]
	s_cbranch_vccz .LBB43_22
	s_branch .LBB43_16
.LBB43_20:                              ;   in Loop: Header=BB43_17 Depth=3
	v_mul_hi_u32 v18, v16, v21
	v_mul_lo_u32 v18, v18, s12
	v_sub_u32_e32 v18, v16, v18
	v_subrev_u32_e32 v19, s12, v18
	v_cmp_le_u32_e32 vcc, s12, v18
	s_andn2_b64 s[60:61], s[60:61], exec
	s_mov_b32 s75, 1
	v_cndmask_b32_e32 v18, v18, v19, vcc
	v_subrev_u32_e32 v19, s12, v18
	v_cmp_le_u32_e32 vcc, s12, v18
	s_nop 1
	v_cndmask_b32_e32 v18, v18, v19, vcc
	v_xor_b32_e32 v18, v18, v17
	v_sub_u32_e32 v18, v18, v17
	v_cmp_ne_u32_e32 vcc, 0, v18
	s_and_b64 s[76:77], vcc, exec
	s_or_b64 s[60:61], s[60:61], s[76:77]
	s_or_b64 exec, exec, s[62:63]
	v_mov_b32_e32 v18, s75
	s_and_saveexec_b64 s[62:63], s[60:61]
	s_cbranch_execz .LBB43_19
.LBB43_21:                              ;   in Loop: Header=BB43_17 Depth=3
	v_mov_b32_e32 v18, 0
	s_or_b64 exec, exec, s[62:63]
	s_andn2_b64 vcc, exec, s[34:35]
	s_cbranch_vccnz .LBB43_16
.LBB43_22:                              ;   in Loop: Header=BB43_17 Depth=3
	v_mul_hi_u32 v19, v16, v21
	v_mul_lo_u32 v25, v19, s12
	v_sub_u32_e32 v16, v16, v25
	v_add_u32_e32 v25, 1, v19
	v_cmp_le_u32_e32 vcc, s12, v16
	v_xor_b32_e32 v17, s70, v17
	s_mov_b32 s62, s7
	v_cndmask_b32_e32 v19, v19, v25, vcc
	v_subrev_u32_e32 v25, s12, v16
	v_cndmask_b32_e32 v16, v16, v25, vcc
	v_add_u32_e32 v25, 1, v19
	v_cmp_le_u32_e32 vcc, s12, v16
	s_nop 1
	v_cndmask_b32_e32 v16, v19, v25, vcc
	v_xor_b32_e32 v16, v16, v17
	v_sub_u32_e32 v16, v16, v17
	v_cmp_gt_i32_e32 vcc, s10, v16
	v_mul_lo_u32 v19, s29, v16
	s_nop 0
	v_cndmask_b32_e32 v17, 0, v18, vcc
	v_and_b32_e32 v17, s74, v17
	v_cmp_ne_u32_e32 vcc, 0, v17
	v_ashrrev_i32_e32 v17, 31, v16
	v_mul_lo_u32 v18, s28, v17
	v_mad_u64_u32 v[16:17], s[60:61], s28, v16, v[12:13]
	v_add3_u32 v17, v19, v17, v18
	v_mov_b64_e32 v[18:19], v[14:15]
	s_branch .LBB43_24
.LBB43_23:                              ;   in Loop: Header=BB43_24 Depth=4
	s_or_b64 exec, exec, s[60:61]
	s_add_i32 s62, s62, -1
	v_lshl_add_u64 v[18:19], v[18:19], 0, s[50:51]
	s_cmp_eq_u32 s62, 0
	v_lshl_add_u64 v[16:17], v[16:17], 0, s[56:57]
	s_cbranch_scc1 .LBB43_16
.LBB43_24:                              ;   Parent Loop BB43_3 Depth=1
                                        ;     Parent Loop BB43_8 Depth=2
                                        ;       Parent Loop BB43_17 Depth=3
                                        ; =>      This Inner Loop Header: Depth=4
	s_and_saveexec_b64 s[60:61], vcc
	s_cbranch_execz .LBB43_23
; %bb.25:                               ;   in Loop: Header=BB43_24 Depth=4
	global_load_ushort v25, v[16:17], off
	global_load_ushort v26, v[18:19], off
	s_waitcnt vmcnt(1)
	v_lshlrev_b32_e32 v25, 16, v25
	s_waitcnt vmcnt(0)
	v_lshlrev_b32_e32 v28, 16, v26
	v_cvt_f64_f32_e32 v[26:27], v25
	v_cvt_f64_f32_e32 v[28:29], v28
	v_fmac_f64_e32 v[6:7], v[26:27], v[28:29]
	s_branch .LBB43_23
.LBB43_26:                              ;   in Loop: Header=BB43_3 Depth=1
	v_ashrrev_i32_e32 v8, 31, v23
	v_mul_lo_u32 v10, s41, v23
	v_mul_lo_u32 v11, s40, v8
	v_mad_u64_u32 v[8:9], s[60:61], s40, v23, 0
	v_add3_u32 v9, v9, v11, v10
	v_mad_u64_u32 v[8:9], s[60:61], v4, s36, v[8:9]
	v_mul_lo_u32 v4, v4, s37
	v_mul_lo_u32 v3, v3, s36
	v_add3_u32 v9, v3, v9, v4
	v_mad_u64_u32 v[8:9], s[60:61], v2, s38, v[8:9]
	v_mul_lo_u32 v2, v2, s39
	v_mul_lo_u32 v1, v1, s38
	v_add3_u32 v9, v1, v9, v2
	s_mov_b64 s[60:61], -1
	s_and_b64 vcc, exec, s[42:43]
	v_lshl_add_u64 v[2:3], v[8:9], 1, s[2:3]
	s_cbranch_vccz .LBB43_28
; %bb.27:                               ;   in Loop: Header=BB43_3 Depth=1
	global_load_ushort v1, v[2:3], off
	s_waitcnt vmcnt(0)
	v_lshlrev_b32_e32 v1, 16, v1
	v_cvt_f64_f32_e32 v[8:9], v1
	v_mul_f64 v[8:9], v[8:9], s[26:27]
	v_fmac_f64_e32 v[8:9], s[24:25], v[6:7]
	v_cvt_f32_f64_e32 v1, v[8:9]
	v_and_b32_e32 v4, 0x7f800000, v1
	v_cmp_ne_u32_sdwa s[60:61], v1, v22 src0_sel:WORD_0 src1_sel:DWORD
	v_cmp_eq_u32_e32 vcc, s71, v4
	s_and_b64 s[60:61], vcc, s[60:61]
	v_cndmask_b32_e64 v4, 0, 1, s[60:61]
	v_or_b32_sdwa v1, v1, v4 dst_sel:DWORD dst_unused:UNUSED_PAD src0_sel:WORD_1 src1_sel:DWORD
	global_store_short v[2:3], v1, off
	s_mov_b64 s[60:61], 0
.LBB43_28:                              ;   in Loop: Header=BB43_3 Depth=1
	s_andn2_b64 vcc, exec, s[60:61]
	s_cbranch_vccnz .LBB43_2
; %bb.29:                               ;   in Loop: Header=BB43_3 Depth=1
	v_cvt_f32_f64_e32 v1, v[6:7]
	v_and_b32_e32 v4, 0x7f800000, v1
	v_cmp_eq_u32_e32 vcc, s71, v4
	v_cmp_ne_u32_sdwa s[60:61], v1, v22 src0_sel:WORD_0 src1_sel:DWORD
	s_and_b64 s[60:61], vcc, s[60:61]
	s_nop 0
	v_cndmask_b32_e64 v4, 0, 1, s[60:61]
	v_or_b32_sdwa v1, v1, v4 dst_sel:DWORD dst_unused:UNUSED_PAD src0_sel:WORD_1 src1_sel:DWORD
	global_store_short v[2:3], v1, off
	s_branch .LBB43_2
.LBB43_30:
	s_endpgm
	.section	.rodata,"a",@progbits
	.p2align	6, 0x0
	.amdhsa_kernel naive_conv_ab_nonpacked_bwd_nhwc_ushort_double_ushort_0
		.amdhsa_group_segment_fixed_size 0
		.amdhsa_private_segment_fixed_size 0
		.amdhsa_kernarg_size 480
		.amdhsa_user_sgpr_count 2
		.amdhsa_user_sgpr_dispatch_ptr 0
		.amdhsa_user_sgpr_queue_ptr 0
		.amdhsa_user_sgpr_kernarg_segment_ptr 1
		.amdhsa_user_sgpr_dispatch_id 0
		.amdhsa_user_sgpr_kernarg_preload_length 0
		.amdhsa_user_sgpr_kernarg_preload_offset 0
		.amdhsa_user_sgpr_private_segment_size 0
		.amdhsa_uses_dynamic_stack 0
		.amdhsa_enable_private_segment 0
		.amdhsa_system_sgpr_workgroup_id_x 1
		.amdhsa_system_sgpr_workgroup_id_y 0
		.amdhsa_system_sgpr_workgroup_id_z 0
		.amdhsa_system_sgpr_workgroup_info 0
		.amdhsa_system_vgpr_workitem_id 0
		.amdhsa_next_free_vgpr 30
		.amdhsa_next_free_sgpr 79
		.amdhsa_accum_offset 32
		.amdhsa_reserve_vcc 1
		.amdhsa_float_round_mode_32 0
		.amdhsa_float_round_mode_16_64 0
		.amdhsa_float_denorm_mode_32 3
		.amdhsa_float_denorm_mode_16_64 3
		.amdhsa_dx10_clamp 1
		.amdhsa_ieee_mode 1
		.amdhsa_fp16_overflow 0
		.amdhsa_tg_split 0
		.amdhsa_exception_fp_ieee_invalid_op 0
		.amdhsa_exception_fp_denorm_src 0
		.amdhsa_exception_fp_ieee_div_zero 0
		.amdhsa_exception_fp_ieee_overflow 0
		.amdhsa_exception_fp_ieee_underflow 0
		.amdhsa_exception_fp_ieee_inexact 0
		.amdhsa_exception_int_div_zero 0
	.end_amdhsa_kernel
	.text
.Lfunc_end43:
	.size	naive_conv_ab_nonpacked_bwd_nhwc_ushort_double_ushort_0, .Lfunc_end43-naive_conv_ab_nonpacked_bwd_nhwc_ushort_double_ushort_0
                                        ; -- End function
	.section	.AMDGPU.csdata,"",@progbits
; Kernel info:
; codeLenInByte = 2108
; NumSgprs: 85
; NumVgprs: 30
; NumAgprs: 0
; TotalNumVgprs: 30
; ScratchSize: 0
; MemoryBound: 0
; FloatMode: 240
; IeeeMode: 1
; LDSByteSize: 0 bytes/workgroup (compile time only)
; SGPRBlocks: 10
; VGPRBlocks: 3
; NumSGPRsForWavesPerEU: 85
; NumVGPRsForWavesPerEU: 30
; AccumOffset: 32
; Occupancy: 8
; WaveLimiterHint : 0
; COMPUTE_PGM_RSRC2:SCRATCH_EN: 0
; COMPUTE_PGM_RSRC2:USER_SGPR: 2
; COMPUTE_PGM_RSRC2:TRAP_HANDLER: 0
; COMPUTE_PGM_RSRC2:TGID_X_EN: 1
; COMPUTE_PGM_RSRC2:TGID_Y_EN: 0
; COMPUTE_PGM_RSRC2:TGID_Z_EN: 0
; COMPUTE_PGM_RSRC2:TIDIG_COMP_CNT: 0
; COMPUTE_PGM_RSRC3_GFX90A:ACCUM_OFFSET: 7
; COMPUTE_PGM_RSRC3_GFX90A:TG_SPLIT: 0
	.text
	.protected	naive_conv_ab_packed_wrw_nchw_float_double_float_0 ; -- Begin function naive_conv_ab_packed_wrw_nchw_float_double_float_0
	.globl	naive_conv_ab_packed_wrw_nchw_float_double_float_0
	.p2align	8
	.type	naive_conv_ab_packed_wrw_nchw_float_double_float_0,@function
naive_conv_ab_packed_wrw_nchw_float_double_float_0: ; @naive_conv_ab_packed_wrw_nchw_float_double_float_0
; %bb.0:
	s_load_dwordx16 s[4:19], s[0:1], 0xa0
	s_waitcnt lgkmcnt(0)
	s_abs_i32 s3, s7
	v_cvt_f32_u32_e32 v1, s3
	s_mul_i32 s34, s18, s17
	s_mul_i32 s33, s34, s8
	v_cmp_gt_i32_e32 vcc, s33, v0
	v_rcp_iflag_f32_e32 v1, v1
	s_nop 0
	v_mul_f32_e32 v1, 0x4f7ffffe, v1
	v_cvt_u32_f32_e32 v1, v1
	s_nop 0
	v_readfirstlane_b32 s28, v1
	s_and_saveexec_b64 s[20:21], vcc
	s_cbranch_execz .LBB44_18
; %bb.1:
	s_sub_i32 s35, 0, s3
	s_mul_i32 s35, s35, s28
	s_mul_hi_u32 s35, s28, s35
	s_abs_i32 s31, s2
	s_add_i32 s28, s28, s35
	s_ashr_i32 s29, s2, 31
	s_ashr_i32 s30, s7, 31
	s_mul_hi_u32 s28, s31, s28
	s_xor_b32 s29, s29, s30
	s_mul_i32 s30, s28, s3
	s_sub_i32 s30, s31, s30
	s_add_i32 s31, s28, 1
	s_sub_i32 s35, s30, s3
	s_cmp_ge_u32 s30, s3
	s_cselect_b32 s28, s31, s28
	s_cselect_b32 s30, s35, s30
	s_add_i32 s31, s28, 1
	s_cmp_ge_u32 s30, s3
	s_cselect_b32 s3, s31, s28
	s_xor_b32 s3, s3, s29
	s_sub_i32 s28, s3, s29
	s_ashr_i32 s3, s8, 31
	s_ashr_i32 s44, s4, 31
	s_mov_b32 s45, s4
	s_mul_hi_i32 s31, s5, s4
	s_mul_i32 s4, s5, s4
	s_mul_i32 s29, s28, s7
	s_ashr_i32 s46, s5, 31
	s_mov_b32 s47, s5
	s_mul_i32 s3, s4, s3
	s_mul_hi_u32 s5, s4, s8
	s_load_dwordx8 s[20:27], s[0:1], 0x0
	s_sub_i32 s30, s2, s29
	s_ashr_i32 s2, s28, 31
	s_add_i32 s3, s5, s3
	s_mul_i32 s31, s31, s8
	s_mul_i32 s4, s4, s8
	s_add_i32 s3, s3, s31
	s_mul_i32 s2, s4, s2
	s_mul_hi_u32 s5, s4, s28
	s_add_i32 s2, s5, s2
	s_mul_i32 s3, s3, s28
	s_add_i32 s3, s2, s3
	s_mul_i32 s2, s4, s28
	s_lshl_b64 s[2:3], s[2:3], 2
	s_waitcnt lgkmcnt(0)
	s_add_u32 s2, s20, s2
	s_addc_u32 s3, s21, s3
	s_ashr_i32 s48, s17, 31
	s_ashr_i32 s50, s18, 31
	;; [unrolled: 1-line block ×3, first 2 shown]
	s_mul_hi_i32 s4, s28, s7
	s_add_u32 s35, s29, s30
	s_addc_u32 s40, s4, s5
	s_mul_i32 s5, s17, s8
	s_mul_hi_i32 s4, s17, s8
	s_mul_i32 s20, s5, s50
	s_mul_hi_u32 s21, s5, s18
	s_add_i32 s20, s21, s20
	s_mul_i32 s4, s4, s18
	s_add_i32 s4, s20, s4
	s_mul_i32 s20, s5, s18
	s_mul_i32 s5, s20, s40
	s_mul_hi_u32 s21, s20, s35
	s_add_i32 s5, s21, s5
	s_mul_i32 s4, s4, s35
	s_add_i32 s5, s5, s4
	s_mul_i32 s4, s20, s35
	s_lshl_b64 s[4:5], s[4:5], 2
	s_add_u32 s4, s22, s4
	s_addc_u32 s5, s23, s5
	s_ashr_i32 s37, s10, 31
	s_cmp_lt_i32 s6, 1
	s_cselect_b64 s[20:21], -1, 0
	s_cmp_gt_i32 s9, 0
	s_cselect_b64 s[22:23], -1, 0
	s_cmp_gt_i32 s10, 0
	s_cselect_b64 s[28:29], -1, 0
	s_abs_i32 s54, s18
	v_cvt_f32_u32_e32 v1, s54
	v_cmp_neq_f64_e64 s[30:31], s[24:25], 1.0
	v_cmp_neq_f64_e64 s[38:39], s[26:27], 0
	s_or_b64 s[30:31], s[30:31], s[38:39]
	v_rcp_iflag_f32_e32 v1, v1
	s_load_dwordx2 s[38:39], s[0:1], 0x20
	s_nop 0
	s_load_dword s0, s[0:1], 0xec
	s_abs_i32 s55, s17
	v_cvt_f32_u32_e32 v2, s55
	v_mul_f32_e32 v1, 0x4f7ffffe, v1
	v_cvt_u32_f32_e32 v1, v1
	s_abs_i32 s57, s34
	v_cvt_f32_u32_e32 v4, s57
	s_waitcnt lgkmcnt(0)
	s_and_b32 s56, s0, 0xffff
	s_sub_i32 s0, 0, s54
	v_mul_lo_u32 v3, s0, v1
	v_rcp_iflag_f32_e32 v2, v2
	v_mul_hi_u32 v3, v1, v3
	v_add_u32_e32 v1, v1, v3
	v_rcp_iflag_f32_e32 v3, v4
	v_mul_f32_e32 v2, 0x4f7ffffe, v2
	v_cvt_u32_f32_e32 v2, v2
	s_sub_i32 s0, 0, s55
	v_mul_f32_e32 v3, 0x4f7ffffe, v3
	v_cvt_u32_f32_e32 v3, v3
	v_mul_lo_u32 v4, s0, v2
	s_mov_b32 s49, s17
	v_mul_hi_u32 v4, v2, v4
	s_sub_i32 s0, 0, s57
	s_mul_i32 s17, s10, s9
	v_add_u32_e32 v16, v2, v4
	s_ashr_i32 s58, s34, 31
	v_mul_lo_u32 v2, s0, v3
	s_mul_i32 s0, s17, s40
	s_mul_hi_u32 s1, s17, s35
	s_mul_hi_i32 s34, s10, s9
	s_add_i32 s0, s1, s0
	s_mul_i32 s1, s34, s35
	s_mul_i32 s53, s19, s8
	;; [unrolled: 1-line block ×3, first 2 shown]
	s_add_i32 s1, s0, s1
	s_mul_i32 s0, s17, s35
	s_ashr_i32 s7, s53, 31
	s_ashr_i32 s42, s41, 31
	s_lshl_b64 s[0:1], s[0:1], 2
	s_add_u32 s8, s38, s0
	s_mov_b32 s52, s9
	s_addc_u32 s9, s39, s1
	s_mul_hi_u32 s0, s17, s41
	s_mul_i32 s1, s17, s42
	s_add_i32 s0, s0, s1
	s_mul_i32 s34, s34, s41
	s_mov_b32 s36, s10
	v_mul_hi_u32 v2, v3, v2
	s_add_i32 s1, s0, s34
	s_mul_i32 s0, s17, s41
	s_mov_b32 s51, s18
	s_mov_b64 s[18:19], 0
	v_add_u32_e32 v17, v3, v2
	s_lshl_b64 s[34:35], s[0:1], 2
	s_lshl_b64 s[36:37], s[36:37], 2
	s_sub_i32 s59, 0, s16
	v_mov_b32_e32 v3, 0
	s_branch .LBB44_3
.LBB44_2:                               ;   in Loop: Header=BB44_3 Depth=1
	v_add_u32_e32 v0, s56, v0
	v_cmp_le_i32_e32 vcc, s33, v0
	v_cvt_f32_f64_e32 v2, v[8:9]
	s_or_b64 s[18:19], vcc, s[18:19]
	global_store_dword v[4:5], v2, off
	s_andn2_b64 exec, exec, s[18:19]
	s_cbranch_execz .LBB44_18
.LBB44_3:                               ; =>This Loop Header: Depth=1
                                        ;     Child Loop BB44_8 Depth 2
                                        ;       Child Loop BB44_11 Depth 3
                                        ;         Child Loop BB44_14 Depth 4
	v_sub_u32_e32 v5, 0, v0
	v_max_i32_e32 v5, v0, v5
	v_mul_hi_u32 v6, v5, v1
	v_mul_lo_u32 v7, v6, s54
	v_sub_u32_e32 v7, v5, v7
	v_add_u32_e32 v8, 1, v6
	v_cmp_le_u32_e32 vcc, s54, v7
	v_ashrrev_i32_e32 v4, 31, v0
	v_xor_b32_e32 v2, s50, v4
	v_cndmask_b32_e32 v6, v6, v8, vcc
	v_subrev_u32_e32 v8, s54, v7
	v_cndmask_b32_e32 v7, v7, v8, vcc
	v_add_u32_e32 v8, 1, v6
	v_cmp_le_u32_e32 vcc, s54, v7
	v_xor_b32_e32 v4, s58, v4
	s_mov_b64 s[38:39], -1
	v_cndmask_b32_e32 v6, v6, v8, vcc
	v_xor_b32_e32 v6, v6, v2
	v_sub_u32_e32 v2, v6, v2
	v_sub_u32_e32 v6, 0, v2
	v_max_i32_e32 v6, v2, v6
	v_mul_hi_u32 v7, v6, v16
	v_mul_lo_u32 v7, v7, s55
	v_sub_u32_e32 v6, v6, v7
	v_subrev_u32_e32 v7, s55, v6
	v_cmp_le_u32_e32 vcc, s55, v6
                                        ; implicit-def: $sgpr16_sgpr17
	s_nop 1
	v_cndmask_b32_e32 v7, v6, v7, vcc
	v_mul_hi_u32 v6, v5, v17
	v_mul_lo_u32 v8, v6, s57
	v_sub_u32_e32 v5, v5, v8
	v_add_u32_e32 v8, 1, v6
	v_cmp_le_u32_e32 vcc, s57, v5
	v_cmp_le_u32_e64 s[0:1], s55, v7
	s_nop 0
	v_cndmask_b32_e32 v6, v6, v8, vcc
	v_subrev_u32_e32 v8, s57, v5
	v_cndmask_b32_e32 v5, v5, v8, vcc
	v_add_u32_e32 v8, 1, v6
	v_cmp_le_u32_e32 vcc, s57, v5
	s_nop 1
	v_cndmask_b32_e32 v5, v6, v8, vcc
	v_xor_b32_e32 v5, v5, v4
	v_sub_u32_e32 v4, v5, v4
	s_andn2_b64 vcc, exec, s[20:21]
	v_ashrrev_i32_e32 v5, 31, v4
	s_cbranch_vccnz .LBB44_5
; %bb.4:                                ;   in Loop: Header=BB44_3 Depth=1
	s_mov_b64 s[38:39], 0
	s_mov_b64 s[16:17], 0
.LBB44_5:                               ;   in Loop: Header=BB44_3 Depth=1
	v_subrev_u32_e32 v8, s55, v7
	v_mul_lo_u32 v6, v2, s51
	v_ashrrev_i32_e32 v2, 31, v2
	v_cndmask_b32_e64 v7, v7, v8, s[0:1]
	v_xor_b32_e32 v7, v7, v2
	v_sub_u32_e32 v6, v0, v6
	v_sub_u32_e32 v10, v7, v2
	s_andn2_b64 vcc, exec, s[38:39]
	v_mov_b64_e32 v[8:9], s[16:17]
	s_cbranch_vccnz .LBB44_16
; %bb.6:                                ;   in Loop: Header=BB44_3 Depth=1
	v_mul_lo_u32 v2, v6, s14
	v_mul_lo_u32 v7, v10, s13
	v_add_u32_e32 v11, s59, v2
	s_mov_b32 s60, 0
	v_mov_b64_e32 v[8:9], 0
	s_mov_b64 s[16:17], s[8:9]
	s_branch .LBB44_8
.LBB44_7:                               ;   in Loop: Header=BB44_8 Depth=2
	s_add_i32 s60, s60, 1
	s_add_u32 s16, s16, s34
	s_addc_u32 s17, s17, s35
	s_cmp_eq_u32 s60, s6
	s_cbranch_scc1 .LBB44_16
.LBB44_8:                               ;   Parent Loop BB44_3 Depth=1
                                        ; =>  This Loop Header: Depth=2
                                        ;       Child Loop BB44_11 Depth 3
                                        ;         Child Loop BB44_14 Depth 4
	s_andn2_b64 vcc, exec, s[22:23]
	s_cbranch_vccnz .LBB44_7
; %bb.9:                                ;   in Loop: Header=BB44_8 Depth=2
	v_mov_b32_e32 v2, s53
	v_mad_u64_u32 v[12:13], s[0:1], s60, v2, v[4:5]
	s_mul_i32 s0, s60, s7
	s_nop 0
	v_add_u32_e32 v2, s0, v13
	v_mul_lo_u32 v14, v12, s44
	v_mul_lo_u32 v2, v2, s45
	v_mad_u64_u32 v[12:13], s[0:1], v12, s45, 0
	v_add3_u32 v13, v13, v14, v2
	s_mov_b32 s61, 0
	s_mov_b64 s[38:39], s[16:17]
	s_branch .LBB44_11
.LBB44_10:                              ;   in Loop: Header=BB44_11 Depth=3
	s_add_i32 s61, s61, 1
	s_add_u32 s38, s38, s36
	s_addc_u32 s39, s39, s37
	s_cmp_eq_u32 s61, s52
	s_cbranch_scc1 .LBB44_7
.LBB44_11:                              ;   Parent Loop BB44_3 Depth=1
                                        ;     Parent Loop BB44_8 Depth=2
                                        ; =>    This Loop Header: Depth=3
                                        ;         Child Loop BB44_14 Depth 4
	s_andn2_b64 vcc, exec, s[28:29]
	s_cbranch_vccnz .LBB44_10
; %bb.12:                               ;   in Loop: Header=BB44_11 Depth=3
	s_mul_i32 s0, s61, s11
	s_sub_i32 s0, s0, s15
	v_add_u32_e32 v2, s0, v7
	v_cmp_gt_i32_e32 vcc, 0, v2
	v_cmp_le_i32_e64 s[0:1], s45, v2
	v_lshl_add_u64 v[14:15], v[12:13], 0, v[2:3]
	s_or_b64 s[40:41], vcc, s[0:1]
	v_mul_lo_u32 v2, v15, s47
	v_mul_lo_u32 v18, v14, s46
	v_mad_u64_u32 v[14:15], s[0:1], v14, s47, 0
	v_add3_u32 v15, v15, v18, v2
	v_lshl_add_u64 v[14:15], v[14:15], 2, s[2:3]
	v_mov_b32_e32 v2, v11
	s_mov_b64 s[42:43], s[38:39]
	s_mov_b32 s62, s10
	s_branch .LBB44_14
.LBB44_13:                              ;   in Loop: Header=BB44_14 Depth=4
	s_or_b64 exec, exec, s[0:1]
	s_add_i32 s62, s62, -1
	s_add_u32 s42, s42, 4
	s_addc_u32 s43, s43, 0
	s_cmp_eq_u32 s62, 0
	v_add_u32_e32 v2, s12, v2
	s_cbranch_scc1 .LBB44_10
.LBB44_14:                              ;   Parent Loop BB44_3 Depth=1
                                        ;     Parent Loop BB44_8 Depth=2
                                        ;       Parent Loop BB44_11 Depth=3
                                        ; =>      This Inner Loop Header: Depth=4
	v_cmp_gt_i32_e32 vcc, 0, v2
	v_cmp_le_i32_e64 s[0:1], s47, v2
	s_or_b64 s[0:1], vcc, s[0:1]
	s_or_b64 s[0:1], s[40:41], s[0:1]
	s_xor_b64 s[64:65], s[0:1], -1
	s_and_saveexec_b64 s[0:1], s[64:65]
	s_cbranch_execz .LBB44_13
; %bb.15:                               ;   in Loop: Header=BB44_14 Depth=4
	v_lshl_add_u64 v[18:19], v[2:3], 2, v[14:15]
	global_load_dword v18, v[18:19], off
	s_load_dword s63, s[42:43], 0x0
	s_waitcnt lgkmcnt(0)
	v_cvt_f64_f32_e32 v[20:21], s63
	s_waitcnt vmcnt(0)
	v_cvt_f64_f32_e32 v[18:19], v18
	v_fmac_f64_e32 v[8:9], v[18:19], v[20:21]
	s_branch .LBB44_13
.LBB44_16:                              ;   in Loop: Header=BB44_3 Depth=1
	v_ashrrev_i32_e32 v11, 31, v10
	v_mul_lo_u32 v2, v4, s48
	v_mul_lo_u32 v7, v5, s49
	v_mad_u64_u32 v[4:5], s[0:1], v4, s49, v[10:11]
	v_add3_u32 v2, v7, v5, v2
	v_mul_lo_u32 v2, v2, s51
	v_mul_lo_u32 v7, v4, s50
	v_mad_u64_u32 v[4:5], s[0:1], v4, s51, 0
	v_add3_u32 v5, v5, v7, v2
	v_ashrrev_i32_e32 v7, 31, v6
	v_lshl_add_u64 v[4:5], v[4:5], 2, s[4:5]
	s_andn2_b64 vcc, exec, s[30:31]
	v_lshl_add_u64 v[4:5], v[6:7], 2, v[4:5]
	s_cbranch_vccnz .LBB44_2
; %bb.17:                               ;   in Loop: Header=BB44_3 Depth=1
	global_load_dword v2, v[4:5], off
	s_waitcnt vmcnt(0)
	v_cvt_f64_f32_e32 v[6:7], v2
	v_mul_f64 v[6:7], v[6:7], s[26:27]
	v_fmac_f64_e32 v[6:7], s[24:25], v[8:9]
	v_mov_b64_e32 v[8:9], v[6:7]
	s_branch .LBB44_2
.LBB44_18:
	s_endpgm
	.section	.rodata,"a",@progbits
	.p2align	6, 0x0
	.amdhsa_kernel naive_conv_ab_packed_wrw_nchw_float_double_float_0
		.amdhsa_group_segment_fixed_size 0
		.amdhsa_private_segment_fixed_size 0
		.amdhsa_kernarg_size 480
		.amdhsa_user_sgpr_count 2
		.amdhsa_user_sgpr_dispatch_ptr 0
		.amdhsa_user_sgpr_queue_ptr 0
		.amdhsa_user_sgpr_kernarg_segment_ptr 1
		.amdhsa_user_sgpr_dispatch_id 0
		.amdhsa_user_sgpr_kernarg_preload_length 0
		.amdhsa_user_sgpr_kernarg_preload_offset 0
		.amdhsa_user_sgpr_private_segment_size 0
		.amdhsa_uses_dynamic_stack 0
		.amdhsa_enable_private_segment 0
		.amdhsa_system_sgpr_workgroup_id_x 1
		.amdhsa_system_sgpr_workgroup_id_y 0
		.amdhsa_system_sgpr_workgroup_id_z 0
		.amdhsa_system_sgpr_workgroup_info 0
		.amdhsa_system_vgpr_workitem_id 0
		.amdhsa_next_free_vgpr 22
		.amdhsa_next_free_sgpr 66
		.amdhsa_accum_offset 24
		.amdhsa_reserve_vcc 1
		.amdhsa_float_round_mode_32 0
		.amdhsa_float_round_mode_16_64 0
		.amdhsa_float_denorm_mode_32 3
		.amdhsa_float_denorm_mode_16_64 3
		.amdhsa_dx10_clamp 1
		.amdhsa_ieee_mode 1
		.amdhsa_fp16_overflow 0
		.amdhsa_tg_split 0
		.amdhsa_exception_fp_ieee_invalid_op 0
		.amdhsa_exception_fp_denorm_src 0
		.amdhsa_exception_fp_ieee_div_zero 0
		.amdhsa_exception_fp_ieee_overflow 0
		.amdhsa_exception_fp_ieee_underflow 0
		.amdhsa_exception_fp_ieee_inexact 0
		.amdhsa_exception_int_div_zero 0
	.end_amdhsa_kernel
	.text
.Lfunc_end44:
	.size	naive_conv_ab_packed_wrw_nchw_float_double_float_0, .Lfunc_end44-naive_conv_ab_packed_wrw_nchw_float_double_float_0
                                        ; -- End function
	.section	.AMDGPU.csdata,"",@progbits
; Kernel info:
; codeLenInByte = 1508
; NumSgprs: 72
; NumVgprs: 22
; NumAgprs: 0
; TotalNumVgprs: 22
; ScratchSize: 0
; MemoryBound: 0
; FloatMode: 240
; IeeeMode: 1
; LDSByteSize: 0 bytes/workgroup (compile time only)
; SGPRBlocks: 8
; VGPRBlocks: 2
; NumSGPRsForWavesPerEU: 72
; NumVGPRsForWavesPerEU: 22
; AccumOffset: 24
; Occupancy: 8
; WaveLimiterHint : 0
; COMPUTE_PGM_RSRC2:SCRATCH_EN: 0
; COMPUTE_PGM_RSRC2:USER_SGPR: 2
; COMPUTE_PGM_RSRC2:TRAP_HANDLER: 0
; COMPUTE_PGM_RSRC2:TGID_X_EN: 1
; COMPUTE_PGM_RSRC2:TGID_Y_EN: 0
; COMPUTE_PGM_RSRC2:TGID_Z_EN: 0
; COMPUTE_PGM_RSRC2:TIDIG_COMP_CNT: 0
; COMPUTE_PGM_RSRC3_GFX90A:ACCUM_OFFSET: 5
; COMPUTE_PGM_RSRC3_GFX90A:TG_SPLIT: 0
	.text
	.protected	naive_conv_ab_nonpacked_wrw_nchw_float_double_float_0 ; -- Begin function naive_conv_ab_nonpacked_wrw_nchw_float_double_float_0
	.globl	naive_conv_ab_nonpacked_wrw_nchw_float_double_float_0
	.p2align	8
	.type	naive_conv_ab_nonpacked_wrw_nchw_float_double_float_0,@function
naive_conv_ab_nonpacked_wrw_nchw_float_double_float_0: ; @naive_conv_ab_nonpacked_wrw_nchw_float_double_float_0
; %bb.0:
	s_load_dwordx8 s[20:27], s[0:1], 0xa0
	s_load_dwordx4 s[28:31], s[0:1], 0xd0
	s_waitcnt lgkmcnt(0)
	s_abs_i32 s3, s23
	v_cvt_f32_u32_e32 v1, s3
	s_mul_i32 s60, s30, s29
	s_mul_i32 s24, s60, s24
	v_cmp_gt_i32_e32 vcc, s24, v0
	v_rcp_iflag_f32_e32 v1, v1
	s_nop 0
	v_mul_f32_e32 v1, 0x4f7ffffe, v1
	v_cvt_u32_f32_e32 v1, v1
	s_nop 0
	v_readfirstlane_b32 s4, v1
	s_and_saveexec_b64 s[6:7], vcc
	s_cbranch_execz .LBB45_18
; %bb.1:
	s_sub_i32 s5, 0, s3
	s_mul_i32 s5, s5, s4
	s_mul_hi_u32 s5, s4, s5
	s_abs_i32 s56, s2
	s_add_i32 s4, s4, s5
	s_ashr_i32 s31, s2, 31
	s_ashr_i32 s33, s23, 31
	s_mul_hi_u32 s57, s56, s4
	s_xor_b32 s31, s31, s33
	s_mul_i32 s33, s57, s3
	s_sub_i32 s33, s56, s33
	s_add_i32 s56, s57, 1
	s_sub_i32 s61, s33, s3
	s_cmp_ge_u32 s33, s3
	s_cselect_b32 s56, s56, s57
	s_cselect_b32 s33, s61, s33
	s_add_i32 s57, s56, 1
	s_cmp_ge_u32 s33, s3
	s_cselect_b32 s3, s57, s56
	s_xor_b32 s3, s3, s31
	s_load_dwordx8 s[36:43], s[0:1], 0x0
	s_load_dwordx2 s[34:35], s[0:1], 0x20
	s_load_dwordx16 s[4:19], s[0:1], 0x28
	s_load_dwordx2 s[58:59], s[0:1], 0x98
	s_load_dwordx4 s[52:55], s[0:1], 0x88
	s_load_dwordx8 s[44:51], s[0:1], 0x68
	s_sub_i32 s31, s3, s31
	s_mul_i32 s3, s31, s23
	s_ashr_i32 s33, s31, 31
	s_sub_i32 s23, s2, s3
	s_waitcnt lgkmcnt(0)
	s_mul_i32 s2, s10, s33
	s_mul_hi_u32 s3, s10, s31
	s_add_i32 s2, s3, s2
	s_mul_i32 s3, s11, s31
	s_add_i32 s3, s2, s3
	s_mul_i32 s2, s10, s31
	s_lshl_b64 s[2:3], s[2:3], 2
	s_add_u32 s2, s36, s2
	s_mul_i32 s10, s46, s33
	s_mul_hi_u32 s11, s46, s31
	s_addc_u32 s3, s37, s3
	s_add_i32 s10, s11, s10
	s_mul_i32 s11, s47, s31
	s_add_i32 s11, s10, s11
	s_mul_i32 s10, s46, s31
	s_ashr_i32 s46, s23, 31
	s_mul_i32 s36, s44, s46
	s_mul_hi_u32 s37, s44, s23
	s_add_i32 s36, s37, s36
	s_mul_i32 s37, s45, s23
	s_add_i32 s37, s36, s37
	s_lshl_b64 s[10:11], s[10:11], 2
	s_mul_i32 s36, s44, s23
	s_add_u32 s38, s38, s10
	s_addc_u32 s39, s39, s11
	s_lshl_b64 s[10:11], s[36:37], 2
	s_add_u32 s10, s38, s10
	s_mul_i32 s33, s54, s33
	s_mul_hi_u32 s36, s54, s31
	s_addc_u32 s11, s39, s11
	s_add_i32 s33, s36, s33
	s_mul_i32 s36, s55, s31
	s_add_i32 s37, s33, s36
	s_mul_i32 s36, s54, s31
	s_mul_i32 s31, s52, s46
	s_mul_hi_u32 s33, s52, s23
	s_add_i32 s31, s33, s31
	s_mul_i32 s33, s53, s23
	s_add_i32 s39, s31, s33
	s_lshl_b64 s[36:37], s[36:37], 2
	s_mul_i32 s38, s52, s23
	s_add_u32 s23, s34, s36
	s_addc_u32 s31, s35, s37
	s_lshl_b64 s[34:35], s[38:39], 2
	s_add_u32 s34, s23, s34
	s_addc_u32 s35, s31, s35
	s_cmp_lt_i32 s22, 1
	s_cselect_b64 s[44:45], -1, 0
	s_cmp_gt_i32 s25, 0
	s_cselect_b64 s[46:47], -1, 0
	s_cmp_gt_i32 s26, 0
	s_cselect_b64 s[52:53], -1, 0
	s_abs_i32 s23, s30
	v_cvt_f32_u32_e32 v1, s23
	s_abs_i32 s33, s29
	v_cvt_f32_u32_e32 v2, s33
	s_abs_i32 s67, s60
	v_rcp_iflag_f32_e32 v1, v1
	v_cmp_neq_f64_e64 s[56:57], s[40:41], 1.0
	s_load_dwordx4 s[36:39], s[0:1], 0xc0
	s_load_dword s31, s[0:1], 0xec
	v_cmp_neq_f64_e64 s[0:1], s[42:43], 0
	v_mul_f32_e32 v1, 0x4f7ffffe, v1
	v_cvt_u32_f32_e32 v1, v1
	v_cvt_f32_u32_e32 v4, s67
	s_or_b64 s[56:57], s[56:57], s[0:1]
	s_sub_i32 s0, 0, s23
	v_mul_lo_u32 v3, s0, v1
	v_rcp_iflag_f32_e32 v2, v2
	v_mul_hi_u32 v3, v1, v3
	v_add_u32_e32 v12, v1, v3
	v_rcp_iflag_f32_e32 v1, v4
	v_mul_f32_e32 v2, 0x4f7ffffe, v2
	v_cvt_u32_f32_e32 v2, v2
	s_sub_i32 s0, 0, s33
	v_mul_f32_e32 v1, 0x4f7ffffe, v1
	v_cvt_u32_f32_e32 v1, v1
	v_mul_lo_u32 v3, s0, v2
	v_mul_hi_u32 v3, v2, v3
	s_sub_i32 s0, 0, s67
	v_add_u32_e32 v13, v2, v3
	v_mul_lo_u32 v2, s0, v1
	v_mul_hi_u32 v2, v1, v2
	s_mov_b64 s[54:55], 0
	s_waitcnt lgkmcnt(0)
	s_and_b32 s31, s31, 0xffff
	s_ashr_i32 s66, s30, 31
	s_ashr_i32 s68, s60, 31
	v_add_u32_e32 v14, v1, v2
	s_lshl_b64 s[58:59], s[58:59], 2
	s_lshl_b64 s[50:51], s[50:51], 2
	;; [unrolled: 1-line block ×3, first 2 shown]
	s_sub_i32 s69, 0, s28
	s_branch .LBB45_3
.LBB45_2:                               ;   in Loop: Header=BB45_3 Depth=1
	v_add_u32_e32 v0, s31, v0
	v_cmp_le_i32_e32 vcc, s24, v0
	v_cvt_f32_f64_e32 v1, v[4:5]
	s_or_b64 s[54:55], vcc, s[54:55]
	global_store_dword v[2:3], v1, off
	s_andn2_b64 exec, exec, s[54:55]
	s_cbranch_execz .LBB45_18
.LBB45_3:                               ; =>This Loop Header: Depth=1
                                        ;     Child Loop BB45_8 Depth 2
                                        ;       Child Loop BB45_11 Depth 3
                                        ;         Child Loop BB45_14 Depth 4
	v_sub_u32_e32 v3, 0, v0
	v_max_i32_e32 v3, v0, v3
	v_mul_hi_u32 v4, v3, v12
	v_mul_lo_u32 v5, v4, s23
	v_sub_u32_e32 v5, v3, v5
	v_add_u32_e32 v6, 1, v4
	v_cmp_le_u32_e32 vcc, s23, v5
	v_ashrrev_i32_e32 v1, 31, v0
	v_xor_b32_e32 v2, s66, v1
	v_cndmask_b32_e32 v4, v4, v6, vcc
	v_subrev_u32_e32 v6, s23, v5
	v_cndmask_b32_e32 v5, v5, v6, vcc
	v_add_u32_e32 v6, 1, v4
	v_cmp_le_u32_e32 vcc, s23, v5
	v_xor_b32_e32 v1, s68, v1
	s_mov_b64 s[60:61], -1
	v_cndmask_b32_e32 v4, v4, v6, vcc
	v_xor_b32_e32 v4, v4, v2
	v_sub_u32_e32 v4, v4, v2
	v_sub_u32_e32 v2, 0, v4
	v_max_i32_e32 v2, v4, v2
	v_mul_hi_u32 v5, v2, v13
	v_mul_lo_u32 v5, v5, s33
	v_sub_u32_e32 v2, v2, v5
	v_subrev_u32_e32 v5, s33, v2
	v_cmp_le_u32_e32 vcc, s33, v2
                                        ; implicit-def: $sgpr28_sgpr29
	s_nop 1
	v_cndmask_b32_e32 v5, v2, v5, vcc
	v_mul_hi_u32 v2, v3, v14
	v_mul_lo_u32 v6, v2, s67
	v_sub_u32_e32 v3, v3, v6
	v_add_u32_e32 v6, 1, v2
	v_cmp_le_u32_e32 vcc, s67, v3
	v_cmp_le_u32_e64 s[0:1], s33, v5
	s_nop 0
	v_cndmask_b32_e32 v2, v2, v6, vcc
	v_subrev_u32_e32 v6, s67, v3
	v_cndmask_b32_e32 v3, v3, v6, vcc
	v_add_u32_e32 v6, 1, v2
	v_cmp_le_u32_e32 vcc, s67, v3
	s_nop 1
	v_cndmask_b32_e32 v2, v2, v6, vcc
	v_xor_b32_e32 v2, v2, v1
	v_sub_u32_e32 v2, v2, v1
	s_andn2_b64 vcc, exec, s[44:45]
	v_ashrrev_i32_e32 v1, 31, v2
	s_cbranch_vccnz .LBB45_5
; %bb.4:                                ;   in Loop: Header=BB45_3 Depth=1
	s_mov_b64 s[60:61], 0
	s_mov_b64 s[28:29], 0
.LBB45_5:                               ;   in Loop: Header=BB45_3 Depth=1
	v_subrev_u32_e32 v6, s33, v5
	v_mul_lo_u32 v3, v4, s30
	v_ashrrev_i32_e32 v4, 31, v4
	v_cndmask_b32_e64 v5, v5, v6, s[0:1]
	v_xor_b32_e32 v5, v5, v4
	v_sub_u32_e32 v3, v0, v3
	v_sub_u32_e32 v15, v5, v4
	s_andn2_b64 vcc, exec, s[60:61]
	v_mov_b64_e32 v[4:5], s[28:29]
	s_cbranch_vccnz .LBB45_16
; %bb.6:                                ;   in Loop: Header=BB45_3 Depth=1
	v_mul_lo_u32 v6, s9, v2
	v_mul_lo_u32 v7, s8, v1
	v_mad_u64_u32 v[4:5], s[0:1], s8, v2, 0
	v_mul_lo_u32 v8, v3, s38
	v_add3_u32 v5, v5, v7, v6
	v_mul_lo_u32 v16, v15, s37
	v_lshl_add_u64 v[6:7], v[4:5], 2, s[2:3]
	v_add_u32_e32 v17, s69, v8
	s_mov_b32 s70, 0
	v_mov_b64_e32 v[4:5], 0
	s_mov_b64 s[28:29], s[34:35]
	s_branch .LBB45_8
.LBB45_7:                               ;   in Loop: Header=BB45_8 Depth=2
	s_add_i32 s70, s70, 1
	s_add_u32 s28, s28, s58
	s_addc_u32 s29, s29, s59
	s_cmp_eq_u32 s70, s22
	s_cbranch_scc1 .LBB45_16
.LBB45_8:                               ;   Parent Loop BB45_3 Depth=1
                                        ; =>  This Loop Header: Depth=2
                                        ;       Child Loop BB45_11 Depth 3
                                        ;         Child Loop BB45_14 Depth 4
	s_andn2_b64 vcc, exec, s[46:47]
	s_cbranch_vccnz .LBB45_7
; %bb.9:                                ;   in Loop: Header=BB45_8 Depth=2
	s_mul_i32 s0, s13, s70
	s_mul_hi_u32 s1, s12, s70
	s_add_i32 s1, s1, s0
	s_mul_i32 s0, s12, s70
	v_lshl_add_u64 v[8:9], s[0:1], 2, v[6:7]
	s_mov_b32 s71, 0
	s_mov_b64 s[60:61], s[28:29]
	s_branch .LBB45_11
.LBB45_10:                              ;   in Loop: Header=BB45_11 Depth=3
	s_add_i32 s71, s71, 1
	s_add_u32 s60, s60, s50
	s_addc_u32 s61, s61, s51
	s_cmp_eq_u32 s71, s25
	s_cbranch_scc1 .LBB45_7
.LBB45_11:                              ;   Parent Loop BB45_3 Depth=1
                                        ;     Parent Loop BB45_8 Depth=2
                                        ; =>    This Loop Header: Depth=3
                                        ;         Child Loop BB45_14 Depth 4
	s_andn2_b64 vcc, exec, s[52:53]
	s_cbranch_vccnz .LBB45_10
; %bb.12:                               ;   in Loop: Header=BB45_11 Depth=3
	s_mul_i32 s0, s71, s27
	s_sub_i32 s0, s0, s39
	v_add_u32_e32 v19, s0, v16
	v_cmp_gt_i32_e32 vcc, 0, v19
	v_cmp_le_i32_e64 s[0:1], s20, v19
	s_or_b64 s[62:63], vcc, s[0:1]
	v_mad_u64_u32 v[10:11], s[0:1], s6, v19, 0
	v_mov_b32_e32 v18, v11
	v_mad_u64_u32 v[18:19], s[0:1], s7, v19, v[18:19]
	v_mov_b32_e32 v11, v18
	v_lshl_add_u64 v[10:11], v[10:11], 2, v[8:9]
	v_mov_b32_e32 v18, v17
	s_mov_b64 s[64:65], s[60:61]
	s_mov_b32 s72, s26
	s_branch .LBB45_14
.LBB45_13:                              ;   in Loop: Header=BB45_14 Depth=4
	s_or_b64 exec, exec, s[0:1]
	s_add_i32 s72, s72, -1
	s_add_u32 s64, s64, s48
	s_addc_u32 s65, s65, s49
	s_cmp_eq_u32 s72, 0
	v_add_u32_e32 v18, s36, v18
	s_cbranch_scc1 .LBB45_10
.LBB45_14:                              ;   Parent Loop BB45_3 Depth=1
                                        ;     Parent Loop BB45_8 Depth=2
                                        ;       Parent Loop BB45_11 Depth=3
                                        ; =>      This Inner Loop Header: Depth=4
	v_cmp_gt_i32_e32 vcc, 0, v18
	v_cmp_le_i32_e64 s[0:1], s21, v18
	s_or_b64 s[0:1], vcc, s[0:1]
	s_or_b64 s[0:1], s[62:63], s[0:1]
	s_xor_b64 s[74:75], s[0:1], -1
	s_and_saveexec_b64 s[0:1], s[74:75]
	s_cbranch_execz .LBB45_13
; %bb.15:                               ;   in Loop: Header=BB45_14 Depth=4
	v_mad_u64_u32 v[20:21], s[74:75], s4, v18, 0
	v_mov_b32_e32 v22, v21
	v_mad_u64_u32 v[22:23], s[74:75], s5, v18, v[22:23]
	v_mov_b32_e32 v21, v22
	v_lshl_add_u64 v[20:21], v[20:21], 2, v[10:11]
	global_load_dword v19, v[20:21], off
	s_load_dword s73, s[64:65], 0x0
	s_waitcnt lgkmcnt(0)
	v_cvt_f64_f32_e32 v[22:23], s73
	s_waitcnt vmcnt(0)
	v_cvt_f64_f32_e32 v[20:21], v19
	v_fmac_f64_e32 v[4:5], v[20:21], v[22:23]
	s_branch .LBB45_13
.LBB45_16:                              ;   in Loop: Header=BB45_3 Depth=1
	v_mul_lo_u32 v1, v1, s18
	v_mul_lo_u32 v8, v2, s19
	v_mad_u64_u32 v[6:7], s[0:1], v2, s18, 0
	v_add3_u32 v7, v7, v8, v1
	v_ashrrev_i32_e32 v1, 31, v15
	v_mul_lo_u32 v2, s17, v15
	v_mul_lo_u32 v1, s16, v1
	v_mad_u64_u32 v[8:9], s[0:1], s16, v15, 0
	v_add3_u32 v9, v9, v1, v2
	v_ashrrev_i32_e32 v1, 31, v3
	v_mul_lo_u32 v10, s15, v3
	v_mul_lo_u32 v1, s14, v1
	v_mad_u64_u32 v[2:3], s[0:1], s14, v3, 0
	v_lshl_add_u64 v[6:7], v[6:7], 2, s[10:11]
	v_add3_u32 v3, v3, v1, v10
	v_lshl_add_u64 v[6:7], v[8:9], 2, v[6:7]
	s_andn2_b64 vcc, exec, s[56:57]
	v_lshl_add_u64 v[2:3], v[2:3], 2, v[6:7]
	s_cbranch_vccnz .LBB45_2
; %bb.17:                               ;   in Loop: Header=BB45_3 Depth=1
	global_load_dword v1, v[2:3], off
	s_waitcnt vmcnt(0)
	v_cvt_f64_f32_e32 v[6:7], v1
	v_mul_f64 v[6:7], v[6:7], s[42:43]
	v_fmac_f64_e32 v[6:7], s[40:41], v[4:5]
	v_mov_b64_e32 v[4:5], v[6:7]
	s_branch .LBB45_2
.LBB45_18:
	s_endpgm
	.section	.rodata,"a",@progbits
	.p2align	6, 0x0
	.amdhsa_kernel naive_conv_ab_nonpacked_wrw_nchw_float_double_float_0
		.amdhsa_group_segment_fixed_size 0
		.amdhsa_private_segment_fixed_size 0
		.amdhsa_kernarg_size 480
		.amdhsa_user_sgpr_count 2
		.amdhsa_user_sgpr_dispatch_ptr 0
		.amdhsa_user_sgpr_queue_ptr 0
		.amdhsa_user_sgpr_kernarg_segment_ptr 1
		.amdhsa_user_sgpr_dispatch_id 0
		.amdhsa_user_sgpr_kernarg_preload_length 0
		.amdhsa_user_sgpr_kernarg_preload_offset 0
		.amdhsa_user_sgpr_private_segment_size 0
		.amdhsa_uses_dynamic_stack 0
		.amdhsa_enable_private_segment 0
		.amdhsa_system_sgpr_workgroup_id_x 1
		.amdhsa_system_sgpr_workgroup_id_y 0
		.amdhsa_system_sgpr_workgroup_id_z 0
		.amdhsa_system_sgpr_workgroup_info 0
		.amdhsa_system_vgpr_workitem_id 0
		.amdhsa_next_free_vgpr 24
		.amdhsa_next_free_sgpr 76
		.amdhsa_accum_offset 24
		.amdhsa_reserve_vcc 1
		.amdhsa_float_round_mode_32 0
		.amdhsa_float_round_mode_16_64 0
		.amdhsa_float_denorm_mode_32 3
		.amdhsa_float_denorm_mode_16_64 3
		.amdhsa_dx10_clamp 1
		.amdhsa_ieee_mode 1
		.amdhsa_fp16_overflow 0
		.amdhsa_tg_split 0
		.amdhsa_exception_fp_ieee_invalid_op 0
		.amdhsa_exception_fp_denorm_src 0
		.amdhsa_exception_fp_ieee_div_zero 0
		.amdhsa_exception_fp_ieee_overflow 0
		.amdhsa_exception_fp_ieee_underflow 0
		.amdhsa_exception_fp_ieee_inexact 0
		.amdhsa_exception_int_div_zero 0
	.end_amdhsa_kernel
	.text
.Lfunc_end45:
	.size	naive_conv_ab_nonpacked_wrw_nchw_float_double_float_0, .Lfunc_end45-naive_conv_ab_nonpacked_wrw_nchw_float_double_float_0
                                        ; -- End function
	.section	.AMDGPU.csdata,"",@progbits
; Kernel info:
; codeLenInByte = 1512
; NumSgprs: 82
; NumVgprs: 24
; NumAgprs: 0
; TotalNumVgprs: 24
; ScratchSize: 0
; MemoryBound: 0
; FloatMode: 240
; IeeeMode: 1
; LDSByteSize: 0 bytes/workgroup (compile time only)
; SGPRBlocks: 10
; VGPRBlocks: 2
; NumSGPRsForWavesPerEU: 82
; NumVGPRsForWavesPerEU: 24
; AccumOffset: 24
; Occupancy: 8
; WaveLimiterHint : 0
; COMPUTE_PGM_RSRC2:SCRATCH_EN: 0
; COMPUTE_PGM_RSRC2:USER_SGPR: 2
; COMPUTE_PGM_RSRC2:TRAP_HANDLER: 0
; COMPUTE_PGM_RSRC2:TGID_X_EN: 1
; COMPUTE_PGM_RSRC2:TGID_Y_EN: 0
; COMPUTE_PGM_RSRC2:TGID_Z_EN: 0
; COMPUTE_PGM_RSRC2:TIDIG_COMP_CNT: 0
; COMPUTE_PGM_RSRC3_GFX90A:ACCUM_OFFSET: 5
; COMPUTE_PGM_RSRC3_GFX90A:TG_SPLIT: 0
	.text
	.protected	naive_conv_ab_packed_wrw_nchw_float_double_float_1 ; -- Begin function naive_conv_ab_packed_wrw_nchw_float_double_float_1
	.globl	naive_conv_ab_packed_wrw_nchw_float_double_float_1
	.p2align	8
	.type	naive_conv_ab_packed_wrw_nchw_float_double_float_1,@function
naive_conv_ab_packed_wrw_nchw_float_double_float_1: ; @naive_conv_ab_packed_wrw_nchw_float_double_float_1
; %bb.0:
	s_load_dwordx16 s[4:19], s[0:1], 0xa0
	s_waitcnt lgkmcnt(0)
	s_abs_i32 s3, s7
	v_cvt_f32_u32_e32 v1, s3
	s_mul_i32 s34, s18, s17
	s_mul_i32 s33, s34, s8
	v_cmp_gt_i32_e32 vcc, s33, v0
	v_rcp_iflag_f32_e32 v1, v1
	s_nop 0
	v_mul_f32_e32 v1, 0x4f7ffffe, v1
	v_cvt_u32_f32_e32 v1, v1
	s_nop 0
	v_readfirstlane_b32 s28, v1
	s_and_saveexec_b64 s[20:21], vcc
	s_cbranch_execz .LBB46_18
; %bb.1:
	s_sub_i32 s35, 0, s3
	s_mul_i32 s35, s35, s28
	s_mul_hi_u32 s35, s28, s35
	s_abs_i32 s31, s2
	s_add_i32 s28, s28, s35
	s_ashr_i32 s29, s2, 31
	s_ashr_i32 s30, s7, 31
	s_mul_hi_u32 s28, s31, s28
	s_xor_b32 s29, s29, s30
	s_mul_i32 s30, s28, s3
	s_sub_i32 s30, s31, s30
	s_add_i32 s31, s28, 1
	s_sub_i32 s35, s30, s3
	s_cmp_ge_u32 s30, s3
	s_cselect_b32 s28, s31, s28
	s_cselect_b32 s30, s35, s30
	s_add_i32 s31, s28, 1
	s_cmp_ge_u32 s30, s3
	s_cselect_b32 s3, s31, s28
	s_xor_b32 s3, s3, s29
	s_sub_i32 s28, s3, s29
	s_ashr_i32 s3, s8, 31
	s_ashr_i32 s44, s4, 31
	s_mov_b32 s45, s4
	s_mul_hi_i32 s31, s5, s4
	s_mul_i32 s4, s5, s4
	s_mul_i32 s29, s28, s7
	s_ashr_i32 s46, s5, 31
	s_mov_b32 s47, s5
	s_mul_i32 s3, s4, s3
	s_mul_hi_u32 s5, s4, s8
	s_load_dwordx8 s[20:27], s[0:1], 0x0
	s_sub_i32 s30, s2, s29
	s_ashr_i32 s2, s28, 31
	s_add_i32 s3, s5, s3
	s_mul_i32 s31, s31, s8
	s_mul_i32 s4, s4, s8
	s_add_i32 s3, s3, s31
	s_mul_i32 s2, s4, s2
	s_mul_hi_u32 s5, s4, s28
	s_add_i32 s2, s5, s2
	s_mul_i32 s3, s3, s28
	s_add_i32 s3, s2, s3
	s_mul_i32 s2, s4, s28
	s_lshl_b64 s[2:3], s[2:3], 2
	s_waitcnt lgkmcnt(0)
	s_add_u32 s2, s20, s2
	s_addc_u32 s3, s21, s3
	s_ashr_i32 s48, s17, 31
	s_ashr_i32 s50, s18, 31
	;; [unrolled: 1-line block ×3, first 2 shown]
	s_mul_hi_i32 s4, s28, s7
	s_add_u32 s35, s29, s30
	s_addc_u32 s40, s4, s5
	s_mul_i32 s5, s17, s8
	s_mul_hi_i32 s4, s17, s8
	s_mul_i32 s20, s5, s50
	s_mul_hi_u32 s21, s5, s18
	s_add_i32 s20, s21, s20
	s_mul_i32 s4, s4, s18
	s_add_i32 s4, s20, s4
	s_mul_i32 s20, s5, s18
	s_mul_i32 s5, s20, s40
	s_mul_hi_u32 s21, s20, s35
	s_add_i32 s5, s21, s5
	s_mul_i32 s4, s4, s35
	s_add_i32 s5, s5, s4
	s_mul_i32 s4, s20, s35
	s_lshl_b64 s[4:5], s[4:5], 2
	s_add_u32 s4, s22, s4
	s_addc_u32 s5, s23, s5
	s_ashr_i32 s37, s10, 31
	s_cmp_lt_i32 s6, 1
	s_cselect_b64 s[20:21], -1, 0
	s_cmp_gt_i32 s9, 0
	s_cselect_b64 s[22:23], -1, 0
	s_cmp_gt_i32 s10, 0
	s_cselect_b64 s[28:29], -1, 0
	s_abs_i32 s54, s18
	v_cvt_f32_u32_e32 v1, s54
	v_cmp_neq_f64_e64 s[30:31], s[24:25], 1.0
	v_cmp_neq_f64_e64 s[38:39], s[26:27], 0
	s_or_b64 s[30:31], s[30:31], s[38:39]
	v_rcp_iflag_f32_e32 v1, v1
	s_load_dwordx2 s[38:39], s[0:1], 0x20
	s_nop 0
	s_load_dword s0, s[0:1], 0xec
	s_abs_i32 s55, s17
	v_cvt_f32_u32_e32 v2, s55
	v_mul_f32_e32 v1, 0x4f7ffffe, v1
	v_cvt_u32_f32_e32 v1, v1
	s_abs_i32 s57, s34
	v_cvt_f32_u32_e32 v4, s57
	s_waitcnt lgkmcnt(0)
	s_and_b32 s56, s0, 0xffff
	s_sub_i32 s0, 0, s54
	v_mul_lo_u32 v3, s0, v1
	v_rcp_iflag_f32_e32 v2, v2
	v_mul_hi_u32 v3, v1, v3
	v_add_u32_e32 v1, v1, v3
	v_rcp_iflag_f32_e32 v3, v4
	v_mul_f32_e32 v2, 0x4f7ffffe, v2
	v_cvt_u32_f32_e32 v2, v2
	s_sub_i32 s0, 0, s55
	v_mul_f32_e32 v3, 0x4f7ffffe, v3
	v_cvt_u32_f32_e32 v3, v3
	v_mul_lo_u32 v4, s0, v2
	s_mov_b32 s49, s17
	v_mul_hi_u32 v4, v2, v4
	s_sub_i32 s0, 0, s57
	s_mul_i32 s17, s10, s9
	v_add_u32_e32 v16, v2, v4
	s_ashr_i32 s58, s34, 31
	v_mul_lo_u32 v2, s0, v3
	s_mul_i32 s0, s17, s40
	s_mul_hi_u32 s1, s17, s35
	s_mul_hi_i32 s34, s10, s9
	s_add_i32 s0, s1, s0
	s_mul_i32 s1, s34, s35
	s_mul_i32 s53, s19, s8
	;; [unrolled: 1-line block ×3, first 2 shown]
	s_add_i32 s1, s0, s1
	s_mul_i32 s0, s17, s35
	s_ashr_i32 s7, s53, 31
	s_ashr_i32 s42, s41, 31
	s_lshl_b64 s[0:1], s[0:1], 2
	s_add_u32 s8, s38, s0
	s_mov_b32 s52, s9
	s_addc_u32 s9, s39, s1
	s_mul_hi_u32 s0, s17, s41
	s_mul_i32 s1, s17, s42
	s_add_i32 s0, s0, s1
	s_mul_i32 s34, s34, s41
	s_mov_b32 s36, s10
	v_mul_hi_u32 v2, v3, v2
	s_add_i32 s1, s0, s34
	s_mul_i32 s0, s17, s41
	s_mov_b32 s51, s18
	s_mov_b64 s[18:19], 0
	v_add_u32_e32 v17, v3, v2
	s_lshl_b64 s[34:35], s[0:1], 2
	s_lshl_b64 s[36:37], s[36:37], 2
	s_sub_i32 s59, 0, s16
	v_mov_b32_e32 v3, 0
	s_branch .LBB46_3
.LBB46_2:                               ;   in Loop: Header=BB46_3 Depth=1
	v_add_u32_e32 v0, s56, v0
	v_cmp_le_i32_e32 vcc, s33, v0
	v_cvt_f32_f64_e32 v2, v[8:9]
	s_or_b64 s[18:19], vcc, s[18:19]
	global_store_dword v[4:5], v2, off
	s_andn2_b64 exec, exec, s[18:19]
	s_cbranch_execz .LBB46_18
.LBB46_3:                               ; =>This Loop Header: Depth=1
                                        ;     Child Loop BB46_8 Depth 2
                                        ;       Child Loop BB46_11 Depth 3
                                        ;         Child Loop BB46_14 Depth 4
	v_sub_u32_e32 v5, 0, v0
	v_max_i32_e32 v5, v0, v5
	v_mul_hi_u32 v6, v5, v1
	v_mul_lo_u32 v7, v6, s54
	v_sub_u32_e32 v7, v5, v7
	v_add_u32_e32 v8, 1, v6
	v_cmp_le_u32_e32 vcc, s54, v7
	v_ashrrev_i32_e32 v4, 31, v0
	v_xor_b32_e32 v2, s50, v4
	v_cndmask_b32_e32 v6, v6, v8, vcc
	v_subrev_u32_e32 v8, s54, v7
	v_cndmask_b32_e32 v7, v7, v8, vcc
	v_add_u32_e32 v8, 1, v6
	v_cmp_le_u32_e32 vcc, s54, v7
	v_xor_b32_e32 v4, s58, v4
	s_mov_b64 s[38:39], -1
	v_cndmask_b32_e32 v6, v6, v8, vcc
	v_xor_b32_e32 v6, v6, v2
	v_sub_u32_e32 v2, v6, v2
	v_sub_u32_e32 v6, 0, v2
	v_max_i32_e32 v6, v2, v6
	v_mul_hi_u32 v7, v6, v16
	v_mul_lo_u32 v7, v7, s55
	v_sub_u32_e32 v6, v6, v7
	v_subrev_u32_e32 v7, s55, v6
	v_cmp_le_u32_e32 vcc, s55, v6
                                        ; implicit-def: $sgpr16_sgpr17
	s_nop 1
	v_cndmask_b32_e32 v7, v6, v7, vcc
	v_mul_hi_u32 v6, v5, v17
	v_mul_lo_u32 v8, v6, s57
	v_sub_u32_e32 v5, v5, v8
	v_add_u32_e32 v8, 1, v6
	v_cmp_le_u32_e32 vcc, s57, v5
	v_cmp_le_u32_e64 s[0:1], s55, v7
	s_nop 0
	v_cndmask_b32_e32 v6, v6, v8, vcc
	v_subrev_u32_e32 v8, s57, v5
	v_cndmask_b32_e32 v5, v5, v8, vcc
	v_add_u32_e32 v8, 1, v6
	v_cmp_le_u32_e32 vcc, s57, v5
	s_nop 1
	v_cndmask_b32_e32 v5, v6, v8, vcc
	v_xor_b32_e32 v5, v5, v4
	v_sub_u32_e32 v4, v5, v4
	s_andn2_b64 vcc, exec, s[20:21]
	v_ashrrev_i32_e32 v5, 31, v4
	s_cbranch_vccnz .LBB46_5
; %bb.4:                                ;   in Loop: Header=BB46_3 Depth=1
	s_mov_b64 s[38:39], 0
	s_mov_b64 s[16:17], 0
.LBB46_5:                               ;   in Loop: Header=BB46_3 Depth=1
	v_subrev_u32_e32 v8, s55, v7
	v_mul_lo_u32 v6, v2, s51
	v_ashrrev_i32_e32 v2, 31, v2
	v_cndmask_b32_e64 v7, v7, v8, s[0:1]
	v_xor_b32_e32 v7, v7, v2
	v_sub_u32_e32 v6, v0, v6
	v_sub_u32_e32 v10, v7, v2
	s_andn2_b64 vcc, exec, s[38:39]
	v_mov_b64_e32 v[8:9], s[16:17]
	s_cbranch_vccnz .LBB46_16
; %bb.6:                                ;   in Loop: Header=BB46_3 Depth=1
	v_mul_lo_u32 v2, v6, s14
	v_mul_lo_u32 v7, v10, s13
	v_add_u32_e32 v11, s59, v2
	s_mov_b32 s60, 0
	v_mov_b64_e32 v[8:9], 0
	s_mov_b64 s[16:17], s[8:9]
	s_branch .LBB46_8
.LBB46_7:                               ;   in Loop: Header=BB46_8 Depth=2
	s_add_i32 s60, s60, 1
	s_add_u32 s16, s16, s34
	s_addc_u32 s17, s17, s35
	s_cmp_eq_u32 s60, s6
	s_cbranch_scc1 .LBB46_16
.LBB46_8:                               ;   Parent Loop BB46_3 Depth=1
                                        ; =>  This Loop Header: Depth=2
                                        ;       Child Loop BB46_11 Depth 3
                                        ;         Child Loop BB46_14 Depth 4
	s_andn2_b64 vcc, exec, s[22:23]
	s_cbranch_vccnz .LBB46_7
; %bb.9:                                ;   in Loop: Header=BB46_8 Depth=2
	v_mov_b32_e32 v2, s53
	v_mad_u64_u32 v[12:13], s[0:1], s60, v2, v[4:5]
	s_mul_i32 s0, s60, s7
	s_nop 0
	v_add_u32_e32 v2, s0, v13
	v_mul_lo_u32 v14, v12, s44
	v_mul_lo_u32 v2, v2, s45
	v_mad_u64_u32 v[12:13], s[0:1], v12, s45, 0
	v_add3_u32 v13, v13, v14, v2
	s_mov_b32 s61, 0
	s_mov_b64 s[38:39], s[16:17]
	s_branch .LBB46_11
.LBB46_10:                              ;   in Loop: Header=BB46_11 Depth=3
	s_add_i32 s61, s61, 1
	s_add_u32 s38, s38, s36
	s_addc_u32 s39, s39, s37
	s_cmp_eq_u32 s61, s52
	s_cbranch_scc1 .LBB46_7
.LBB46_11:                              ;   Parent Loop BB46_3 Depth=1
                                        ;     Parent Loop BB46_8 Depth=2
                                        ; =>    This Loop Header: Depth=3
                                        ;         Child Loop BB46_14 Depth 4
	s_andn2_b64 vcc, exec, s[28:29]
	s_cbranch_vccnz .LBB46_10
; %bb.12:                               ;   in Loop: Header=BB46_11 Depth=3
	s_mul_i32 s0, s61, s11
	s_sub_i32 s0, s0, s15
	v_add_u32_e32 v2, s0, v7
	v_cmp_gt_i32_e32 vcc, 0, v2
	v_cmp_le_i32_e64 s[0:1], s45, v2
	v_lshl_add_u64 v[14:15], v[12:13], 0, v[2:3]
	s_or_b64 s[40:41], vcc, s[0:1]
	v_mul_lo_u32 v2, v15, s47
	v_mul_lo_u32 v18, v14, s46
	v_mad_u64_u32 v[14:15], s[0:1], v14, s47, 0
	v_add3_u32 v15, v15, v18, v2
	v_lshl_add_u64 v[14:15], v[14:15], 2, s[2:3]
	v_mov_b32_e32 v2, v11
	s_mov_b64 s[42:43], s[38:39]
	s_mov_b32 s62, s10
	s_branch .LBB46_14
.LBB46_13:                              ;   in Loop: Header=BB46_14 Depth=4
	s_or_b64 exec, exec, s[0:1]
	s_add_i32 s62, s62, -1
	s_add_u32 s42, s42, 4
	s_addc_u32 s43, s43, 0
	s_cmp_eq_u32 s62, 0
	v_add_u32_e32 v2, s12, v2
	s_cbranch_scc1 .LBB46_10
.LBB46_14:                              ;   Parent Loop BB46_3 Depth=1
                                        ;     Parent Loop BB46_8 Depth=2
                                        ;       Parent Loop BB46_11 Depth=3
                                        ; =>      This Inner Loop Header: Depth=4
	v_cmp_gt_i32_e32 vcc, 0, v2
	v_cmp_le_i32_e64 s[0:1], s47, v2
	s_or_b64 s[0:1], vcc, s[0:1]
	s_or_b64 s[0:1], s[40:41], s[0:1]
	s_xor_b64 s[64:65], s[0:1], -1
	s_and_saveexec_b64 s[0:1], s[64:65]
	s_cbranch_execz .LBB46_13
; %bb.15:                               ;   in Loop: Header=BB46_14 Depth=4
	v_lshl_add_u64 v[18:19], v[2:3], 2, v[14:15]
	global_load_dword v18, v[18:19], off
	s_load_dword s63, s[42:43], 0x0
	s_waitcnt lgkmcnt(0)
	s_and_b32 s63, s63, 0xffffe000
	s_waitcnt vmcnt(0)
	v_and_b32_e32 v20, 0xffffe000, v18
	v_cvt_f64_f32_e32 v[18:19], s63
	v_cvt_f64_f32_e32 v[20:21], v20
	v_fmac_f64_e32 v[8:9], v[20:21], v[18:19]
	s_branch .LBB46_13
.LBB46_16:                              ;   in Loop: Header=BB46_3 Depth=1
	v_ashrrev_i32_e32 v11, 31, v10
	v_mul_lo_u32 v2, v4, s48
	v_mul_lo_u32 v7, v5, s49
	v_mad_u64_u32 v[4:5], s[0:1], v4, s49, v[10:11]
	v_add3_u32 v2, v7, v5, v2
	v_mul_lo_u32 v2, v2, s51
	v_mul_lo_u32 v7, v4, s50
	v_mad_u64_u32 v[4:5], s[0:1], v4, s51, 0
	v_add3_u32 v5, v5, v7, v2
	v_ashrrev_i32_e32 v7, 31, v6
	v_lshl_add_u64 v[4:5], v[4:5], 2, s[4:5]
	s_andn2_b64 vcc, exec, s[30:31]
	v_lshl_add_u64 v[4:5], v[6:7], 2, v[4:5]
	s_cbranch_vccnz .LBB46_2
; %bb.17:                               ;   in Loop: Header=BB46_3 Depth=1
	global_load_dword v2, v[4:5], off
	s_waitcnt vmcnt(0)
	v_cvt_f64_f32_e32 v[6:7], v2
	v_mul_f64 v[6:7], v[6:7], s[26:27]
	v_fmac_f64_e32 v[6:7], s[24:25], v[8:9]
	v_mov_b64_e32 v[8:9], v[6:7]
	s_branch .LBB46_2
.LBB46_18:
	s_endpgm
	.section	.rodata,"a",@progbits
	.p2align	6, 0x0
	.amdhsa_kernel naive_conv_ab_packed_wrw_nchw_float_double_float_1
		.amdhsa_group_segment_fixed_size 0
		.amdhsa_private_segment_fixed_size 0
		.amdhsa_kernarg_size 480
		.amdhsa_user_sgpr_count 2
		.amdhsa_user_sgpr_dispatch_ptr 0
		.amdhsa_user_sgpr_queue_ptr 0
		.amdhsa_user_sgpr_kernarg_segment_ptr 1
		.amdhsa_user_sgpr_dispatch_id 0
		.amdhsa_user_sgpr_kernarg_preload_length 0
		.amdhsa_user_sgpr_kernarg_preload_offset 0
		.amdhsa_user_sgpr_private_segment_size 0
		.amdhsa_uses_dynamic_stack 0
		.amdhsa_enable_private_segment 0
		.amdhsa_system_sgpr_workgroup_id_x 1
		.amdhsa_system_sgpr_workgroup_id_y 0
		.amdhsa_system_sgpr_workgroup_id_z 0
		.amdhsa_system_sgpr_workgroup_info 0
		.amdhsa_system_vgpr_workitem_id 0
		.amdhsa_next_free_vgpr 22
		.amdhsa_next_free_sgpr 66
		.amdhsa_accum_offset 24
		.amdhsa_reserve_vcc 1
		.amdhsa_float_round_mode_32 0
		.amdhsa_float_round_mode_16_64 0
		.amdhsa_float_denorm_mode_32 3
		.amdhsa_float_denorm_mode_16_64 3
		.amdhsa_dx10_clamp 1
		.amdhsa_ieee_mode 1
		.amdhsa_fp16_overflow 0
		.amdhsa_tg_split 0
		.amdhsa_exception_fp_ieee_invalid_op 0
		.amdhsa_exception_fp_denorm_src 0
		.amdhsa_exception_fp_ieee_div_zero 0
		.amdhsa_exception_fp_ieee_overflow 0
		.amdhsa_exception_fp_ieee_underflow 0
		.amdhsa_exception_fp_ieee_inexact 0
		.amdhsa_exception_int_div_zero 0
	.end_amdhsa_kernel
	.text
.Lfunc_end46:
	.size	naive_conv_ab_packed_wrw_nchw_float_double_float_1, .Lfunc_end46-naive_conv_ab_packed_wrw_nchw_float_double_float_1
                                        ; -- End function
	.section	.AMDGPU.csdata,"",@progbits
; Kernel info:
; codeLenInByte = 1524
; NumSgprs: 72
; NumVgprs: 22
; NumAgprs: 0
; TotalNumVgprs: 22
; ScratchSize: 0
; MemoryBound: 0
; FloatMode: 240
; IeeeMode: 1
; LDSByteSize: 0 bytes/workgroup (compile time only)
; SGPRBlocks: 8
; VGPRBlocks: 2
; NumSGPRsForWavesPerEU: 72
; NumVGPRsForWavesPerEU: 22
; AccumOffset: 24
; Occupancy: 8
; WaveLimiterHint : 0
; COMPUTE_PGM_RSRC2:SCRATCH_EN: 0
; COMPUTE_PGM_RSRC2:USER_SGPR: 2
; COMPUTE_PGM_RSRC2:TRAP_HANDLER: 0
; COMPUTE_PGM_RSRC2:TGID_X_EN: 1
; COMPUTE_PGM_RSRC2:TGID_Y_EN: 0
; COMPUTE_PGM_RSRC2:TGID_Z_EN: 0
; COMPUTE_PGM_RSRC2:TIDIG_COMP_CNT: 0
; COMPUTE_PGM_RSRC3_GFX90A:ACCUM_OFFSET: 5
; COMPUTE_PGM_RSRC3_GFX90A:TG_SPLIT: 0
	.text
	.protected	naive_conv_ab_nonpacked_wrw_nchw_float_double_float_1 ; -- Begin function naive_conv_ab_nonpacked_wrw_nchw_float_double_float_1
	.globl	naive_conv_ab_nonpacked_wrw_nchw_float_double_float_1
	.p2align	8
	.type	naive_conv_ab_nonpacked_wrw_nchw_float_double_float_1,@function
naive_conv_ab_nonpacked_wrw_nchw_float_double_float_1: ; @naive_conv_ab_nonpacked_wrw_nchw_float_double_float_1
; %bb.0:
	s_load_dwordx8 s[20:27], s[0:1], 0xa0
	s_load_dwordx4 s[28:31], s[0:1], 0xd0
	s_waitcnt lgkmcnt(0)
	s_abs_i32 s3, s23
	v_cvt_f32_u32_e32 v1, s3
	s_mul_i32 s60, s30, s29
	s_mul_i32 s24, s60, s24
	v_cmp_gt_i32_e32 vcc, s24, v0
	v_rcp_iflag_f32_e32 v1, v1
	s_nop 0
	v_mul_f32_e32 v1, 0x4f7ffffe, v1
	v_cvt_u32_f32_e32 v1, v1
	s_nop 0
	v_readfirstlane_b32 s4, v1
	s_and_saveexec_b64 s[6:7], vcc
	s_cbranch_execz .LBB47_18
; %bb.1:
	s_sub_i32 s5, 0, s3
	s_mul_i32 s5, s5, s4
	s_mul_hi_u32 s5, s4, s5
	s_abs_i32 s56, s2
	s_add_i32 s4, s4, s5
	s_ashr_i32 s31, s2, 31
	s_ashr_i32 s33, s23, 31
	s_mul_hi_u32 s57, s56, s4
	s_xor_b32 s31, s31, s33
	s_mul_i32 s33, s57, s3
	s_sub_i32 s33, s56, s33
	s_add_i32 s56, s57, 1
	s_sub_i32 s61, s33, s3
	s_cmp_ge_u32 s33, s3
	s_cselect_b32 s56, s56, s57
	s_cselect_b32 s33, s61, s33
	s_add_i32 s57, s56, 1
	s_cmp_ge_u32 s33, s3
	s_cselect_b32 s3, s57, s56
	s_xor_b32 s3, s3, s31
	s_load_dwordx8 s[36:43], s[0:1], 0x0
	s_load_dwordx2 s[34:35], s[0:1], 0x20
	s_load_dwordx16 s[4:19], s[0:1], 0x28
	s_load_dwordx2 s[58:59], s[0:1], 0x98
	s_load_dwordx4 s[52:55], s[0:1], 0x88
	s_load_dwordx8 s[44:51], s[0:1], 0x68
	s_sub_i32 s31, s3, s31
	s_mul_i32 s3, s31, s23
	s_ashr_i32 s33, s31, 31
	s_sub_i32 s23, s2, s3
	s_waitcnt lgkmcnt(0)
	s_mul_i32 s2, s10, s33
	s_mul_hi_u32 s3, s10, s31
	s_add_i32 s2, s3, s2
	s_mul_i32 s3, s11, s31
	s_add_i32 s3, s2, s3
	s_mul_i32 s2, s10, s31
	s_lshl_b64 s[2:3], s[2:3], 2
	s_add_u32 s2, s36, s2
	s_mul_i32 s10, s46, s33
	s_mul_hi_u32 s11, s46, s31
	s_addc_u32 s3, s37, s3
	s_add_i32 s10, s11, s10
	s_mul_i32 s11, s47, s31
	s_add_i32 s11, s10, s11
	s_mul_i32 s10, s46, s31
	s_ashr_i32 s46, s23, 31
	s_mul_i32 s36, s44, s46
	s_mul_hi_u32 s37, s44, s23
	s_add_i32 s36, s37, s36
	s_mul_i32 s37, s45, s23
	s_add_i32 s37, s36, s37
	s_lshl_b64 s[10:11], s[10:11], 2
	s_mul_i32 s36, s44, s23
	s_add_u32 s38, s38, s10
	s_addc_u32 s39, s39, s11
	s_lshl_b64 s[10:11], s[36:37], 2
	s_add_u32 s10, s38, s10
	s_mul_i32 s33, s54, s33
	s_mul_hi_u32 s36, s54, s31
	s_addc_u32 s11, s39, s11
	s_add_i32 s33, s36, s33
	s_mul_i32 s36, s55, s31
	s_add_i32 s37, s33, s36
	s_mul_i32 s36, s54, s31
	s_mul_i32 s31, s52, s46
	s_mul_hi_u32 s33, s52, s23
	s_add_i32 s31, s33, s31
	s_mul_i32 s33, s53, s23
	s_add_i32 s39, s31, s33
	s_lshl_b64 s[36:37], s[36:37], 2
	s_mul_i32 s38, s52, s23
	s_add_u32 s23, s34, s36
	s_addc_u32 s31, s35, s37
	s_lshl_b64 s[34:35], s[38:39], 2
	s_add_u32 s34, s23, s34
	s_addc_u32 s35, s31, s35
	s_cmp_lt_i32 s22, 1
	s_cselect_b64 s[44:45], -1, 0
	s_cmp_gt_i32 s25, 0
	s_cselect_b64 s[46:47], -1, 0
	s_cmp_gt_i32 s26, 0
	s_cselect_b64 s[52:53], -1, 0
	s_abs_i32 s23, s30
	v_cvt_f32_u32_e32 v1, s23
	s_abs_i32 s33, s29
	v_cvt_f32_u32_e32 v2, s33
	s_abs_i32 s67, s60
	v_rcp_iflag_f32_e32 v1, v1
	v_cmp_neq_f64_e64 s[56:57], s[40:41], 1.0
	s_load_dwordx4 s[36:39], s[0:1], 0xc0
	s_load_dword s31, s[0:1], 0xec
	v_cmp_neq_f64_e64 s[0:1], s[42:43], 0
	v_mul_f32_e32 v1, 0x4f7ffffe, v1
	v_cvt_u32_f32_e32 v1, v1
	v_cvt_f32_u32_e32 v4, s67
	s_or_b64 s[56:57], s[56:57], s[0:1]
	s_sub_i32 s0, 0, s23
	v_mul_lo_u32 v3, s0, v1
	v_rcp_iflag_f32_e32 v2, v2
	v_mul_hi_u32 v3, v1, v3
	v_add_u32_e32 v12, v1, v3
	v_rcp_iflag_f32_e32 v1, v4
	v_mul_f32_e32 v2, 0x4f7ffffe, v2
	v_cvt_u32_f32_e32 v2, v2
	s_sub_i32 s0, 0, s33
	v_mul_f32_e32 v1, 0x4f7ffffe, v1
	v_cvt_u32_f32_e32 v1, v1
	v_mul_lo_u32 v3, s0, v2
	v_mul_hi_u32 v3, v2, v3
	s_sub_i32 s0, 0, s67
	v_add_u32_e32 v13, v2, v3
	v_mul_lo_u32 v2, s0, v1
	v_mul_hi_u32 v2, v1, v2
	s_mov_b64 s[54:55], 0
	s_waitcnt lgkmcnt(0)
	s_and_b32 s31, s31, 0xffff
	s_ashr_i32 s66, s30, 31
	s_ashr_i32 s68, s60, 31
	v_add_u32_e32 v14, v1, v2
	s_lshl_b64 s[58:59], s[58:59], 2
	s_lshl_b64 s[50:51], s[50:51], 2
	;; [unrolled: 1-line block ×3, first 2 shown]
	s_sub_i32 s69, 0, s28
	s_branch .LBB47_3
.LBB47_2:                               ;   in Loop: Header=BB47_3 Depth=1
	v_add_u32_e32 v0, s31, v0
	v_cmp_le_i32_e32 vcc, s24, v0
	v_cvt_f32_f64_e32 v1, v[4:5]
	s_or_b64 s[54:55], vcc, s[54:55]
	global_store_dword v[2:3], v1, off
	s_andn2_b64 exec, exec, s[54:55]
	s_cbranch_execz .LBB47_18
.LBB47_3:                               ; =>This Loop Header: Depth=1
                                        ;     Child Loop BB47_8 Depth 2
                                        ;       Child Loop BB47_11 Depth 3
                                        ;         Child Loop BB47_14 Depth 4
	v_sub_u32_e32 v3, 0, v0
	v_max_i32_e32 v3, v0, v3
	v_mul_hi_u32 v4, v3, v12
	v_mul_lo_u32 v5, v4, s23
	v_sub_u32_e32 v5, v3, v5
	v_add_u32_e32 v6, 1, v4
	v_cmp_le_u32_e32 vcc, s23, v5
	v_ashrrev_i32_e32 v1, 31, v0
	v_xor_b32_e32 v2, s66, v1
	v_cndmask_b32_e32 v4, v4, v6, vcc
	v_subrev_u32_e32 v6, s23, v5
	v_cndmask_b32_e32 v5, v5, v6, vcc
	v_add_u32_e32 v6, 1, v4
	v_cmp_le_u32_e32 vcc, s23, v5
	v_xor_b32_e32 v1, s68, v1
	s_mov_b64 s[60:61], -1
	v_cndmask_b32_e32 v4, v4, v6, vcc
	v_xor_b32_e32 v4, v4, v2
	v_sub_u32_e32 v4, v4, v2
	v_sub_u32_e32 v2, 0, v4
	v_max_i32_e32 v2, v4, v2
	v_mul_hi_u32 v5, v2, v13
	v_mul_lo_u32 v5, v5, s33
	v_sub_u32_e32 v2, v2, v5
	v_subrev_u32_e32 v5, s33, v2
	v_cmp_le_u32_e32 vcc, s33, v2
                                        ; implicit-def: $sgpr28_sgpr29
	s_nop 1
	v_cndmask_b32_e32 v5, v2, v5, vcc
	v_mul_hi_u32 v2, v3, v14
	v_mul_lo_u32 v6, v2, s67
	v_sub_u32_e32 v3, v3, v6
	v_add_u32_e32 v6, 1, v2
	v_cmp_le_u32_e32 vcc, s67, v3
	v_cmp_le_u32_e64 s[0:1], s33, v5
	s_nop 0
	v_cndmask_b32_e32 v2, v2, v6, vcc
	v_subrev_u32_e32 v6, s67, v3
	v_cndmask_b32_e32 v3, v3, v6, vcc
	v_add_u32_e32 v6, 1, v2
	v_cmp_le_u32_e32 vcc, s67, v3
	s_nop 1
	v_cndmask_b32_e32 v2, v2, v6, vcc
	v_xor_b32_e32 v2, v2, v1
	v_sub_u32_e32 v2, v2, v1
	s_andn2_b64 vcc, exec, s[44:45]
	v_ashrrev_i32_e32 v1, 31, v2
	s_cbranch_vccnz .LBB47_5
; %bb.4:                                ;   in Loop: Header=BB47_3 Depth=1
	s_mov_b64 s[60:61], 0
	s_mov_b64 s[28:29], 0
.LBB47_5:                               ;   in Loop: Header=BB47_3 Depth=1
	v_subrev_u32_e32 v6, s33, v5
	v_mul_lo_u32 v3, v4, s30
	v_ashrrev_i32_e32 v4, 31, v4
	v_cndmask_b32_e64 v5, v5, v6, s[0:1]
	v_xor_b32_e32 v5, v5, v4
	v_sub_u32_e32 v3, v0, v3
	v_sub_u32_e32 v15, v5, v4
	s_andn2_b64 vcc, exec, s[60:61]
	v_mov_b64_e32 v[4:5], s[28:29]
	s_cbranch_vccnz .LBB47_16
; %bb.6:                                ;   in Loop: Header=BB47_3 Depth=1
	v_mul_lo_u32 v6, s9, v2
	v_mul_lo_u32 v7, s8, v1
	v_mad_u64_u32 v[4:5], s[0:1], s8, v2, 0
	v_mul_lo_u32 v8, v3, s38
	v_add3_u32 v5, v5, v7, v6
	v_mul_lo_u32 v16, v15, s37
	v_lshl_add_u64 v[6:7], v[4:5], 2, s[2:3]
	v_add_u32_e32 v17, s69, v8
	s_mov_b32 s70, 0
	v_mov_b64_e32 v[4:5], 0
	s_mov_b64 s[28:29], s[34:35]
	s_branch .LBB47_8
.LBB47_7:                               ;   in Loop: Header=BB47_8 Depth=2
	s_add_i32 s70, s70, 1
	s_add_u32 s28, s28, s58
	s_addc_u32 s29, s29, s59
	s_cmp_eq_u32 s70, s22
	s_cbranch_scc1 .LBB47_16
.LBB47_8:                               ;   Parent Loop BB47_3 Depth=1
                                        ; =>  This Loop Header: Depth=2
                                        ;       Child Loop BB47_11 Depth 3
                                        ;         Child Loop BB47_14 Depth 4
	s_andn2_b64 vcc, exec, s[46:47]
	s_cbranch_vccnz .LBB47_7
; %bb.9:                                ;   in Loop: Header=BB47_8 Depth=2
	s_mul_i32 s0, s13, s70
	s_mul_hi_u32 s1, s12, s70
	s_add_i32 s1, s1, s0
	s_mul_i32 s0, s12, s70
	v_lshl_add_u64 v[8:9], s[0:1], 2, v[6:7]
	s_mov_b32 s71, 0
	s_mov_b64 s[60:61], s[28:29]
	s_branch .LBB47_11
.LBB47_10:                              ;   in Loop: Header=BB47_11 Depth=3
	s_add_i32 s71, s71, 1
	s_add_u32 s60, s60, s50
	s_addc_u32 s61, s61, s51
	s_cmp_eq_u32 s71, s25
	s_cbranch_scc1 .LBB47_7
.LBB47_11:                              ;   Parent Loop BB47_3 Depth=1
                                        ;     Parent Loop BB47_8 Depth=2
                                        ; =>    This Loop Header: Depth=3
                                        ;         Child Loop BB47_14 Depth 4
	s_andn2_b64 vcc, exec, s[52:53]
	s_cbranch_vccnz .LBB47_10
; %bb.12:                               ;   in Loop: Header=BB47_11 Depth=3
	s_mul_i32 s0, s71, s27
	s_sub_i32 s0, s0, s39
	v_add_u32_e32 v19, s0, v16
	v_cmp_gt_i32_e32 vcc, 0, v19
	v_cmp_le_i32_e64 s[0:1], s20, v19
	s_or_b64 s[62:63], vcc, s[0:1]
	v_mad_u64_u32 v[10:11], s[0:1], s6, v19, 0
	v_mov_b32_e32 v18, v11
	v_mad_u64_u32 v[18:19], s[0:1], s7, v19, v[18:19]
	v_mov_b32_e32 v11, v18
	v_lshl_add_u64 v[10:11], v[10:11], 2, v[8:9]
	v_mov_b32_e32 v18, v17
	s_mov_b64 s[64:65], s[60:61]
	s_mov_b32 s72, s26
	s_branch .LBB47_14
.LBB47_13:                              ;   in Loop: Header=BB47_14 Depth=4
	s_or_b64 exec, exec, s[0:1]
	s_add_i32 s72, s72, -1
	s_add_u32 s64, s64, s48
	s_addc_u32 s65, s65, s49
	s_cmp_eq_u32 s72, 0
	v_add_u32_e32 v18, s36, v18
	s_cbranch_scc1 .LBB47_10
.LBB47_14:                              ;   Parent Loop BB47_3 Depth=1
                                        ;     Parent Loop BB47_8 Depth=2
                                        ;       Parent Loop BB47_11 Depth=3
                                        ; =>      This Inner Loop Header: Depth=4
	v_cmp_gt_i32_e32 vcc, 0, v18
	v_cmp_le_i32_e64 s[0:1], s21, v18
	s_or_b64 s[0:1], vcc, s[0:1]
	s_or_b64 s[0:1], s[62:63], s[0:1]
	s_xor_b64 s[74:75], s[0:1], -1
	s_and_saveexec_b64 s[0:1], s[74:75]
	s_cbranch_execz .LBB47_13
; %bb.15:                               ;   in Loop: Header=BB47_14 Depth=4
	v_mad_u64_u32 v[20:21], s[74:75], s4, v18, 0
	v_mov_b32_e32 v22, v21
	v_mad_u64_u32 v[22:23], s[74:75], s5, v18, v[22:23]
	v_mov_b32_e32 v21, v22
	v_lshl_add_u64 v[20:21], v[20:21], 2, v[10:11]
	global_load_dword v19, v[20:21], off
	s_load_dword s73, s[64:65], 0x0
	s_waitcnt lgkmcnt(0)
	s_and_b32 s73, s73, 0xffffe000
	v_cvt_f64_f32_e32 v[22:23], s73
	s_waitcnt vmcnt(0)
	v_and_b32_e32 v19, 0xffffe000, v19
	v_cvt_f64_f32_e32 v[20:21], v19
	v_fmac_f64_e32 v[4:5], v[20:21], v[22:23]
	s_branch .LBB47_13
.LBB47_16:                              ;   in Loop: Header=BB47_3 Depth=1
	v_mul_lo_u32 v1, v1, s18
	v_mul_lo_u32 v8, v2, s19
	v_mad_u64_u32 v[6:7], s[0:1], v2, s18, 0
	v_add3_u32 v7, v7, v8, v1
	v_ashrrev_i32_e32 v1, 31, v15
	v_mul_lo_u32 v2, s17, v15
	v_mul_lo_u32 v1, s16, v1
	v_mad_u64_u32 v[8:9], s[0:1], s16, v15, 0
	v_add3_u32 v9, v9, v1, v2
	v_ashrrev_i32_e32 v1, 31, v3
	v_mul_lo_u32 v10, s15, v3
	v_mul_lo_u32 v1, s14, v1
	v_mad_u64_u32 v[2:3], s[0:1], s14, v3, 0
	v_lshl_add_u64 v[6:7], v[6:7], 2, s[10:11]
	v_add3_u32 v3, v3, v1, v10
	v_lshl_add_u64 v[6:7], v[8:9], 2, v[6:7]
	s_andn2_b64 vcc, exec, s[56:57]
	v_lshl_add_u64 v[2:3], v[2:3], 2, v[6:7]
	s_cbranch_vccnz .LBB47_2
; %bb.17:                               ;   in Loop: Header=BB47_3 Depth=1
	global_load_dword v1, v[2:3], off
	s_waitcnt vmcnt(0)
	v_cvt_f64_f32_e32 v[6:7], v1
	v_mul_f64 v[6:7], v[6:7], s[42:43]
	v_fmac_f64_e32 v[6:7], s[40:41], v[4:5]
	v_mov_b64_e32 v[4:5], v[6:7]
	s_branch .LBB47_2
.LBB47_18:
	s_endpgm
	.section	.rodata,"a",@progbits
	.p2align	6, 0x0
	.amdhsa_kernel naive_conv_ab_nonpacked_wrw_nchw_float_double_float_1
		.amdhsa_group_segment_fixed_size 0
		.amdhsa_private_segment_fixed_size 0
		.amdhsa_kernarg_size 480
		.amdhsa_user_sgpr_count 2
		.amdhsa_user_sgpr_dispatch_ptr 0
		.amdhsa_user_sgpr_queue_ptr 0
		.amdhsa_user_sgpr_kernarg_segment_ptr 1
		.amdhsa_user_sgpr_dispatch_id 0
		.amdhsa_user_sgpr_kernarg_preload_length 0
		.amdhsa_user_sgpr_kernarg_preload_offset 0
		.amdhsa_user_sgpr_private_segment_size 0
		.amdhsa_uses_dynamic_stack 0
		.amdhsa_enable_private_segment 0
		.amdhsa_system_sgpr_workgroup_id_x 1
		.amdhsa_system_sgpr_workgroup_id_y 0
		.amdhsa_system_sgpr_workgroup_id_z 0
		.amdhsa_system_sgpr_workgroup_info 0
		.amdhsa_system_vgpr_workitem_id 0
		.amdhsa_next_free_vgpr 24
		.amdhsa_next_free_sgpr 76
		.amdhsa_accum_offset 24
		.amdhsa_reserve_vcc 1
		.amdhsa_float_round_mode_32 0
		.amdhsa_float_round_mode_16_64 0
		.amdhsa_float_denorm_mode_32 3
		.amdhsa_float_denorm_mode_16_64 3
		.amdhsa_dx10_clamp 1
		.amdhsa_ieee_mode 1
		.amdhsa_fp16_overflow 0
		.amdhsa_tg_split 0
		.amdhsa_exception_fp_ieee_invalid_op 0
		.amdhsa_exception_fp_denorm_src 0
		.amdhsa_exception_fp_ieee_div_zero 0
		.amdhsa_exception_fp_ieee_overflow 0
		.amdhsa_exception_fp_ieee_underflow 0
		.amdhsa_exception_fp_ieee_inexact 0
		.amdhsa_exception_int_div_zero 0
	.end_amdhsa_kernel
	.text
.Lfunc_end47:
	.size	naive_conv_ab_nonpacked_wrw_nchw_float_double_float_1, .Lfunc_end47-naive_conv_ab_nonpacked_wrw_nchw_float_double_float_1
                                        ; -- End function
	.section	.AMDGPU.csdata,"",@progbits
; Kernel info:
; codeLenInByte = 1528
; NumSgprs: 82
; NumVgprs: 24
; NumAgprs: 0
; TotalNumVgprs: 24
; ScratchSize: 0
; MemoryBound: 0
; FloatMode: 240
; IeeeMode: 1
; LDSByteSize: 0 bytes/workgroup (compile time only)
; SGPRBlocks: 10
; VGPRBlocks: 2
; NumSGPRsForWavesPerEU: 82
; NumVGPRsForWavesPerEU: 24
; AccumOffset: 24
; Occupancy: 8
; WaveLimiterHint : 0
; COMPUTE_PGM_RSRC2:SCRATCH_EN: 0
; COMPUTE_PGM_RSRC2:USER_SGPR: 2
; COMPUTE_PGM_RSRC2:TRAP_HANDLER: 0
; COMPUTE_PGM_RSRC2:TGID_X_EN: 1
; COMPUTE_PGM_RSRC2:TGID_Y_EN: 0
; COMPUTE_PGM_RSRC2:TGID_Z_EN: 0
; COMPUTE_PGM_RSRC2:TIDIG_COMP_CNT: 0
; COMPUTE_PGM_RSRC3_GFX90A:ACCUM_OFFSET: 5
; COMPUTE_PGM_RSRC3_GFX90A:TG_SPLIT: 0
	.text
	.protected	naive_conv_ab_packed_wrw_nchw_half_double_half_0 ; -- Begin function naive_conv_ab_packed_wrw_nchw_half_double_half_0
	.globl	naive_conv_ab_packed_wrw_nchw_half_double_half_0
	.p2align	8
	.type	naive_conv_ab_packed_wrw_nchw_half_double_half_0,@function
naive_conv_ab_packed_wrw_nchw_half_double_half_0: ; @naive_conv_ab_packed_wrw_nchw_half_double_half_0
; %bb.0:
	s_load_dwordx16 s[4:19], s[0:1], 0xa0
	s_waitcnt lgkmcnt(0)
	s_abs_i32 s3, s7
	v_cvt_f32_u32_e32 v1, s3
	s_mul_i32 s34, s18, s17
	s_mul_i32 s33, s34, s8
	v_cmp_gt_i32_e32 vcc, s33, v0
	v_rcp_iflag_f32_e32 v1, v1
	s_nop 0
	v_mul_f32_e32 v1, 0x4f7ffffe, v1
	v_cvt_u32_f32_e32 v1, v1
	s_nop 0
	v_readfirstlane_b32 s28, v1
	s_and_saveexec_b64 s[20:21], vcc
	s_cbranch_execz .LBB48_20
; %bb.1:
	s_sub_i32 s35, 0, s3
	s_mul_i32 s35, s35, s28
	s_mul_hi_u32 s35, s28, s35
	s_abs_i32 s31, s2
	s_add_i32 s28, s28, s35
	s_ashr_i32 s29, s2, 31
	s_ashr_i32 s30, s7, 31
	s_mul_hi_u32 s28, s31, s28
	s_xor_b32 s29, s29, s30
	s_mul_i32 s30, s28, s3
	s_sub_i32 s30, s31, s30
	s_add_i32 s31, s28, 1
	s_sub_i32 s35, s30, s3
	s_cmp_ge_u32 s30, s3
	s_cselect_b32 s28, s31, s28
	s_cselect_b32 s30, s35, s30
	s_add_i32 s31, s28, 1
	s_cmp_ge_u32 s30, s3
	s_cselect_b32 s3, s31, s28
	s_xor_b32 s3, s3, s29
	s_sub_i32 s28, s3, s29
	s_ashr_i32 s3, s8, 31
	s_ashr_i32 s44, s4, 31
	s_mov_b32 s45, s4
	s_mul_hi_i32 s31, s5, s4
	s_mul_i32 s4, s5, s4
	s_mul_i32 s29, s28, s7
	s_ashr_i32 s46, s5, 31
	s_mov_b32 s47, s5
	s_mul_i32 s3, s4, s3
	s_mul_hi_u32 s5, s4, s8
	s_load_dwordx8 s[20:27], s[0:1], 0x0
	s_sub_i32 s30, s2, s29
	s_ashr_i32 s2, s28, 31
	s_add_i32 s3, s5, s3
	s_mul_i32 s31, s31, s8
	s_mul_i32 s4, s4, s8
	s_add_i32 s3, s3, s31
	s_mul_i32 s2, s4, s2
	s_mul_hi_u32 s5, s4, s28
	s_add_i32 s2, s5, s2
	s_mul_i32 s3, s3, s28
	s_add_i32 s3, s2, s3
	s_mul_i32 s2, s4, s28
	s_lshl_b64 s[2:3], s[2:3], 1
	s_waitcnt lgkmcnt(0)
	s_add_u32 s2, s20, s2
	s_addc_u32 s3, s21, s3
	s_ashr_i32 s48, s17, 31
	s_ashr_i32 s50, s18, 31
	;; [unrolled: 1-line block ×3, first 2 shown]
	s_mul_hi_i32 s4, s28, s7
	s_add_u32 s35, s29, s30
	s_addc_u32 s40, s4, s5
	s_mul_i32 s5, s17, s8
	s_mul_hi_i32 s4, s17, s8
	s_mul_i32 s20, s5, s50
	s_mul_hi_u32 s21, s5, s18
	s_add_i32 s20, s21, s20
	s_mul_i32 s4, s4, s18
	s_add_i32 s4, s20, s4
	s_mul_i32 s20, s5, s18
	s_mul_i32 s5, s20, s40
	s_mul_hi_u32 s21, s20, s35
	s_add_i32 s5, s21, s5
	s_mul_i32 s4, s4, s35
	s_add_i32 s5, s5, s4
	s_mul_i32 s4, s20, s35
	s_lshl_b64 s[4:5], s[4:5], 1
	s_add_u32 s4, s22, s4
	s_addc_u32 s5, s23, s5
	s_ashr_i32 s37, s10, 31
	s_cmp_lt_i32 s6, 1
	s_cselect_b64 s[20:21], -1, 0
	s_cmp_gt_i32 s9, 0
	s_cselect_b64 s[22:23], -1, 0
	s_cmp_gt_i32 s10, 0
	s_cselect_b64 s[28:29], -1, 0
	s_abs_i32 s54, s18
	v_cvt_f32_u32_e32 v1, s54
	v_cmp_neq_f64_e64 s[30:31], s[24:25], 1.0
	v_cmp_neq_f64_e64 s[38:39], s[26:27], 0
	s_or_b64 s[30:31], s[30:31], s[38:39]
	v_rcp_iflag_f32_e32 v1, v1
	s_load_dwordx2 s[38:39], s[0:1], 0x20
	s_nop 0
	s_load_dword s0, s[0:1], 0xec
	s_abs_i32 s55, s17
	v_cvt_f32_u32_e32 v2, s55
	v_mul_f32_e32 v1, 0x4f7ffffe, v1
	v_cvt_u32_f32_e32 v1, v1
	s_abs_i32 s57, s34
	v_cvt_f32_u32_e32 v4, s57
	s_waitcnt lgkmcnt(0)
	s_and_b32 s56, s0, 0xffff
	s_sub_i32 s0, 0, s54
	v_mul_lo_u32 v3, s0, v1
	v_rcp_iflag_f32_e32 v2, v2
	v_mul_hi_u32 v3, v1, v3
	v_add_u32_e32 v1, v1, v3
	v_rcp_iflag_f32_e32 v3, v4
	v_mul_f32_e32 v2, 0x4f7ffffe, v2
	v_cvt_u32_f32_e32 v2, v2
	s_sub_i32 s0, 0, s55
	v_mul_f32_e32 v3, 0x4f7ffffe, v3
	v_cvt_u32_f32_e32 v3, v3
	v_mul_lo_u32 v4, s0, v2
	s_mov_b32 s49, s17
	v_mul_hi_u32 v4, v2, v4
	s_sub_i32 s0, 0, s57
	s_mul_i32 s17, s10, s9
	v_add_u32_e32 v16, v2, v4
	s_ashr_i32 s58, s34, 31
	v_mul_lo_u32 v2, s0, v3
	s_mul_i32 s0, s17, s40
	s_mul_hi_u32 s1, s17, s35
	s_mul_hi_i32 s34, s10, s9
	s_add_i32 s0, s1, s0
	s_mul_i32 s1, s34, s35
	s_mul_i32 s53, s19, s8
	;; [unrolled: 1-line block ×3, first 2 shown]
	s_add_i32 s1, s0, s1
	s_mul_i32 s0, s17, s35
	s_ashr_i32 s7, s53, 31
	s_ashr_i32 s42, s41, 31
	s_lshl_b64 s[0:1], s[0:1], 1
	s_add_u32 s8, s38, s0
	s_mov_b32 s52, s9
	s_addc_u32 s9, s39, s1
	s_mul_hi_u32 s0, s17, s41
	s_mul_i32 s1, s17, s42
	s_add_i32 s0, s0, s1
	s_mul_i32 s34, s34, s41
	s_mov_b32 s36, s10
	v_mul_hi_u32 v2, v3, v2
	s_add_i32 s1, s0, s34
	s_mul_i32 s0, s17, s41
	s_mov_b32 s51, s18
	s_mov_b64 s[18:19], 0
	v_add_u32_e32 v17, v3, v2
	s_lshl_b64 s[34:35], s[0:1], 1
	s_lshl_b64 s[36:37], s[36:37], 1
	s_sub_i32 s59, 0, s16
	v_mov_b32_e32 v3, 0
	s_branch .LBB48_3
.LBB48_2:                               ;   in Loop: Header=BB48_3 Depth=1
	v_add_u32_e32 v0, s56, v0
	v_cmp_le_i32_e32 vcc, s33, v0
	s_or_b64 s[18:19], vcc, s[18:19]
	s_andn2_b64 exec, exec, s[18:19]
	s_cbranch_execz .LBB48_20
.LBB48_3:                               ; =>This Loop Header: Depth=1
                                        ;     Child Loop BB48_8 Depth 2
                                        ;       Child Loop BB48_11 Depth 3
                                        ;         Child Loop BB48_14 Depth 4
	v_sub_u32_e32 v5, 0, v0
	v_max_i32_e32 v5, v0, v5
	v_mul_hi_u32 v6, v5, v1
	v_mul_lo_u32 v7, v6, s54
	v_sub_u32_e32 v7, v5, v7
	v_add_u32_e32 v8, 1, v6
	v_cmp_le_u32_e32 vcc, s54, v7
	v_ashrrev_i32_e32 v4, 31, v0
	v_xor_b32_e32 v2, s50, v4
	v_cndmask_b32_e32 v6, v6, v8, vcc
	v_subrev_u32_e32 v8, s54, v7
	v_cndmask_b32_e32 v7, v7, v8, vcc
	v_add_u32_e32 v8, 1, v6
	v_cmp_le_u32_e32 vcc, s54, v7
	v_xor_b32_e32 v4, s58, v4
	s_mov_b64 s[38:39], -1
	v_cndmask_b32_e32 v6, v6, v8, vcc
	v_xor_b32_e32 v6, v6, v2
	v_sub_u32_e32 v2, v6, v2
	v_sub_u32_e32 v6, 0, v2
	v_max_i32_e32 v6, v2, v6
	v_mul_hi_u32 v7, v6, v16
	v_mul_lo_u32 v7, v7, s55
	v_sub_u32_e32 v6, v6, v7
	v_subrev_u32_e32 v7, s55, v6
	v_cmp_le_u32_e32 vcc, s55, v6
                                        ; implicit-def: $sgpr16_sgpr17
	s_nop 1
	v_cndmask_b32_e32 v6, v6, v7, vcc
	v_mul_hi_u32 v7, v5, v17
	v_mul_lo_u32 v8, v7, s57
	v_sub_u32_e32 v5, v5, v8
	v_add_u32_e32 v8, 1, v7
	v_cmp_le_u32_e32 vcc, s57, v5
	v_cmp_le_u32_e64 s[0:1], s55, v6
	s_nop 0
	v_cndmask_b32_e32 v7, v7, v8, vcc
	v_subrev_u32_e32 v8, s57, v5
	v_cndmask_b32_e32 v5, v5, v8, vcc
	v_add_u32_e32 v8, 1, v7
	v_cmp_le_u32_e32 vcc, s57, v5
	s_nop 1
	v_cndmask_b32_e32 v5, v7, v8, vcc
	v_xor_b32_e32 v5, v5, v4
	v_sub_u32_e32 v4, v5, v4
	s_andn2_b64 vcc, exec, s[20:21]
	v_ashrrev_i32_e32 v5, 31, v4
	s_cbranch_vccnz .LBB48_5
; %bb.4:                                ;   in Loop: Header=BB48_3 Depth=1
	s_mov_b64 s[38:39], 0
	s_mov_b64 s[16:17], 0
.LBB48_5:                               ;   in Loop: Header=BB48_3 Depth=1
	v_mul_lo_u32 v7, v2, s51
	v_sub_u32_e32 v8, v0, v7
	v_subrev_u32_e32 v7, s55, v6
	v_ashrrev_i32_e32 v2, 31, v2
	v_cndmask_b32_e64 v6, v6, v7, s[0:1]
	v_xor_b32_e32 v6, v6, v2
	v_sub_u32_e32 v10, v6, v2
	s_andn2_b64 vcc, exec, s[38:39]
	v_mov_b64_e32 v[6:7], s[16:17]
	s_cbranch_vccnz .LBB48_16
; %bb.6:                                ;   in Loop: Header=BB48_3 Depth=1
	v_mul_lo_u32 v2, v8, s14
	v_mul_lo_u32 v9, v10, s13
	v_add_u32_e32 v11, s59, v2
	s_mov_b32 s60, 0
	v_mov_b64_e32 v[6:7], 0
	s_mov_b64 s[16:17], s[8:9]
	s_branch .LBB48_8
.LBB48_7:                               ;   in Loop: Header=BB48_8 Depth=2
	s_add_i32 s60, s60, 1
	s_add_u32 s16, s16, s34
	s_addc_u32 s17, s17, s35
	s_cmp_eq_u32 s60, s6
	s_cbranch_scc1 .LBB48_16
.LBB48_8:                               ;   Parent Loop BB48_3 Depth=1
                                        ; =>  This Loop Header: Depth=2
                                        ;       Child Loop BB48_11 Depth 3
                                        ;         Child Loop BB48_14 Depth 4
	s_andn2_b64 vcc, exec, s[22:23]
	s_cbranch_vccnz .LBB48_7
; %bb.9:                                ;   in Loop: Header=BB48_8 Depth=2
	v_mov_b32_e32 v2, s53
	v_mad_u64_u32 v[12:13], s[0:1], s60, v2, v[4:5]
	s_mul_i32 s0, s60, s7
	s_nop 0
	v_add_u32_e32 v2, s0, v13
	v_mul_lo_u32 v14, v12, s44
	v_mul_lo_u32 v2, v2, s45
	v_mad_u64_u32 v[12:13], s[0:1], v12, s45, 0
	v_add3_u32 v13, v13, v14, v2
	s_mov_b32 s61, 0
	s_mov_b64 s[38:39], s[16:17]
	s_branch .LBB48_11
.LBB48_10:                              ;   in Loop: Header=BB48_11 Depth=3
	s_add_i32 s61, s61, 1
	s_add_u32 s38, s38, s36
	s_addc_u32 s39, s39, s37
	s_cmp_eq_u32 s61, s52
	s_cbranch_scc1 .LBB48_7
.LBB48_11:                              ;   Parent Loop BB48_3 Depth=1
                                        ;     Parent Loop BB48_8 Depth=2
                                        ; =>    This Loop Header: Depth=3
                                        ;         Child Loop BB48_14 Depth 4
	s_andn2_b64 vcc, exec, s[28:29]
	s_cbranch_vccnz .LBB48_10
; %bb.12:                               ;   in Loop: Header=BB48_11 Depth=3
	s_mul_i32 s0, s61, s11
	s_sub_i32 s0, s0, s15
	v_add_u32_e32 v2, s0, v9
	v_cmp_gt_i32_e32 vcc, 0, v2
	v_cmp_le_i32_e64 s[0:1], s45, v2
	v_lshl_add_u64 v[14:15], v[12:13], 0, v[2:3]
	s_or_b64 s[40:41], vcc, s[0:1]
	v_mul_lo_u32 v2, v15, s47
	v_mul_lo_u32 v18, v14, s46
	v_mad_u64_u32 v[14:15], s[0:1], v14, s47, 0
	v_add3_u32 v15, v15, v18, v2
	v_lshl_add_u64 v[14:15], v[14:15], 1, s[2:3]
	v_mov_b32_e32 v2, v11
	s_mov_b64 s[42:43], s[38:39]
	s_mov_b32 s62, s10
	s_branch .LBB48_14
.LBB48_13:                              ;   in Loop: Header=BB48_14 Depth=4
	s_or_b64 exec, exec, s[0:1]
	s_add_i32 s62, s62, -1
	s_add_u32 s42, s42, 2
	s_addc_u32 s43, s43, 0
	s_cmp_eq_u32 s62, 0
	v_add_u32_e32 v2, s12, v2
	s_cbranch_scc1 .LBB48_10
.LBB48_14:                              ;   Parent Loop BB48_3 Depth=1
                                        ;     Parent Loop BB48_8 Depth=2
                                        ;       Parent Loop BB48_11 Depth=3
                                        ; =>      This Inner Loop Header: Depth=4
	v_cmp_gt_i32_e32 vcc, 0, v2
	v_cmp_le_i32_e64 s[0:1], s47, v2
	s_or_b64 s[0:1], vcc, s[0:1]
	s_or_b64 s[0:1], s[40:41], s[0:1]
	s_xor_b64 s[64:65], s[0:1], -1
	s_and_saveexec_b64 s[0:1], s[64:65]
	s_cbranch_execz .LBB48_13
; %bb.15:                               ;   in Loop: Header=BB48_14 Depth=4
	v_lshl_add_u64 v[18:19], v[2:3], 1, v[14:15]
	global_load_ushort v18, v[18:19], off
	s_nop 0
	global_load_ushort v19, v3, s[42:43]
	s_waitcnt vmcnt(1)
	v_cvt_f32_f16_e32 v18, v18
	s_waitcnt vmcnt(0)
	v_cvt_f32_f16_e32 v20, v19
	v_cvt_f64_f32_e32 v[18:19], v18
	v_cvt_f64_f32_e32 v[20:21], v20
	v_fmac_f64_e32 v[6:7], v[18:19], v[20:21]
	s_branch .LBB48_13
.LBB48_16:                              ;   in Loop: Header=BB48_3 Depth=1
	v_ashrrev_i32_e32 v11, 31, v10
	v_mul_lo_u32 v2, v4, s48
	v_mul_lo_u32 v9, v5, s49
	v_mad_u64_u32 v[4:5], s[0:1], v4, s49, v[10:11]
	v_add3_u32 v2, v9, v5, v2
	v_ashrrev_i32_e32 v9, 31, v8
	v_mul_lo_u32 v2, v2, s51
	v_mad_u64_u32 v[8:9], s[0:1], v4, s51, v[8:9]
	v_mul_lo_u32 v4, v4, s50
	v_add3_u32 v9, v2, v9, v4
	s_mov_b64 s[0:1], -1
	s_and_b64 vcc, exec, s[30:31]
	v_lshl_add_u64 v[4:5], v[8:9], 1, s[4:5]
	s_cbranch_vccz .LBB48_18
; %bb.17:                               ;   in Loop: Header=BB48_3 Depth=1
	global_load_ushort v2, v[4:5], off
	s_mov_b64 s[0:1], 0
	s_waitcnt vmcnt(0)
	v_cvt_f32_f16_e32 v2, v2
	v_cvt_f64_f32_e32 v[8:9], v2
	v_mul_f64 v[8:9], v[8:9], s[26:27]
	v_fmac_f64_e32 v[8:9], s[24:25], v[6:7]
	v_cvt_f32_f64_e32 v2, v[8:9]
	v_cvt_f16_f32_e32 v2, v2
	global_store_short v[4:5], v2, off
.LBB48_18:                              ;   in Loop: Header=BB48_3 Depth=1
	s_andn2_b64 vcc, exec, s[0:1]
	s_cbranch_vccnz .LBB48_2
; %bb.19:                               ;   in Loop: Header=BB48_3 Depth=1
	v_cvt_f32_f64_e32 v2, v[6:7]
	v_cvt_f16_f32_e32 v2, v2
	global_store_short v[4:5], v2, off
	s_branch .LBB48_2
.LBB48_20:
	s_endpgm
	.section	.rodata,"a",@progbits
	.p2align	6, 0x0
	.amdhsa_kernel naive_conv_ab_packed_wrw_nchw_half_double_half_0
		.amdhsa_group_segment_fixed_size 0
		.amdhsa_private_segment_fixed_size 0
		.amdhsa_kernarg_size 480
		.amdhsa_user_sgpr_count 2
		.amdhsa_user_sgpr_dispatch_ptr 0
		.amdhsa_user_sgpr_queue_ptr 0
		.amdhsa_user_sgpr_kernarg_segment_ptr 1
		.amdhsa_user_sgpr_dispatch_id 0
		.amdhsa_user_sgpr_kernarg_preload_length 0
		.amdhsa_user_sgpr_kernarg_preload_offset 0
		.amdhsa_user_sgpr_private_segment_size 0
		.amdhsa_uses_dynamic_stack 0
		.amdhsa_enable_private_segment 0
		.amdhsa_system_sgpr_workgroup_id_x 1
		.amdhsa_system_sgpr_workgroup_id_y 0
		.amdhsa_system_sgpr_workgroup_id_z 0
		.amdhsa_system_sgpr_workgroup_info 0
		.amdhsa_system_vgpr_workitem_id 0
		.amdhsa_next_free_vgpr 22
		.amdhsa_next_free_sgpr 66
		.amdhsa_accum_offset 24
		.amdhsa_reserve_vcc 1
		.amdhsa_float_round_mode_32 0
		.amdhsa_float_round_mode_16_64 0
		.amdhsa_float_denorm_mode_32 3
		.amdhsa_float_denorm_mode_16_64 3
		.amdhsa_dx10_clamp 1
		.amdhsa_ieee_mode 1
		.amdhsa_fp16_overflow 0
		.amdhsa_tg_split 0
		.amdhsa_exception_fp_ieee_invalid_op 0
		.amdhsa_exception_fp_denorm_src 0
		.amdhsa_exception_fp_ieee_div_zero 0
		.amdhsa_exception_fp_ieee_overflow 0
		.amdhsa_exception_fp_ieee_underflow 0
		.amdhsa_exception_fp_ieee_inexact 0
		.amdhsa_exception_int_div_zero 0
	.end_amdhsa_kernel
	.text
.Lfunc_end48:
	.size	naive_conv_ab_packed_wrw_nchw_half_double_half_0, .Lfunc_end48-naive_conv_ab_packed_wrw_nchw_half_double_half_0
                                        ; -- End function
	.section	.AMDGPU.csdata,"",@progbits
; Kernel info:
; codeLenInByte = 1548
; NumSgprs: 72
; NumVgprs: 22
; NumAgprs: 0
; TotalNumVgprs: 22
; ScratchSize: 0
; MemoryBound: 0
; FloatMode: 240
; IeeeMode: 1
; LDSByteSize: 0 bytes/workgroup (compile time only)
; SGPRBlocks: 8
; VGPRBlocks: 2
; NumSGPRsForWavesPerEU: 72
; NumVGPRsForWavesPerEU: 22
; AccumOffset: 24
; Occupancy: 8
; WaveLimiterHint : 0
; COMPUTE_PGM_RSRC2:SCRATCH_EN: 0
; COMPUTE_PGM_RSRC2:USER_SGPR: 2
; COMPUTE_PGM_RSRC2:TRAP_HANDLER: 0
; COMPUTE_PGM_RSRC2:TGID_X_EN: 1
; COMPUTE_PGM_RSRC2:TGID_Y_EN: 0
; COMPUTE_PGM_RSRC2:TGID_Z_EN: 0
; COMPUTE_PGM_RSRC2:TIDIG_COMP_CNT: 0
; COMPUTE_PGM_RSRC3_GFX90A:ACCUM_OFFSET: 5
; COMPUTE_PGM_RSRC3_GFX90A:TG_SPLIT: 0
	.text
	.protected	naive_conv_ab_nonpacked_wrw_nchw_half_double_half_0 ; -- Begin function naive_conv_ab_nonpacked_wrw_nchw_half_double_half_0
	.globl	naive_conv_ab_nonpacked_wrw_nchw_half_double_half_0
	.p2align	8
	.type	naive_conv_ab_nonpacked_wrw_nchw_half_double_half_0,@function
naive_conv_ab_nonpacked_wrw_nchw_half_double_half_0: ; @naive_conv_ab_nonpacked_wrw_nchw_half_double_half_0
; %bb.0:
	s_load_dwordx8 s[20:27], s[0:1], 0xa0
	s_load_dwordx4 s[28:31], s[0:1], 0xd0
	s_waitcnt lgkmcnt(0)
	s_abs_i32 s3, s23
	v_cvt_f32_u32_e32 v1, s3
	s_mul_i32 s60, s30, s29
	s_mul_i32 s24, s60, s24
	v_cmp_gt_i32_e32 vcc, s24, v0
	v_rcp_iflag_f32_e32 v1, v1
	s_nop 0
	v_mul_f32_e32 v1, 0x4f7ffffe, v1
	v_cvt_u32_f32_e32 v1, v1
	s_nop 0
	v_readfirstlane_b32 s4, v1
	s_and_saveexec_b64 s[6:7], vcc
	s_cbranch_execz .LBB49_20
; %bb.1:
	s_sub_i32 s5, 0, s3
	s_mul_i32 s5, s5, s4
	s_mul_hi_u32 s5, s4, s5
	s_abs_i32 s56, s2
	s_add_i32 s4, s4, s5
	s_ashr_i32 s31, s2, 31
	s_ashr_i32 s33, s23, 31
	s_mul_hi_u32 s57, s56, s4
	s_xor_b32 s31, s31, s33
	s_mul_i32 s33, s57, s3
	s_sub_i32 s33, s56, s33
	s_add_i32 s56, s57, 1
	s_sub_i32 s61, s33, s3
	s_cmp_ge_u32 s33, s3
	s_cselect_b32 s56, s56, s57
	s_cselect_b32 s33, s61, s33
	s_add_i32 s57, s56, 1
	s_cmp_ge_u32 s33, s3
	s_cselect_b32 s3, s57, s56
	s_xor_b32 s3, s3, s31
	s_load_dwordx8 s[36:43], s[0:1], 0x0
	s_load_dwordx2 s[34:35], s[0:1], 0x20
	s_load_dwordx16 s[4:19], s[0:1], 0x28
	s_load_dwordx2 s[58:59], s[0:1], 0x98
	s_load_dwordx4 s[52:55], s[0:1], 0x88
	s_load_dwordx8 s[44:51], s[0:1], 0x68
	s_sub_i32 s31, s3, s31
	s_mul_i32 s3, s31, s23
	s_ashr_i32 s33, s31, 31
	s_sub_i32 s23, s2, s3
	s_waitcnt lgkmcnt(0)
	s_mul_i32 s2, s10, s33
	s_mul_hi_u32 s3, s10, s31
	s_add_i32 s2, s3, s2
	s_mul_i32 s3, s11, s31
	s_add_i32 s3, s2, s3
	s_mul_i32 s2, s10, s31
	s_lshl_b64 s[2:3], s[2:3], 1
	s_add_u32 s2, s36, s2
	s_mul_i32 s10, s46, s33
	s_mul_hi_u32 s11, s46, s31
	s_addc_u32 s3, s37, s3
	s_add_i32 s10, s11, s10
	s_mul_i32 s11, s47, s31
	s_add_i32 s11, s10, s11
	s_mul_i32 s10, s46, s31
	s_ashr_i32 s46, s23, 31
	s_mul_i32 s36, s44, s46
	s_mul_hi_u32 s37, s44, s23
	s_add_i32 s36, s37, s36
	s_mul_i32 s37, s45, s23
	s_add_i32 s37, s36, s37
	s_lshl_b64 s[10:11], s[10:11], 1
	s_mul_i32 s36, s44, s23
	s_add_u32 s38, s38, s10
	s_addc_u32 s39, s39, s11
	s_lshl_b64 s[10:11], s[36:37], 1
	s_add_u32 s10, s38, s10
	s_mul_i32 s33, s54, s33
	s_mul_hi_u32 s36, s54, s31
	s_addc_u32 s11, s39, s11
	s_add_i32 s33, s36, s33
	s_mul_i32 s36, s55, s31
	s_add_i32 s37, s33, s36
	s_mul_i32 s36, s54, s31
	s_mul_i32 s31, s52, s46
	s_mul_hi_u32 s33, s52, s23
	s_add_i32 s31, s33, s31
	s_mul_i32 s33, s53, s23
	s_add_i32 s39, s31, s33
	s_lshl_b64 s[36:37], s[36:37], 1
	s_mul_i32 s38, s52, s23
	s_add_u32 s23, s34, s36
	s_addc_u32 s31, s35, s37
	s_lshl_b64 s[34:35], s[38:39], 1
	s_add_u32 s34, s23, s34
	s_addc_u32 s35, s31, s35
	s_cmp_lt_i32 s22, 1
	s_cselect_b64 s[44:45], -1, 0
	s_cmp_gt_i32 s25, 0
	s_cselect_b64 s[46:47], -1, 0
	s_cmp_gt_i32 s26, 0
	s_cselect_b64 s[52:53], -1, 0
	s_abs_i32 s23, s30
	v_cvt_f32_u32_e32 v1, s23
	s_abs_i32 s33, s29
	v_cvt_f32_u32_e32 v2, s33
	s_abs_i32 s67, s60
	v_rcp_iflag_f32_e32 v1, v1
	v_cmp_neq_f64_e64 s[56:57], s[40:41], 1.0
	s_load_dwordx4 s[36:39], s[0:1], 0xc0
	s_load_dword s31, s[0:1], 0xec
	v_cmp_neq_f64_e64 s[0:1], s[42:43], 0
	v_mul_f32_e32 v1, 0x4f7ffffe, v1
	v_cvt_u32_f32_e32 v1, v1
	v_cvt_f32_u32_e32 v4, s67
	s_or_b64 s[56:57], s[56:57], s[0:1]
	s_sub_i32 s0, 0, s23
	v_mul_lo_u32 v3, s0, v1
	v_rcp_iflag_f32_e32 v2, v2
	v_mul_hi_u32 v3, v1, v3
	v_add_u32_e32 v12, v1, v3
	v_rcp_iflag_f32_e32 v1, v4
	v_mul_f32_e32 v2, 0x4f7ffffe, v2
	v_cvt_u32_f32_e32 v2, v2
	s_sub_i32 s0, 0, s33
	v_mul_f32_e32 v1, 0x4f7ffffe, v1
	v_cvt_u32_f32_e32 v1, v1
	v_mul_lo_u32 v3, s0, v2
	v_mul_hi_u32 v3, v2, v3
	s_sub_i32 s0, 0, s67
	v_add_u32_e32 v13, v2, v3
	v_mul_lo_u32 v2, s0, v1
	v_mul_hi_u32 v2, v1, v2
	s_mov_b64 s[54:55], 0
	s_waitcnt lgkmcnt(0)
	s_and_b32 s31, s31, 0xffff
	s_ashr_i32 s66, s30, 31
	s_ashr_i32 s68, s60, 31
	v_add_u32_e32 v14, v1, v2
	s_lshl_b64 s[58:59], s[58:59], 1
	s_lshl_b64 s[50:51], s[50:51], 1
	;; [unrolled: 1-line block ×3, first 2 shown]
	s_sub_i32 s69, 0, s28
	v_mov_b32_e32 v15, 0
	s_branch .LBB49_3
.LBB49_2:                               ;   in Loop: Header=BB49_3 Depth=1
	v_add_u32_e32 v0, s31, v0
	v_cmp_le_i32_e32 vcc, s24, v0
	s_or_b64 s[54:55], vcc, s[54:55]
	s_andn2_b64 exec, exec, s[54:55]
	s_cbranch_execz .LBB49_20
.LBB49_3:                               ; =>This Loop Header: Depth=1
                                        ;     Child Loop BB49_8 Depth 2
                                        ;       Child Loop BB49_11 Depth 3
                                        ;         Child Loop BB49_14 Depth 4
	v_sub_u32_e32 v3, 0, v0
	v_max_i32_e32 v3, v0, v3
	v_mul_hi_u32 v4, v3, v12
	v_mul_lo_u32 v5, v4, s23
	v_sub_u32_e32 v5, v3, v5
	v_add_u32_e32 v6, 1, v4
	v_cmp_le_u32_e32 vcc, s23, v5
	v_ashrrev_i32_e32 v1, 31, v0
	v_xor_b32_e32 v2, s66, v1
	v_cndmask_b32_e32 v4, v4, v6, vcc
	v_subrev_u32_e32 v6, s23, v5
	v_cndmask_b32_e32 v5, v5, v6, vcc
	v_add_u32_e32 v6, 1, v4
	v_cmp_le_u32_e32 vcc, s23, v5
	v_xor_b32_e32 v1, s68, v1
	s_mov_b64 s[60:61], -1
	v_cndmask_b32_e32 v4, v4, v6, vcc
	v_xor_b32_e32 v4, v4, v2
	v_sub_u32_e32 v4, v4, v2
	v_sub_u32_e32 v2, 0, v4
	v_max_i32_e32 v2, v4, v2
	v_mul_hi_u32 v5, v2, v13
	v_mul_lo_u32 v5, v5, s33
	v_sub_u32_e32 v2, v2, v5
	v_subrev_u32_e32 v5, s33, v2
	v_cmp_le_u32_e32 vcc, s33, v2
                                        ; implicit-def: $sgpr28_sgpr29
	s_nop 1
	v_cndmask_b32_e32 v5, v2, v5, vcc
	v_mul_hi_u32 v2, v3, v14
	v_mul_lo_u32 v6, v2, s67
	v_sub_u32_e32 v3, v3, v6
	v_add_u32_e32 v6, 1, v2
	v_cmp_le_u32_e32 vcc, s67, v3
	v_cmp_le_u32_e64 s[0:1], s33, v5
	s_nop 0
	v_cndmask_b32_e32 v2, v2, v6, vcc
	v_subrev_u32_e32 v6, s67, v3
	v_cndmask_b32_e32 v3, v3, v6, vcc
	v_add_u32_e32 v6, 1, v2
	v_cmp_le_u32_e32 vcc, s67, v3
	s_nop 1
	v_cndmask_b32_e32 v2, v2, v6, vcc
	v_xor_b32_e32 v2, v2, v1
	v_sub_u32_e32 v2, v2, v1
	s_andn2_b64 vcc, exec, s[44:45]
	v_ashrrev_i32_e32 v1, 31, v2
	s_cbranch_vccnz .LBB49_5
; %bb.4:                                ;   in Loop: Header=BB49_3 Depth=1
	s_mov_b64 s[60:61], 0
	s_mov_b64 s[28:29], 0
.LBB49_5:                               ;   in Loop: Header=BB49_3 Depth=1
	v_subrev_u32_e32 v6, s33, v5
	v_mul_lo_u32 v3, v4, s30
	v_ashrrev_i32_e32 v4, 31, v4
	v_cndmask_b32_e64 v5, v5, v6, s[0:1]
	v_xor_b32_e32 v5, v5, v4
	v_sub_u32_e32 v3, v0, v3
	v_sub_u32_e32 v16, v5, v4
	s_andn2_b64 vcc, exec, s[60:61]
	v_mov_b64_e32 v[4:5], s[28:29]
	s_cbranch_vccnz .LBB49_16
; %bb.6:                                ;   in Loop: Header=BB49_3 Depth=1
	v_mul_lo_u32 v6, s9, v2
	v_mul_lo_u32 v7, s8, v1
	v_mad_u64_u32 v[4:5], s[0:1], s8, v2, 0
	v_mul_lo_u32 v8, v3, s38
	v_add3_u32 v5, v5, v7, v6
	v_mul_lo_u32 v17, v16, s37
	v_lshl_add_u64 v[6:7], v[4:5], 1, s[2:3]
	v_add_u32_e32 v18, s69, v8
	s_mov_b32 s70, 0
	v_mov_b64_e32 v[4:5], 0
	s_mov_b64 s[28:29], s[34:35]
	s_branch .LBB49_8
.LBB49_7:                               ;   in Loop: Header=BB49_8 Depth=2
	s_add_i32 s70, s70, 1
	s_add_u32 s28, s28, s58
	s_addc_u32 s29, s29, s59
	s_cmp_eq_u32 s70, s22
	s_cbranch_scc1 .LBB49_16
.LBB49_8:                               ;   Parent Loop BB49_3 Depth=1
                                        ; =>  This Loop Header: Depth=2
                                        ;       Child Loop BB49_11 Depth 3
                                        ;         Child Loop BB49_14 Depth 4
	s_andn2_b64 vcc, exec, s[46:47]
	s_cbranch_vccnz .LBB49_7
; %bb.9:                                ;   in Loop: Header=BB49_8 Depth=2
	s_mul_i32 s0, s13, s70
	s_mul_hi_u32 s1, s12, s70
	s_add_i32 s1, s1, s0
	s_mul_i32 s0, s12, s70
	v_lshl_add_u64 v[8:9], s[0:1], 1, v[6:7]
	s_mov_b32 s71, 0
	s_mov_b64 s[60:61], s[28:29]
	s_branch .LBB49_11
.LBB49_10:                              ;   in Loop: Header=BB49_11 Depth=3
	s_add_i32 s71, s71, 1
	s_add_u32 s60, s60, s50
	s_addc_u32 s61, s61, s51
	s_cmp_eq_u32 s71, s25
	s_cbranch_scc1 .LBB49_7
.LBB49_11:                              ;   Parent Loop BB49_3 Depth=1
                                        ;     Parent Loop BB49_8 Depth=2
                                        ; =>    This Loop Header: Depth=3
                                        ;         Child Loop BB49_14 Depth 4
	s_andn2_b64 vcc, exec, s[52:53]
	s_cbranch_vccnz .LBB49_10
; %bb.12:                               ;   in Loop: Header=BB49_11 Depth=3
	s_mul_i32 s0, s71, s27
	s_sub_i32 s0, s0, s39
	v_add_u32_e32 v19, s0, v17
	v_cmp_gt_i32_e32 vcc, 0, v19
	v_cmp_le_i32_e64 s[0:1], s20, v19
	s_or_b64 s[62:63], vcc, s[0:1]
	v_mad_u64_u32 v[10:11], s[0:1], s6, v19, 0
	v_mov_b32_e32 v20, v11
	v_mad_u64_u32 v[20:21], s[0:1], s7, v19, v[20:21]
	v_mov_b32_e32 v11, v20
	v_lshl_add_u64 v[10:11], v[10:11], 1, v[8:9]
	v_mov_b32_e32 v19, v18
	s_mov_b64 s[64:65], s[60:61]
	s_mov_b32 s72, s26
	s_branch .LBB49_14
.LBB49_13:                              ;   in Loop: Header=BB49_14 Depth=4
	s_or_b64 exec, exec, s[0:1]
	s_add_i32 s72, s72, -1
	s_add_u32 s64, s64, s48
	s_addc_u32 s65, s65, s49
	s_cmp_eq_u32 s72, 0
	v_add_u32_e32 v19, s36, v19
	s_cbranch_scc1 .LBB49_10
.LBB49_14:                              ;   Parent Loop BB49_3 Depth=1
                                        ;     Parent Loop BB49_8 Depth=2
                                        ;       Parent Loop BB49_11 Depth=3
                                        ; =>      This Inner Loop Header: Depth=4
	v_cmp_gt_i32_e32 vcc, 0, v19
	v_cmp_le_i32_e64 s[0:1], s21, v19
	s_or_b64 s[0:1], vcc, s[0:1]
	s_or_b64 s[0:1], s[62:63], s[0:1]
	s_xor_b64 s[74:75], s[0:1], -1
	s_and_saveexec_b64 s[0:1], s[74:75]
	s_cbranch_execz .LBB49_13
; %bb.15:                               ;   in Loop: Header=BB49_14 Depth=4
	v_mad_u64_u32 v[20:21], s[74:75], s4, v19, 0
	v_mov_b32_e32 v22, v21
	v_mad_u64_u32 v[22:23], s[74:75], s5, v19, v[22:23]
	v_mov_b32_e32 v21, v22
	v_lshl_add_u64 v[20:21], v[20:21], 1, v[10:11]
	global_load_ushort v20, v[20:21], off
	s_nop 0
	global_load_ushort v21, v15, s[64:65]
	s_waitcnt vmcnt(1)
	v_cvt_f32_f16_e32 v20, v20
	s_waitcnt vmcnt(0)
	v_cvt_f32_f16_e32 v22, v21
	v_cvt_f64_f32_e32 v[20:21], v20
	v_cvt_f64_f32_e32 v[22:23], v22
	v_fmac_f64_e32 v[4:5], v[20:21], v[22:23]
	s_branch .LBB49_13
.LBB49_16:                              ;   in Loop: Header=BB49_3 Depth=1
	v_ashrrev_i32_e32 v6, 31, v3
	v_mul_lo_u32 v9, s15, v3
	v_mul_lo_u32 v10, s14, v6
	v_mad_u64_u32 v[6:7], s[0:1], s14, v3, 0
	v_ashrrev_i32_e32 v8, 31, v16
	v_add3_u32 v7, v7, v10, v9
	v_mad_u64_u32 v[6:7], s[0:1], s16, v16, v[6:7]
	v_mul_lo_u32 v3, s17, v16
	v_mul_lo_u32 v8, s16, v8
	v_add3_u32 v7, v3, v7, v8
	v_mad_u64_u32 v[6:7], s[0:1], v2, s18, v[6:7]
	v_mul_lo_u32 v2, v2, s19
	v_mul_lo_u32 v1, v1, s18
	v_add3_u32 v7, v1, v7, v2
	s_mov_b64 s[0:1], -1
	s_and_b64 vcc, exec, s[56:57]
	v_lshl_add_u64 v[2:3], v[6:7], 1, s[10:11]
	s_cbranch_vccz .LBB49_18
; %bb.17:                               ;   in Loop: Header=BB49_3 Depth=1
	global_load_ushort v1, v[2:3], off
	s_mov_b64 s[0:1], 0
	s_waitcnt vmcnt(0)
	v_cvt_f32_f16_e32 v1, v1
	v_cvt_f64_f32_e32 v[6:7], v1
	v_mul_f64 v[6:7], v[6:7], s[42:43]
	v_fmac_f64_e32 v[6:7], s[40:41], v[4:5]
	v_cvt_f32_f64_e32 v1, v[6:7]
	v_cvt_f16_f32_e32 v1, v1
	global_store_short v[2:3], v1, off
.LBB49_18:                              ;   in Loop: Header=BB49_3 Depth=1
	s_andn2_b64 vcc, exec, s[0:1]
	s_cbranch_vccnz .LBB49_2
; %bb.19:                               ;   in Loop: Header=BB49_3 Depth=1
	v_cvt_f32_f64_e32 v1, v[4:5]
	v_cvt_f16_f32_e32 v1, v1
	global_store_short v[2:3], v1, off
	s_branch .LBB49_2
.LBB49_20:
	s_endpgm
	.section	.rodata,"a",@progbits
	.p2align	6, 0x0
	.amdhsa_kernel naive_conv_ab_nonpacked_wrw_nchw_half_double_half_0
		.amdhsa_group_segment_fixed_size 0
		.amdhsa_private_segment_fixed_size 0
		.amdhsa_kernarg_size 480
		.amdhsa_user_sgpr_count 2
		.amdhsa_user_sgpr_dispatch_ptr 0
		.amdhsa_user_sgpr_queue_ptr 0
		.amdhsa_user_sgpr_kernarg_segment_ptr 1
		.amdhsa_user_sgpr_dispatch_id 0
		.amdhsa_user_sgpr_kernarg_preload_length 0
		.amdhsa_user_sgpr_kernarg_preload_offset 0
		.amdhsa_user_sgpr_private_segment_size 0
		.amdhsa_uses_dynamic_stack 0
		.amdhsa_enable_private_segment 0
		.amdhsa_system_sgpr_workgroup_id_x 1
		.amdhsa_system_sgpr_workgroup_id_y 0
		.amdhsa_system_sgpr_workgroup_id_z 0
		.amdhsa_system_sgpr_workgroup_info 0
		.amdhsa_system_vgpr_workitem_id 0
		.amdhsa_next_free_vgpr 24
		.amdhsa_next_free_sgpr 76
		.amdhsa_accum_offset 24
		.amdhsa_reserve_vcc 1
		.amdhsa_float_round_mode_32 0
		.amdhsa_float_round_mode_16_64 0
		.amdhsa_float_denorm_mode_32 3
		.amdhsa_float_denorm_mode_16_64 3
		.amdhsa_dx10_clamp 1
		.amdhsa_ieee_mode 1
		.amdhsa_fp16_overflow 0
		.amdhsa_tg_split 0
		.amdhsa_exception_fp_ieee_invalid_op 0
		.amdhsa_exception_fp_denorm_src 0
		.amdhsa_exception_fp_ieee_div_zero 0
		.amdhsa_exception_fp_ieee_overflow 0
		.amdhsa_exception_fp_ieee_underflow 0
		.amdhsa_exception_fp_ieee_inexact 0
		.amdhsa_exception_int_div_zero 0
	.end_amdhsa_kernel
	.text
.Lfunc_end49:
	.size	naive_conv_ab_nonpacked_wrw_nchw_half_double_half_0, .Lfunc_end49-naive_conv_ab_nonpacked_wrw_nchw_half_double_half_0
                                        ; -- End function
	.section	.AMDGPU.csdata,"",@progbits
; Kernel info:
; codeLenInByte = 1548
; NumSgprs: 82
; NumVgprs: 24
; NumAgprs: 0
; TotalNumVgprs: 24
; ScratchSize: 0
; MemoryBound: 0
; FloatMode: 240
; IeeeMode: 1
; LDSByteSize: 0 bytes/workgroup (compile time only)
; SGPRBlocks: 10
; VGPRBlocks: 2
; NumSGPRsForWavesPerEU: 82
; NumVGPRsForWavesPerEU: 24
; AccumOffset: 24
; Occupancy: 8
; WaveLimiterHint : 0
; COMPUTE_PGM_RSRC2:SCRATCH_EN: 0
; COMPUTE_PGM_RSRC2:USER_SGPR: 2
; COMPUTE_PGM_RSRC2:TRAP_HANDLER: 0
; COMPUTE_PGM_RSRC2:TGID_X_EN: 1
; COMPUTE_PGM_RSRC2:TGID_Y_EN: 0
; COMPUTE_PGM_RSRC2:TGID_Z_EN: 0
; COMPUTE_PGM_RSRC2:TIDIG_COMP_CNT: 0
; COMPUTE_PGM_RSRC3_GFX90A:ACCUM_OFFSET: 5
; COMPUTE_PGM_RSRC3_GFX90A:TG_SPLIT: 0
	.text
	.protected	naive_conv_ab_packed_wrw_nchw_ushort_double_ushort_0 ; -- Begin function naive_conv_ab_packed_wrw_nchw_ushort_double_ushort_0
	.globl	naive_conv_ab_packed_wrw_nchw_ushort_double_ushort_0
	.p2align	8
	.type	naive_conv_ab_packed_wrw_nchw_ushort_double_ushort_0,@function
naive_conv_ab_packed_wrw_nchw_ushort_double_ushort_0: ; @naive_conv_ab_packed_wrw_nchw_ushort_double_ushort_0
; %bb.0:
	s_load_dwordx16 s[4:19], s[0:1], 0xa0
	s_waitcnt lgkmcnt(0)
	s_abs_i32 s3, s7
	v_cvt_f32_u32_e32 v1, s3
	s_mul_i32 s34, s18, s17
	s_mul_i32 s33, s34, s8
	v_cmp_gt_i32_e32 vcc, s33, v0
	v_rcp_iflag_f32_e32 v1, v1
	s_nop 0
	v_mul_f32_e32 v1, 0x4f7ffffe, v1
	v_cvt_u32_f32_e32 v1, v1
	s_nop 0
	v_readfirstlane_b32 s28, v1
	s_and_saveexec_b64 s[20:21], vcc
	s_cbranch_execz .LBB50_20
; %bb.1:
	s_sub_i32 s35, 0, s3
	s_mul_i32 s35, s35, s28
	s_mul_hi_u32 s35, s28, s35
	s_abs_i32 s31, s2
	s_add_i32 s28, s28, s35
	s_ashr_i32 s29, s2, 31
	s_ashr_i32 s30, s7, 31
	s_mul_hi_u32 s28, s31, s28
	s_xor_b32 s29, s29, s30
	s_mul_i32 s30, s28, s3
	s_sub_i32 s30, s31, s30
	s_add_i32 s31, s28, 1
	s_sub_i32 s35, s30, s3
	s_cmp_ge_u32 s30, s3
	s_cselect_b32 s28, s31, s28
	s_cselect_b32 s30, s35, s30
	s_add_i32 s31, s28, 1
	s_cmp_ge_u32 s30, s3
	s_cselect_b32 s3, s31, s28
	s_xor_b32 s3, s3, s29
	s_sub_i32 s28, s3, s29
	s_ashr_i32 s3, s8, 31
	s_ashr_i32 s44, s4, 31
	s_mov_b32 s45, s4
	s_mul_hi_i32 s31, s5, s4
	s_mul_i32 s4, s5, s4
	s_mul_i32 s29, s28, s7
	s_ashr_i32 s46, s5, 31
	s_mov_b32 s47, s5
	s_mul_i32 s3, s4, s3
	s_mul_hi_u32 s5, s4, s8
	s_load_dwordx8 s[20:27], s[0:1], 0x0
	s_sub_i32 s30, s2, s29
	s_ashr_i32 s2, s28, 31
	s_add_i32 s3, s5, s3
	s_mul_i32 s31, s31, s8
	s_mul_i32 s4, s4, s8
	s_add_i32 s3, s3, s31
	s_mul_i32 s2, s4, s2
	s_mul_hi_u32 s5, s4, s28
	s_add_i32 s2, s5, s2
	s_mul_i32 s3, s3, s28
	s_add_i32 s3, s2, s3
	s_mul_i32 s2, s4, s28
	s_lshl_b64 s[2:3], s[2:3], 1
	s_waitcnt lgkmcnt(0)
	s_add_u32 s2, s20, s2
	s_addc_u32 s3, s21, s3
	s_ashr_i32 s48, s17, 31
	s_ashr_i32 s50, s18, 31
	;; [unrolled: 1-line block ×3, first 2 shown]
	s_mul_hi_i32 s4, s28, s7
	s_add_u32 s35, s29, s30
	s_addc_u32 s40, s4, s5
	s_mul_i32 s5, s17, s8
	s_mul_hi_i32 s4, s17, s8
	s_mul_i32 s20, s5, s50
	s_mul_hi_u32 s21, s5, s18
	s_add_i32 s20, s21, s20
	s_mul_i32 s4, s4, s18
	s_add_i32 s4, s20, s4
	s_mul_i32 s20, s5, s18
	s_mul_i32 s5, s20, s40
	s_mul_hi_u32 s21, s20, s35
	s_add_i32 s5, s21, s5
	s_mul_i32 s4, s4, s35
	s_add_i32 s5, s5, s4
	s_mul_i32 s4, s20, s35
	s_lshl_b64 s[4:5], s[4:5], 1
	s_add_u32 s4, s22, s4
	s_addc_u32 s5, s23, s5
	s_ashr_i32 s37, s10, 31
	s_cmp_lt_i32 s6, 1
	s_cselect_b64 s[20:21], -1, 0
	s_cmp_gt_i32 s9, 0
	s_cselect_b64 s[22:23], -1, 0
	s_cmp_gt_i32 s10, 0
	s_cselect_b64 s[28:29], -1, 0
	s_abs_i32 s54, s18
	v_cvt_f32_u32_e32 v1, s54
	v_cmp_neq_f64_e64 s[30:31], s[24:25], 1.0
	v_cmp_neq_f64_e64 s[38:39], s[26:27], 0
	s_or_b64 s[30:31], s[30:31], s[38:39]
	v_rcp_iflag_f32_e32 v1, v1
	s_load_dwordx2 s[38:39], s[0:1], 0x20
	s_nop 0
	s_load_dword s0, s[0:1], 0xec
	s_abs_i32 s55, s17
	v_cvt_f32_u32_e32 v2, s55
	v_mul_f32_e32 v1, 0x4f7ffffe, v1
	v_cvt_u32_f32_e32 v1, v1
	s_abs_i32 s57, s34
	v_cvt_f32_u32_e32 v4, s57
	s_waitcnt lgkmcnt(0)
	s_and_b32 s56, s0, 0xffff
	s_sub_i32 s0, 0, s54
	v_mul_lo_u32 v3, s0, v1
	v_rcp_iflag_f32_e32 v2, v2
	v_mul_hi_u32 v3, v1, v3
	v_add_u32_e32 v1, v1, v3
	v_rcp_iflag_f32_e32 v3, v4
	v_mul_f32_e32 v2, 0x4f7ffffe, v2
	v_cvt_u32_f32_e32 v2, v2
	s_sub_i32 s0, 0, s55
	v_mul_f32_e32 v3, 0x4f7ffffe, v3
	v_cvt_u32_f32_e32 v3, v3
	v_mul_lo_u32 v4, s0, v2
	s_mov_b32 s49, s17
	v_mul_hi_u32 v4, v2, v4
	s_sub_i32 s0, 0, s57
	s_mul_i32 s17, s10, s9
	v_add_u32_e32 v16, v2, v4
	s_ashr_i32 s58, s34, 31
	v_mul_lo_u32 v2, s0, v3
	s_mul_i32 s0, s17, s40
	s_mul_hi_u32 s1, s17, s35
	s_mul_hi_i32 s34, s10, s9
	s_add_i32 s0, s1, s0
	s_mul_i32 s1, s34, s35
	s_mul_i32 s53, s19, s8
	;; [unrolled: 1-line block ×3, first 2 shown]
	s_add_i32 s1, s0, s1
	s_mul_i32 s0, s17, s35
	s_ashr_i32 s7, s53, 31
	s_ashr_i32 s42, s41, 31
	s_lshl_b64 s[0:1], s[0:1], 1
	s_add_u32 s8, s38, s0
	s_mov_b32 s52, s9
	s_addc_u32 s9, s39, s1
	s_mul_hi_u32 s0, s17, s41
	s_mul_i32 s1, s17, s42
	s_add_i32 s0, s0, s1
	s_mul_i32 s34, s34, s41
	s_mov_b32 s36, s10
	v_mul_hi_u32 v2, v3, v2
	s_add_i32 s1, s0, s34
	s_mul_i32 s0, s17, s41
	s_mov_b32 s51, s18
	s_mov_b64 s[18:19], 0
	v_add_u32_e32 v17, v3, v2
	s_lshl_b64 s[34:35], s[0:1], 1
	s_lshl_b64 s[36:37], s[36:37], 1
	s_sub_i32 s59, 0, s16
	v_mov_b32_e32 v3, 0
	s_mov_b32 s60, 0x7f800000
	s_branch .LBB50_3
.LBB50_2:                               ;   in Loop: Header=BB50_3 Depth=1
	v_add_u32_e32 v0, s56, v0
	v_cmp_le_i32_e32 vcc, s33, v0
	s_or_b64 s[18:19], vcc, s[18:19]
	s_andn2_b64 exec, exec, s[18:19]
	s_cbranch_execz .LBB50_20
.LBB50_3:                               ; =>This Loop Header: Depth=1
                                        ;     Child Loop BB50_8 Depth 2
                                        ;       Child Loop BB50_11 Depth 3
                                        ;         Child Loop BB50_14 Depth 4
	v_sub_u32_e32 v4, 0, v0
	v_max_i32_e32 v6, v0, v4
	v_mul_hi_u32 v4, v6, v1
	v_mul_lo_u32 v7, v4, s54
	v_sub_u32_e32 v7, v6, v7
	v_add_u32_e32 v8, 1, v4
	v_cmp_le_u32_e32 vcc, s54, v7
	v_ashrrev_i32_e32 v5, 31, v0
	v_xor_b32_e32 v2, s50, v5
	v_cndmask_b32_e32 v4, v4, v8, vcc
	v_subrev_u32_e32 v8, s54, v7
	v_cndmask_b32_e32 v7, v7, v8, vcc
	v_add_u32_e32 v8, 1, v4
	v_cmp_le_u32_e32 vcc, s54, v7
	v_xor_b32_e32 v5, s58, v5
	s_mov_b64 s[38:39], -1
	v_cndmask_b32_e32 v4, v4, v8, vcc
	v_xor_b32_e32 v4, v4, v2
	v_sub_u32_e32 v2, v4, v2
	v_sub_u32_e32 v4, 0, v2
	v_max_i32_e32 v4, v2, v4
	v_mul_hi_u32 v7, v4, v16
	v_mul_lo_u32 v7, v7, s55
	v_sub_u32_e32 v4, v4, v7
	v_subrev_u32_e32 v7, s55, v4
	v_cmp_le_u32_e32 vcc, s55, v4
                                        ; implicit-def: $sgpr16_sgpr17
	s_nop 1
	v_cndmask_b32_e32 v4, v4, v7, vcc
	v_mul_hi_u32 v7, v6, v17
	v_mul_lo_u32 v8, v7, s57
	v_sub_u32_e32 v6, v6, v8
	v_add_u32_e32 v8, 1, v7
	v_cmp_le_u32_e32 vcc, s57, v6
	v_cmp_le_u32_e64 s[0:1], s55, v4
	s_nop 0
	v_cndmask_b32_e32 v7, v7, v8, vcc
	v_subrev_u32_e32 v8, s57, v6
	v_cndmask_b32_e32 v6, v6, v8, vcc
	v_add_u32_e32 v8, 1, v7
	v_cmp_le_u32_e32 vcc, s57, v6
	s_nop 1
	v_cndmask_b32_e32 v6, v7, v8, vcc
	v_xor_b32_e32 v6, v6, v5
	v_sub_u32_e32 v6, v6, v5
	s_andn2_b64 vcc, exec, s[20:21]
	v_ashrrev_i32_e32 v7, 31, v6
	s_cbranch_vccnz .LBB50_5
; %bb.4:                                ;   in Loop: Header=BB50_3 Depth=1
	s_mov_b64 s[38:39], 0
	s_mov_b64 s[16:17], 0
.LBB50_5:                               ;   in Loop: Header=BB50_3 Depth=1
	v_mul_lo_u32 v5, v2, s51
	v_sub_u32_e32 v8, v0, v5
	v_subrev_u32_e32 v5, s55, v4
	v_ashrrev_i32_e32 v2, 31, v2
	v_cndmask_b32_e64 v4, v4, v5, s[0:1]
	v_xor_b32_e32 v4, v4, v2
	v_sub_u32_e32 v10, v4, v2
	s_andn2_b64 vcc, exec, s[38:39]
	v_mov_b64_e32 v[4:5], s[16:17]
	s_cbranch_vccnz .LBB50_16
; %bb.6:                                ;   in Loop: Header=BB50_3 Depth=1
	v_mul_lo_u32 v2, v8, s14
	v_mul_lo_u32 v9, v10, s13
	v_add_u32_e32 v11, s59, v2
	s_mov_b32 s61, 0
	v_mov_b64_e32 v[4:5], 0
	s_mov_b64 s[16:17], s[8:9]
	s_branch .LBB50_8
.LBB50_7:                               ;   in Loop: Header=BB50_8 Depth=2
	s_add_i32 s61, s61, 1
	s_add_u32 s16, s16, s34
	s_addc_u32 s17, s17, s35
	s_cmp_eq_u32 s61, s6
	s_cbranch_scc1 .LBB50_16
.LBB50_8:                               ;   Parent Loop BB50_3 Depth=1
                                        ; =>  This Loop Header: Depth=2
                                        ;       Child Loop BB50_11 Depth 3
                                        ;         Child Loop BB50_14 Depth 4
	s_andn2_b64 vcc, exec, s[22:23]
	s_cbranch_vccnz .LBB50_7
; %bb.9:                                ;   in Loop: Header=BB50_8 Depth=2
	v_mov_b32_e32 v2, s53
	v_mad_u64_u32 v[12:13], s[0:1], s61, v2, v[6:7]
	s_mul_i32 s0, s61, s7
	s_nop 0
	v_add_u32_e32 v2, s0, v13
	v_mul_lo_u32 v14, v12, s44
	v_mul_lo_u32 v2, v2, s45
	v_mad_u64_u32 v[12:13], s[0:1], v12, s45, 0
	v_add3_u32 v13, v13, v14, v2
	s_mov_b32 s62, 0
	s_mov_b64 s[38:39], s[16:17]
	s_branch .LBB50_11
.LBB50_10:                              ;   in Loop: Header=BB50_11 Depth=3
	s_add_i32 s62, s62, 1
	s_add_u32 s38, s38, s36
	s_addc_u32 s39, s39, s37
	s_cmp_eq_u32 s62, s52
	s_cbranch_scc1 .LBB50_7
.LBB50_11:                              ;   Parent Loop BB50_3 Depth=1
                                        ;     Parent Loop BB50_8 Depth=2
                                        ; =>    This Loop Header: Depth=3
                                        ;         Child Loop BB50_14 Depth 4
	s_andn2_b64 vcc, exec, s[28:29]
	s_cbranch_vccnz .LBB50_10
; %bb.12:                               ;   in Loop: Header=BB50_11 Depth=3
	s_mul_i32 s0, s62, s11
	s_sub_i32 s0, s0, s15
	v_add_u32_e32 v2, s0, v9
	v_cmp_gt_i32_e32 vcc, 0, v2
	v_cmp_le_i32_e64 s[0:1], s45, v2
	v_lshl_add_u64 v[14:15], v[12:13], 0, v[2:3]
	s_or_b64 s[40:41], vcc, s[0:1]
	v_mul_lo_u32 v2, v15, s47
	v_mul_lo_u32 v18, v14, s46
	v_mad_u64_u32 v[14:15], s[0:1], v14, s47, 0
	v_add3_u32 v15, v15, v18, v2
	v_lshl_add_u64 v[14:15], v[14:15], 1, s[2:3]
	v_mov_b32_e32 v2, v11
	s_mov_b64 s[42:43], s[38:39]
	s_mov_b32 s63, s10
	s_branch .LBB50_14
.LBB50_13:                              ;   in Loop: Header=BB50_14 Depth=4
	s_or_b64 exec, exec, s[0:1]
	s_add_i32 s63, s63, -1
	s_add_u32 s42, s42, 2
	s_addc_u32 s43, s43, 0
	s_cmp_eq_u32 s63, 0
	v_add_u32_e32 v2, s12, v2
	s_cbranch_scc1 .LBB50_10
.LBB50_14:                              ;   Parent Loop BB50_3 Depth=1
                                        ;     Parent Loop BB50_8 Depth=2
                                        ;       Parent Loop BB50_11 Depth=3
                                        ; =>      This Inner Loop Header: Depth=4
	v_cmp_gt_i32_e32 vcc, 0, v2
	v_cmp_le_i32_e64 s[0:1], s47, v2
	s_or_b64 s[0:1], vcc, s[0:1]
	s_or_b64 s[0:1], s[40:41], s[0:1]
	s_xor_b64 s[64:65], s[0:1], -1
	s_and_saveexec_b64 s[0:1], s[64:65]
	s_cbranch_execz .LBB50_13
; %bb.15:                               ;   in Loop: Header=BB50_14 Depth=4
	v_lshl_add_u64 v[18:19], v[2:3], 1, v[14:15]
	global_load_ushort v20, v3, s[42:43]
	s_nop 0
	global_load_ushort v18, v[18:19], off
	s_waitcnt vmcnt(1)
	v_lshlrev_b32_e32 v20, 16, v20
	s_waitcnt vmcnt(0)
	v_lshlrev_b32_e32 v18, 16, v18
	v_cvt_f64_f32_e32 v[18:19], v18
	v_cvt_f64_f32_e32 v[20:21], v20
	v_fmac_f64_e32 v[4:5], v[18:19], v[20:21]
	s_branch .LBB50_13
.LBB50_16:                              ;   in Loop: Header=BB50_3 Depth=1
	v_ashrrev_i32_e32 v11, 31, v10
	v_mul_lo_u32 v2, v6, s48
	v_mul_lo_u32 v9, v7, s49
	v_mad_u64_u32 v[6:7], s[0:1], v6, s49, v[10:11]
	v_add3_u32 v2, v9, v7, v2
	v_ashrrev_i32_e32 v9, 31, v8
	v_mul_lo_u32 v2, v2, s51
	v_mad_u64_u32 v[8:9], s[0:1], v6, s51, v[8:9]
	v_mul_lo_u32 v6, v6, s50
	v_add3_u32 v9, v2, v9, v6
	s_mov_b64 s[0:1], -1
	s_and_b64 vcc, exec, s[30:31]
	v_lshl_add_u64 v[6:7], v[8:9], 1, s[4:5]
	s_cbranch_vccz .LBB50_18
; %bb.17:                               ;   in Loop: Header=BB50_3 Depth=1
	global_load_ushort v2, v[6:7], off
	s_waitcnt vmcnt(0)
	v_lshlrev_b32_e32 v2, 16, v2
	v_cvt_f64_f32_e32 v[8:9], v2
	v_mul_f64 v[8:9], v[8:9], s[26:27]
	v_fmac_f64_e32 v[8:9], s[24:25], v[4:5]
	v_cvt_f32_f64_e32 v2, v[8:9]
	v_and_b32_e32 v8, 0x7f800000, v2
	v_cmp_ne_u32_sdwa s[0:1], v2, v3 src0_sel:WORD_0 src1_sel:DWORD
	v_cmp_eq_u32_e32 vcc, s60, v8
	s_and_b64 s[0:1], vcc, s[0:1]
	v_cndmask_b32_e64 v8, 0, 1, s[0:1]
	v_or_b32_sdwa v2, v2, v8 dst_sel:DWORD dst_unused:UNUSED_PAD src0_sel:WORD_1 src1_sel:DWORD
	global_store_short v[6:7], v2, off
	s_mov_b64 s[0:1], 0
.LBB50_18:                              ;   in Loop: Header=BB50_3 Depth=1
	s_andn2_b64 vcc, exec, s[0:1]
	s_cbranch_vccnz .LBB50_2
; %bb.19:                               ;   in Loop: Header=BB50_3 Depth=1
	v_cvt_f32_f64_e32 v2, v[4:5]
	v_and_b32_e32 v4, 0x7f800000, v2
	v_cmp_eq_u32_e32 vcc, s60, v4
	v_cmp_ne_u32_sdwa s[0:1], v2, v3 src0_sel:WORD_0 src1_sel:DWORD
	s_and_b64 s[0:1], vcc, s[0:1]
	s_nop 0
	v_cndmask_b32_e64 v4, 0, 1, s[0:1]
	v_or_b32_sdwa v2, v2, v4 dst_sel:DWORD dst_unused:UNUSED_PAD src0_sel:WORD_1 src1_sel:DWORD
	global_store_short v[6:7], v2, off
	s_branch .LBB50_2
.LBB50_20:
	s_endpgm
	.section	.rodata,"a",@progbits
	.p2align	6, 0x0
	.amdhsa_kernel naive_conv_ab_packed_wrw_nchw_ushort_double_ushort_0
		.amdhsa_group_segment_fixed_size 0
		.amdhsa_private_segment_fixed_size 0
		.amdhsa_kernarg_size 480
		.amdhsa_user_sgpr_count 2
		.amdhsa_user_sgpr_dispatch_ptr 0
		.amdhsa_user_sgpr_queue_ptr 0
		.amdhsa_user_sgpr_kernarg_segment_ptr 1
		.amdhsa_user_sgpr_dispatch_id 0
		.amdhsa_user_sgpr_kernarg_preload_length 0
		.amdhsa_user_sgpr_kernarg_preload_offset 0
		.amdhsa_user_sgpr_private_segment_size 0
		.amdhsa_uses_dynamic_stack 0
		.amdhsa_enable_private_segment 0
		.amdhsa_system_sgpr_workgroup_id_x 1
		.amdhsa_system_sgpr_workgroup_id_y 0
		.amdhsa_system_sgpr_workgroup_id_z 0
		.amdhsa_system_sgpr_workgroup_info 0
		.amdhsa_system_vgpr_workitem_id 0
		.amdhsa_next_free_vgpr 22
		.amdhsa_next_free_sgpr 66
		.amdhsa_accum_offset 24
		.amdhsa_reserve_vcc 1
		.amdhsa_float_round_mode_32 0
		.amdhsa_float_round_mode_16_64 0
		.amdhsa_float_denorm_mode_32 3
		.amdhsa_float_denorm_mode_16_64 3
		.amdhsa_dx10_clamp 1
		.amdhsa_ieee_mode 1
		.amdhsa_fp16_overflow 0
		.amdhsa_tg_split 0
		.amdhsa_exception_fp_ieee_invalid_op 0
		.amdhsa_exception_fp_denorm_src 0
		.amdhsa_exception_fp_ieee_div_zero 0
		.amdhsa_exception_fp_ieee_overflow 0
		.amdhsa_exception_fp_ieee_underflow 0
		.amdhsa_exception_fp_ieee_inexact 0
		.amdhsa_exception_int_div_zero 0
	.end_amdhsa_kernel
	.text
.Lfunc_end50:
	.size	naive_conv_ab_packed_wrw_nchw_ushort_double_ushort_0, .Lfunc_end50-naive_conv_ab_packed_wrw_nchw_ushort_double_ushort_0
                                        ; -- End function
	.section	.AMDGPU.csdata,"",@progbits
; Kernel info:
; codeLenInByte = 1632
; NumSgprs: 72
; NumVgprs: 22
; NumAgprs: 0
; TotalNumVgprs: 22
; ScratchSize: 0
; MemoryBound: 0
; FloatMode: 240
; IeeeMode: 1
; LDSByteSize: 0 bytes/workgroup (compile time only)
; SGPRBlocks: 8
; VGPRBlocks: 2
; NumSGPRsForWavesPerEU: 72
; NumVGPRsForWavesPerEU: 22
; AccumOffset: 24
; Occupancy: 8
; WaveLimiterHint : 0
; COMPUTE_PGM_RSRC2:SCRATCH_EN: 0
; COMPUTE_PGM_RSRC2:USER_SGPR: 2
; COMPUTE_PGM_RSRC2:TRAP_HANDLER: 0
; COMPUTE_PGM_RSRC2:TGID_X_EN: 1
; COMPUTE_PGM_RSRC2:TGID_Y_EN: 0
; COMPUTE_PGM_RSRC2:TGID_Z_EN: 0
; COMPUTE_PGM_RSRC2:TIDIG_COMP_CNT: 0
; COMPUTE_PGM_RSRC3_GFX90A:ACCUM_OFFSET: 5
; COMPUTE_PGM_RSRC3_GFX90A:TG_SPLIT: 0
	.text
	.protected	naive_conv_ab_nonpacked_wrw_nchw_ushort_double_ushort_0 ; -- Begin function naive_conv_ab_nonpacked_wrw_nchw_ushort_double_ushort_0
	.globl	naive_conv_ab_nonpacked_wrw_nchw_ushort_double_ushort_0
	.p2align	8
	.type	naive_conv_ab_nonpacked_wrw_nchw_ushort_double_ushort_0,@function
naive_conv_ab_nonpacked_wrw_nchw_ushort_double_ushort_0: ; @naive_conv_ab_nonpacked_wrw_nchw_ushort_double_ushort_0
; %bb.0:
	s_load_dwordx8 s[20:27], s[0:1], 0xa0
	s_load_dwordx4 s[28:31], s[0:1], 0xd0
	s_waitcnt lgkmcnt(0)
	s_abs_i32 s3, s23
	v_cvt_f32_u32_e32 v1, s3
	s_mul_i32 s60, s30, s29
	s_mul_i32 s24, s60, s24
	v_cmp_gt_i32_e32 vcc, s24, v0
	v_rcp_iflag_f32_e32 v1, v1
	s_nop 0
	v_mul_f32_e32 v1, 0x4f7ffffe, v1
	v_cvt_u32_f32_e32 v1, v1
	s_nop 0
	v_readfirstlane_b32 s4, v1
	s_and_saveexec_b64 s[6:7], vcc
	s_cbranch_execz .LBB51_20
; %bb.1:
	s_sub_i32 s5, 0, s3
	s_mul_i32 s5, s5, s4
	s_mul_hi_u32 s5, s4, s5
	s_abs_i32 s56, s2
	s_add_i32 s4, s4, s5
	s_ashr_i32 s31, s2, 31
	s_ashr_i32 s33, s23, 31
	s_mul_hi_u32 s57, s56, s4
	s_xor_b32 s31, s31, s33
	s_mul_i32 s33, s57, s3
	s_sub_i32 s33, s56, s33
	s_add_i32 s56, s57, 1
	s_sub_i32 s61, s33, s3
	s_cmp_ge_u32 s33, s3
	s_cselect_b32 s56, s56, s57
	s_cselect_b32 s33, s61, s33
	s_add_i32 s57, s56, 1
	s_cmp_ge_u32 s33, s3
	s_cselect_b32 s3, s57, s56
	s_xor_b32 s3, s3, s31
	s_load_dwordx8 s[36:43], s[0:1], 0x0
	s_load_dwordx2 s[34:35], s[0:1], 0x20
	s_load_dwordx16 s[4:19], s[0:1], 0x28
	s_load_dwordx2 s[58:59], s[0:1], 0x98
	s_load_dwordx4 s[52:55], s[0:1], 0x88
	s_load_dwordx8 s[44:51], s[0:1], 0x68
	s_sub_i32 s31, s3, s31
	s_mul_i32 s3, s31, s23
	s_ashr_i32 s33, s31, 31
	s_sub_i32 s23, s2, s3
	s_waitcnt lgkmcnt(0)
	s_mul_i32 s2, s10, s33
	s_mul_hi_u32 s3, s10, s31
	s_add_i32 s2, s3, s2
	s_mul_i32 s3, s11, s31
	s_add_i32 s3, s2, s3
	s_mul_i32 s2, s10, s31
	s_lshl_b64 s[2:3], s[2:3], 1
	s_add_u32 s2, s36, s2
	s_mul_i32 s10, s46, s33
	s_mul_hi_u32 s11, s46, s31
	s_addc_u32 s3, s37, s3
	s_add_i32 s10, s11, s10
	s_mul_i32 s11, s47, s31
	s_add_i32 s11, s10, s11
	s_mul_i32 s10, s46, s31
	s_ashr_i32 s46, s23, 31
	s_mul_i32 s36, s44, s46
	s_mul_hi_u32 s37, s44, s23
	s_add_i32 s36, s37, s36
	s_mul_i32 s37, s45, s23
	s_add_i32 s37, s36, s37
	s_lshl_b64 s[10:11], s[10:11], 1
	s_mul_i32 s36, s44, s23
	s_add_u32 s38, s38, s10
	s_addc_u32 s39, s39, s11
	s_lshl_b64 s[10:11], s[36:37], 1
	s_add_u32 s10, s38, s10
	s_mul_i32 s33, s54, s33
	s_mul_hi_u32 s36, s54, s31
	s_addc_u32 s11, s39, s11
	s_add_i32 s33, s36, s33
	s_mul_i32 s36, s55, s31
	s_add_i32 s37, s33, s36
	s_mul_i32 s36, s54, s31
	s_mul_i32 s31, s52, s46
	s_mul_hi_u32 s33, s52, s23
	s_add_i32 s31, s33, s31
	s_mul_i32 s33, s53, s23
	s_add_i32 s39, s31, s33
	s_lshl_b64 s[36:37], s[36:37], 1
	s_mul_i32 s38, s52, s23
	s_add_u32 s23, s34, s36
	s_addc_u32 s31, s35, s37
	s_lshl_b64 s[34:35], s[38:39], 1
	s_add_u32 s34, s23, s34
	s_addc_u32 s35, s31, s35
	s_cmp_lt_i32 s22, 1
	s_cselect_b64 s[44:45], -1, 0
	s_cmp_gt_i32 s25, 0
	s_cselect_b64 s[46:47], -1, 0
	s_cmp_gt_i32 s26, 0
	s_cselect_b64 s[52:53], -1, 0
	s_abs_i32 s23, s30
	v_cvt_f32_u32_e32 v1, s23
	s_abs_i32 s33, s29
	v_cvt_f32_u32_e32 v2, s33
	s_abs_i32 s67, s60
	v_rcp_iflag_f32_e32 v1, v1
	v_cmp_neq_f64_e64 s[56:57], s[40:41], 1.0
	s_load_dwordx4 s[36:39], s[0:1], 0xc0
	s_load_dword s31, s[0:1], 0xec
	v_cmp_neq_f64_e64 s[0:1], s[42:43], 0
	v_mul_f32_e32 v1, 0x4f7ffffe, v1
	v_cvt_u32_f32_e32 v1, v1
	v_cvt_f32_u32_e32 v4, s67
	s_or_b64 s[56:57], s[56:57], s[0:1]
	s_sub_i32 s0, 0, s23
	v_mul_lo_u32 v3, s0, v1
	v_rcp_iflag_f32_e32 v2, v2
	v_mul_hi_u32 v3, v1, v3
	v_add_u32_e32 v12, v1, v3
	v_rcp_iflag_f32_e32 v1, v4
	v_mul_f32_e32 v2, 0x4f7ffffe, v2
	v_cvt_u32_f32_e32 v2, v2
	s_sub_i32 s0, 0, s33
	v_mul_f32_e32 v1, 0x4f7ffffe, v1
	v_cvt_u32_f32_e32 v1, v1
	v_mul_lo_u32 v3, s0, v2
	v_mul_hi_u32 v3, v2, v3
	s_sub_i32 s0, 0, s67
	v_add_u32_e32 v13, v2, v3
	v_mul_lo_u32 v2, s0, v1
	v_mul_hi_u32 v2, v1, v2
	s_mov_b64 s[54:55], 0
	s_waitcnt lgkmcnt(0)
	s_and_b32 s31, s31, 0xffff
	s_ashr_i32 s66, s30, 31
	s_ashr_i32 s68, s60, 31
	v_add_u32_e32 v14, v1, v2
	s_lshl_b64 s[58:59], s[58:59], 1
	s_lshl_b64 s[50:51], s[50:51], 1
	;; [unrolled: 1-line block ×3, first 2 shown]
	s_sub_i32 s69, 0, s28
	v_mov_b32_e32 v15, 0
	s_mov_b32 s70, 0x7f800000
	s_branch .LBB51_3
.LBB51_2:                               ;   in Loop: Header=BB51_3 Depth=1
	v_add_u32_e32 v0, s31, v0
	v_cmp_le_i32_e32 vcc, s24, v0
	s_or_b64 s[54:55], vcc, s[54:55]
	s_andn2_b64 exec, exec, s[54:55]
	s_cbranch_execz .LBB51_20
.LBB51_3:                               ; =>This Loop Header: Depth=1
                                        ;     Child Loop BB51_8 Depth 2
                                        ;       Child Loop BB51_11 Depth 3
                                        ;         Child Loop BB51_14 Depth 4
	v_sub_u32_e32 v3, 0, v0
	v_max_i32_e32 v3, v0, v3
	v_mul_hi_u32 v4, v3, v12
	v_mul_lo_u32 v5, v4, s23
	v_sub_u32_e32 v5, v3, v5
	v_add_u32_e32 v6, 1, v4
	v_cmp_le_u32_e32 vcc, s23, v5
	v_ashrrev_i32_e32 v1, 31, v0
	v_xor_b32_e32 v2, s66, v1
	v_cndmask_b32_e32 v4, v4, v6, vcc
	v_subrev_u32_e32 v6, s23, v5
	v_cndmask_b32_e32 v5, v5, v6, vcc
	v_add_u32_e32 v6, 1, v4
	v_cmp_le_u32_e32 vcc, s23, v5
	v_xor_b32_e32 v1, s68, v1
	s_mov_b64 s[60:61], -1
	v_cndmask_b32_e32 v4, v4, v6, vcc
	v_xor_b32_e32 v4, v4, v2
	v_sub_u32_e32 v4, v4, v2
	v_sub_u32_e32 v2, 0, v4
	v_max_i32_e32 v2, v4, v2
	v_mul_hi_u32 v5, v2, v13
	v_mul_lo_u32 v5, v5, s33
	v_sub_u32_e32 v2, v2, v5
	v_subrev_u32_e32 v5, s33, v2
	v_cmp_le_u32_e32 vcc, s33, v2
                                        ; implicit-def: $sgpr28_sgpr29
	s_nop 1
	v_cndmask_b32_e32 v5, v2, v5, vcc
	v_mul_hi_u32 v2, v3, v14
	v_mul_lo_u32 v6, v2, s67
	v_sub_u32_e32 v3, v3, v6
	v_add_u32_e32 v6, 1, v2
	v_cmp_le_u32_e32 vcc, s67, v3
	v_cmp_le_u32_e64 s[0:1], s33, v5
	s_nop 0
	v_cndmask_b32_e32 v2, v2, v6, vcc
	v_subrev_u32_e32 v6, s67, v3
	v_cndmask_b32_e32 v3, v3, v6, vcc
	v_add_u32_e32 v6, 1, v2
	v_cmp_le_u32_e32 vcc, s67, v3
	s_nop 1
	v_cndmask_b32_e32 v2, v2, v6, vcc
	v_xor_b32_e32 v2, v2, v1
	v_sub_u32_e32 v2, v2, v1
	s_andn2_b64 vcc, exec, s[44:45]
	v_ashrrev_i32_e32 v1, 31, v2
	s_cbranch_vccnz .LBB51_5
; %bb.4:                                ;   in Loop: Header=BB51_3 Depth=1
	s_mov_b64 s[60:61], 0
	s_mov_b64 s[28:29], 0
.LBB51_5:                               ;   in Loop: Header=BB51_3 Depth=1
	v_subrev_u32_e32 v6, s33, v5
	v_mul_lo_u32 v3, v4, s30
	v_ashrrev_i32_e32 v4, 31, v4
	v_cndmask_b32_e64 v5, v5, v6, s[0:1]
	v_xor_b32_e32 v5, v5, v4
	v_sub_u32_e32 v3, v0, v3
	v_sub_u32_e32 v16, v5, v4
	s_andn2_b64 vcc, exec, s[60:61]
	v_mov_b64_e32 v[4:5], s[28:29]
	s_cbranch_vccnz .LBB51_16
; %bb.6:                                ;   in Loop: Header=BB51_3 Depth=1
	v_mul_lo_u32 v6, s9, v2
	v_mul_lo_u32 v7, s8, v1
	v_mad_u64_u32 v[4:5], s[0:1], s8, v2, 0
	v_mul_lo_u32 v8, v3, s38
	v_add3_u32 v5, v5, v7, v6
	v_mul_lo_u32 v17, v16, s37
	v_lshl_add_u64 v[6:7], v[4:5], 1, s[2:3]
	v_add_u32_e32 v18, s69, v8
	s_mov_b32 s71, 0
	v_mov_b64_e32 v[4:5], 0
	s_mov_b64 s[28:29], s[34:35]
	s_branch .LBB51_8
.LBB51_7:                               ;   in Loop: Header=BB51_8 Depth=2
	s_add_i32 s71, s71, 1
	s_add_u32 s28, s28, s58
	s_addc_u32 s29, s29, s59
	s_cmp_eq_u32 s71, s22
	s_cbranch_scc1 .LBB51_16
.LBB51_8:                               ;   Parent Loop BB51_3 Depth=1
                                        ; =>  This Loop Header: Depth=2
                                        ;       Child Loop BB51_11 Depth 3
                                        ;         Child Loop BB51_14 Depth 4
	s_andn2_b64 vcc, exec, s[46:47]
	s_cbranch_vccnz .LBB51_7
; %bb.9:                                ;   in Loop: Header=BB51_8 Depth=2
	s_mul_i32 s0, s13, s71
	s_mul_hi_u32 s1, s12, s71
	s_add_i32 s1, s1, s0
	s_mul_i32 s0, s12, s71
	v_lshl_add_u64 v[8:9], s[0:1], 1, v[6:7]
	s_mov_b32 s72, 0
	s_mov_b64 s[60:61], s[28:29]
	s_branch .LBB51_11
.LBB51_10:                              ;   in Loop: Header=BB51_11 Depth=3
	s_add_i32 s72, s72, 1
	s_add_u32 s60, s60, s50
	s_addc_u32 s61, s61, s51
	s_cmp_eq_u32 s72, s25
	s_cbranch_scc1 .LBB51_7
.LBB51_11:                              ;   Parent Loop BB51_3 Depth=1
                                        ;     Parent Loop BB51_8 Depth=2
                                        ; =>    This Loop Header: Depth=3
                                        ;         Child Loop BB51_14 Depth 4
	s_andn2_b64 vcc, exec, s[52:53]
	s_cbranch_vccnz .LBB51_10
; %bb.12:                               ;   in Loop: Header=BB51_11 Depth=3
	s_mul_i32 s0, s72, s27
	s_sub_i32 s0, s0, s39
	v_add_u32_e32 v19, s0, v17
	v_cmp_gt_i32_e32 vcc, 0, v19
	v_cmp_le_i32_e64 s[0:1], s20, v19
	s_or_b64 s[62:63], vcc, s[0:1]
	v_mad_u64_u32 v[10:11], s[0:1], s6, v19, 0
	v_mov_b32_e32 v20, v11
	v_mad_u64_u32 v[20:21], s[0:1], s7, v19, v[20:21]
	v_mov_b32_e32 v11, v20
	v_lshl_add_u64 v[10:11], v[10:11], 1, v[8:9]
	v_mov_b32_e32 v19, v18
	s_mov_b64 s[64:65], s[60:61]
	s_mov_b32 s73, s26
	s_branch .LBB51_14
.LBB51_13:                              ;   in Loop: Header=BB51_14 Depth=4
	s_or_b64 exec, exec, s[0:1]
	s_add_i32 s73, s73, -1
	s_add_u32 s64, s64, s48
	s_addc_u32 s65, s65, s49
	s_cmp_eq_u32 s73, 0
	v_add_u32_e32 v19, s36, v19
	s_cbranch_scc1 .LBB51_10
.LBB51_14:                              ;   Parent Loop BB51_3 Depth=1
                                        ;     Parent Loop BB51_8 Depth=2
                                        ;       Parent Loop BB51_11 Depth=3
                                        ; =>      This Inner Loop Header: Depth=4
	v_cmp_gt_i32_e32 vcc, 0, v19
	v_cmp_le_i32_e64 s[0:1], s21, v19
	s_or_b64 s[0:1], vcc, s[0:1]
	s_or_b64 s[0:1], s[62:63], s[0:1]
	s_xor_b64 s[74:75], s[0:1], -1
	s_and_saveexec_b64 s[0:1], s[74:75]
	s_cbranch_execz .LBB51_13
; %bb.15:                               ;   in Loop: Header=BB51_14 Depth=4
	v_mad_u64_u32 v[20:21], s[74:75], s4, v19, 0
	v_mov_b32_e32 v22, v21
	v_mad_u64_u32 v[22:23], s[74:75], s5, v19, v[22:23]
	v_mov_b32_e32 v21, v22
	v_lshl_add_u64 v[20:21], v[20:21], 1, v[10:11]
	global_load_ushort v22, v15, s[64:65]
	s_nop 0
	global_load_ushort v20, v[20:21], off
	s_waitcnt vmcnt(1)
	v_lshlrev_b32_e32 v22, 16, v22
	s_waitcnt vmcnt(0)
	v_lshlrev_b32_e32 v20, 16, v20
	v_cvt_f64_f32_e32 v[20:21], v20
	v_cvt_f64_f32_e32 v[22:23], v22
	v_fmac_f64_e32 v[4:5], v[20:21], v[22:23]
	s_branch .LBB51_13
.LBB51_16:                              ;   in Loop: Header=BB51_3 Depth=1
	v_ashrrev_i32_e32 v6, 31, v3
	v_mul_lo_u32 v9, s15, v3
	v_mul_lo_u32 v10, s14, v6
	v_mad_u64_u32 v[6:7], s[0:1], s14, v3, 0
	v_ashrrev_i32_e32 v8, 31, v16
	v_add3_u32 v7, v7, v10, v9
	v_mad_u64_u32 v[6:7], s[0:1], s16, v16, v[6:7]
	v_mul_lo_u32 v3, s17, v16
	v_mul_lo_u32 v8, s16, v8
	v_add3_u32 v7, v3, v7, v8
	v_mad_u64_u32 v[6:7], s[0:1], v2, s18, v[6:7]
	v_mul_lo_u32 v2, v2, s19
	v_mul_lo_u32 v1, v1, s18
	v_add3_u32 v7, v1, v7, v2
	s_mov_b64 s[0:1], -1
	s_and_b64 vcc, exec, s[56:57]
	v_lshl_add_u64 v[2:3], v[6:7], 1, s[10:11]
	s_cbranch_vccz .LBB51_18
; %bb.17:                               ;   in Loop: Header=BB51_3 Depth=1
	global_load_ushort v1, v[2:3], off
	s_waitcnt vmcnt(0)
	v_lshlrev_b32_e32 v1, 16, v1
	v_cvt_f64_f32_e32 v[6:7], v1
	v_mul_f64 v[6:7], v[6:7], s[42:43]
	v_fmac_f64_e32 v[6:7], s[40:41], v[4:5]
	v_cvt_f32_f64_e32 v1, v[6:7]
	v_and_b32_e32 v6, 0x7f800000, v1
	v_cmp_ne_u32_sdwa s[0:1], v1, v15 src0_sel:WORD_0 src1_sel:DWORD
	v_cmp_eq_u32_e32 vcc, s70, v6
	s_and_b64 s[0:1], vcc, s[0:1]
	v_cndmask_b32_e64 v6, 0, 1, s[0:1]
	v_or_b32_sdwa v1, v1, v6 dst_sel:DWORD dst_unused:UNUSED_PAD src0_sel:WORD_1 src1_sel:DWORD
	global_store_short v[2:3], v1, off
	s_mov_b64 s[0:1], 0
.LBB51_18:                              ;   in Loop: Header=BB51_3 Depth=1
	s_andn2_b64 vcc, exec, s[0:1]
	s_cbranch_vccnz .LBB51_2
; %bb.19:                               ;   in Loop: Header=BB51_3 Depth=1
	v_cvt_f32_f64_e32 v1, v[4:5]
	v_and_b32_e32 v4, 0x7f800000, v1
	v_cmp_eq_u32_e32 vcc, s70, v4
	v_cmp_ne_u32_sdwa s[0:1], v1, v15 src0_sel:WORD_0 src1_sel:DWORD
	s_and_b64 s[0:1], vcc, s[0:1]
	s_nop 0
	v_cndmask_b32_e64 v4, 0, 1, s[0:1]
	v_or_b32_sdwa v1, v1, v4 dst_sel:DWORD dst_unused:UNUSED_PAD src0_sel:WORD_1 src1_sel:DWORD
	global_store_short v[2:3], v1, off
	s_branch .LBB51_2
.LBB51_20:
	s_endpgm
	.section	.rodata,"a",@progbits
	.p2align	6, 0x0
	.amdhsa_kernel naive_conv_ab_nonpacked_wrw_nchw_ushort_double_ushort_0
		.amdhsa_group_segment_fixed_size 0
		.amdhsa_private_segment_fixed_size 0
		.amdhsa_kernarg_size 480
		.amdhsa_user_sgpr_count 2
		.amdhsa_user_sgpr_dispatch_ptr 0
		.amdhsa_user_sgpr_queue_ptr 0
		.amdhsa_user_sgpr_kernarg_segment_ptr 1
		.amdhsa_user_sgpr_dispatch_id 0
		.amdhsa_user_sgpr_kernarg_preload_length 0
		.amdhsa_user_sgpr_kernarg_preload_offset 0
		.amdhsa_user_sgpr_private_segment_size 0
		.amdhsa_uses_dynamic_stack 0
		.amdhsa_enable_private_segment 0
		.amdhsa_system_sgpr_workgroup_id_x 1
		.amdhsa_system_sgpr_workgroup_id_y 0
		.amdhsa_system_sgpr_workgroup_id_z 0
		.amdhsa_system_sgpr_workgroup_info 0
		.amdhsa_system_vgpr_workitem_id 0
		.amdhsa_next_free_vgpr 24
		.amdhsa_next_free_sgpr 76
		.amdhsa_accum_offset 24
		.amdhsa_reserve_vcc 1
		.amdhsa_float_round_mode_32 0
		.amdhsa_float_round_mode_16_64 0
		.amdhsa_float_denorm_mode_32 3
		.amdhsa_float_denorm_mode_16_64 3
		.amdhsa_dx10_clamp 1
		.amdhsa_ieee_mode 1
		.amdhsa_fp16_overflow 0
		.amdhsa_tg_split 0
		.amdhsa_exception_fp_ieee_invalid_op 0
		.amdhsa_exception_fp_denorm_src 0
		.amdhsa_exception_fp_ieee_div_zero 0
		.amdhsa_exception_fp_ieee_overflow 0
		.amdhsa_exception_fp_ieee_underflow 0
		.amdhsa_exception_fp_ieee_inexact 0
		.amdhsa_exception_int_div_zero 0
	.end_amdhsa_kernel
	.text
.Lfunc_end51:
	.size	naive_conv_ab_nonpacked_wrw_nchw_ushort_double_ushort_0, .Lfunc_end51-naive_conv_ab_nonpacked_wrw_nchw_ushort_double_ushort_0
                                        ; -- End function
	.section	.AMDGPU.csdata,"",@progbits
; Kernel info:
; codeLenInByte = 1632
; NumSgprs: 82
; NumVgprs: 24
; NumAgprs: 0
; TotalNumVgprs: 24
; ScratchSize: 0
; MemoryBound: 0
; FloatMode: 240
; IeeeMode: 1
; LDSByteSize: 0 bytes/workgroup (compile time only)
; SGPRBlocks: 10
; VGPRBlocks: 2
; NumSGPRsForWavesPerEU: 82
; NumVGPRsForWavesPerEU: 24
; AccumOffset: 24
; Occupancy: 8
; WaveLimiterHint : 0
; COMPUTE_PGM_RSRC2:SCRATCH_EN: 0
; COMPUTE_PGM_RSRC2:USER_SGPR: 2
; COMPUTE_PGM_RSRC2:TRAP_HANDLER: 0
; COMPUTE_PGM_RSRC2:TGID_X_EN: 1
; COMPUTE_PGM_RSRC2:TGID_Y_EN: 0
; COMPUTE_PGM_RSRC2:TGID_Z_EN: 0
; COMPUTE_PGM_RSRC2:TIDIG_COMP_CNT: 0
; COMPUTE_PGM_RSRC3_GFX90A:ACCUM_OFFSET: 5
; COMPUTE_PGM_RSRC3_GFX90A:TG_SPLIT: 0
	.text
	.protected	naive_conv_ab_packed_wrw_nhwc_float_double_float_0 ; -- Begin function naive_conv_ab_packed_wrw_nhwc_float_double_float_0
	.globl	naive_conv_ab_packed_wrw_nhwc_float_double_float_0
	.p2align	8
	.type	naive_conv_ab_packed_wrw_nhwc_float_double_float_0,@function
naive_conv_ab_packed_wrw_nhwc_float_double_float_0: ; @naive_conv_ab_packed_wrw_nhwc_float_double_float_0
; %bb.0:
	s_load_dwordx16 s[8:23], s[0:1], 0xa0
	s_waitcnt lgkmcnt(0)
	s_abs_i32 s4, s11
	v_cvt_f32_u32_e32 v1, s4
	s_mul_i32 s3, s22, s12
	s_mul_i32 s33, s3, s21
	v_cmp_gt_i32_e32 vcc, s33, v0
	v_rcp_iflag_f32_e32 v1, v1
	s_nop 0
	v_mul_f32_e32 v1, 0x4f7ffffe, v1
	v_cvt_u32_f32_e32 v1, v1
	s_nop 0
	v_readfirstlane_b32 s5, v1
	s_and_saveexec_b64 s[6:7], vcc
	s_cbranch_execz .LBB52_18
; %bb.1:
	s_sub_i32 s35, 0, s4
	s_mul_i32 s35, s35, s5
	s_mul_hi_u32 s35, s5, s35
	s_abs_i32 s34, s2
	s_add_i32 s5, s5, s35
	s_ashr_i32 s6, s2, 31
	s_ashr_i32 s7, s11, 31
	s_mul_hi_u32 s5, s34, s5
	s_xor_b32 s6, s6, s7
	s_mul_i32 s7, s5, s4
	s_sub_i32 s7, s34, s7
	s_add_i32 s34, s5, 1
	s_sub_i32 s35, s7, s4
	s_cmp_ge_u32 s7, s4
	s_cselect_b32 s5, s34, s5
	s_cselect_b32 s7, s35, s7
	s_add_i32 s34, s5, 1
	s_cmp_ge_u32 s7, s4
	s_load_dwordx8 s[24:31], s[0:1], 0x0
	s_cselect_b32 s4, s34, s5
	s_xor_b32 s4, s4, s6
	s_sub_i32 s5, s4, s6
	s_mul_i32 s4, s5, s11
	s_mul_hi_i32 s7, s5, s12
	s_mul_i32 s6, s5, s12
	s_sub_i32 s34, s2, s4
	s_ashr_i32 s54, s12, 31
	s_lshl_b64 s[6:7], s[6:7], 2
	s_waitcnt lgkmcnt(0)
	s_add_u32 s6, s24, s6
	s_addc_u32 s7, s25, s7
	s_ashr_i32 s2, s22, 31
	s_ashr_i32 s35, s34, 31
	s_mul_hi_i32 s36, s21, s12
	s_mul_i32 s21, s21, s12
	s_mul_hi_i32 s5, s5, s11
	s_add_u32 s24, s4, s34
	s_mul_i32 s2, s21, s2
	s_mul_hi_u32 s37, s21, s22
	s_addc_u32 s25, s5, s35
	s_add_i32 s2, s37, s2
	s_mul_i32 s36, s36, s22
	s_mul_i32 s21, s21, s22
	s_add_i32 s2, s2, s36
	s_mul_i32 s25, s21, s25
	s_mul_hi_u32 s36, s21, s24
	s_add_i32 s25, s36, s25
	s_mul_i32 s2, s2, s24
	s_load_dwordx2 s[36:37], s[0:1], 0x20
	s_add_i32 s25, s25, s2
	s_load_dword s2, s[0:1], 0xec
	s_mul_i32 s24, s21, s24
	s_lshl_b64 s[24:25], s[24:25], 2
	s_add_u32 s24, s26, s24
	s_addc_u32 s25, s27, s25
	s_lshl_b64 s[4:5], s[4:5], 2
	s_waitcnt lgkmcnt(0)
	s_add_u32 s4, s36, s4
	s_addc_u32 s5, s37, s5
	s_lshl_b64 s[0:1], s[34:35], 2
	s_add_u32 s26, s4, s0
	s_addc_u32 s27, s5, s1
	s_cmp_lt_i32 s10, 1
	s_cselect_b64 s[34:35], -1, 0
	s_cmp_gt_i32 s13, 0
	s_cselect_b64 s[36:37], -1, 0
	s_cmp_gt_i32 s14, 0
	s_mov_b32 s55, s12
	s_mul_i32 s56, s23, s12
	s_cselect_b64 s[38:39], -1, 0
	s_abs_i32 s12, s12
	v_cvt_f32_u32_e32 v1, s12
	s_abs_i32 s60, s22
	v_cvt_f32_u32_e32 v2, s60
	s_abs_i32 s62, s3
	v_rcp_iflag_f32_e32 v1, v1
	v_cvt_f32_u32_e32 v4, s62
	s_and_b32 s61, s2, 0xffff
	s_sub_i32 s2, 0, s12
	v_mul_f32_e32 v1, 0x4f7ffffe, v1
	v_cvt_u32_f32_e32 v1, v1
	v_rcp_iflag_f32_e32 v2, v2
	s_mul_i32 s0, s23, s11
	s_ashr_i32 s21, s13, 31
	v_mul_lo_u32 v3, s2, v1
	v_mul_hi_u32 v3, v1, v3
	v_add_u32_e32 v1, v1, v3
	v_rcp_iflag_f32_e32 v3, v4
	v_mul_f32_e32 v2, 0x4f7ffffe, v2
	v_cvt_u32_f32_e32 v2, v2
	s_sub_i32 s2, 0, s60
	v_mul_f32_e32 v3, 0x4f7ffffe, v3
	v_cvt_u32_f32_e32 v3, v3
	v_mul_lo_u32 v4, s2, v2
	v_mul_hi_u32 v4, v2, v4
	s_sub_i32 s2, 0, s62
	v_cmp_neq_f64_e64 s[4:5], s[28:29], 1.0
	v_cmp_neq_f64_e64 s[42:43], s[30:31], 0
	v_add_u32_e32 v14, v2, v4
	v_mul_lo_u32 v2, s2, v3
	s_mul_i32 s2, s14, s0
	s_or_b64 s[42:43], s[4:5], s[42:43]
	s_ashr_i32 s63, s3, 31
	s_mul_i32 s3, s2, s21
	s_mul_hi_u32 s4, s2, s13
	s_add_i32 s4, s4, s3
	s_mul_hi_i32 s3, s14, s0
	s_mul_i32 s5, s3, s13
	s_ashr_i32 s1, s0, 31
	v_mul_hi_u32 v2, v3, v2
	s_add_i32 s5, s4, s5
	s_mul_i32 s4, s2, s13
	s_ashr_i32 s11, s8, 31
	s_mov_b32 s23, s8
	s_ashr_i32 s57, s9, 31
	s_mov_b32 s58, s9
	s_ashr_i32 s59, s56, 31
	s_mov_b64 s[40:41], 0
	v_add_u32_e32 v15, v3, v2
	s_lshl_b64 s[44:45], s[4:5], 2
	s_lshl_b64 s[46:47], s[2:3], 2
	;; [unrolled: 1-line block ×3, first 2 shown]
	s_sub_i32 s64, 0, s20
	v_mov_b32_e32 v3, 0
	s_branch .LBB52_3
.LBB52_2:                               ;   in Loop: Header=BB52_3 Depth=1
	v_add_u32_e32 v0, s61, v0
	v_cmp_le_i32_e32 vcc, s33, v0
	v_cvt_f32_f64_e32 v2, v[6:7]
	s_or_b64 s[40:41], vcc, s[40:41]
	global_store_dword v[4:5], v2, off
	s_andn2_b64 exec, exec, s[40:41]
	s_cbranch_execz .LBB52_18
.LBB52_3:                               ; =>This Loop Header: Depth=1
                                        ;     Child Loop BB52_8 Depth 2
                                        ;       Child Loop BB52_11 Depth 3
                                        ;         Child Loop BB52_14 Depth 4
	v_sub_u32_e32 v5, 0, v0
	v_max_i32_e32 v5, v0, v5
	v_mul_hi_u32 v6, v5, v1
	v_mul_lo_u32 v7, v6, s12
	v_sub_u32_e32 v7, v5, v7
	v_add_u32_e32 v8, 1, v6
	v_cmp_le_u32_e32 vcc, s12, v7
	v_ashrrev_i32_e32 v2, 31, v0
	v_xor_b32_e32 v4, s54, v2
	v_cndmask_b32_e32 v6, v6, v8, vcc
	v_subrev_u32_e32 v8, s12, v7
	v_cndmask_b32_e32 v7, v7, v8, vcc
	v_add_u32_e32 v8, 1, v6
	v_cmp_le_u32_e32 vcc, s12, v7
	s_mov_b64 s[50:51], -1
                                        ; implicit-def: $sgpr20_sgpr21
	s_nop 0
	v_cndmask_b32_e32 v6, v6, v8, vcc
	v_xor_b32_e32 v6, v6, v4
	v_sub_u32_e32 v6, v6, v4
	v_sub_u32_e32 v7, 0, v6
	v_max_i32_e32 v7, v6, v7
	v_mul_hi_u32 v8, v7, v14
	v_mul_lo_u32 v8, v8, s60
	v_sub_u32_e32 v7, v7, v8
	v_subrev_u32_e32 v8, s60, v7
	v_cmp_le_u32_e32 vcc, s60, v7
	v_mul_lo_u32 v4, v6, s55
	v_sub_u32_e32 v4, v0, v4
	v_cndmask_b32_e32 v8, v7, v8, vcc
	v_mul_hi_u32 v7, v5, v15
	v_mul_lo_u32 v9, v7, s62
	v_sub_u32_e32 v5, v5, v9
	v_subrev_u32_e32 v9, s62, v5
	v_cmp_le_u32_e64 s[2:3], s62, v5
	v_cmp_le_u32_e64 s[0:1], s60, v8
	s_andn2_b64 vcc, exec, s[34:35]
	v_cndmask_b32_e64 v5, v5, v9, s[2:3]
	v_cmp_le_u32_e64 s[4:5], s62, v5
	v_ashrrev_i32_e32 v5, 31, v4
	s_cbranch_vccnz .LBB52_5
; %bb.4:                                ;   in Loop: Header=BB52_3 Depth=1
	s_mov_b64 s[50:51], 0
	s_mov_b64 s[20:21], 0
.LBB52_5:                               ;   in Loop: Header=BB52_3 Depth=1
	v_subrev_u32_e32 v9, s60, v8
	v_ashrrev_i32_e32 v6, 31, v6
	v_cndmask_b32_e64 v8, v8, v9, s[0:1]
	v_xor_b32_e32 v8, v8, v6
	v_sub_u32_e32 v8, v8, v6
	v_add_u32_e32 v6, 1, v7
	v_cndmask_b32_e64 v6, v7, v6, s[2:3]
	v_add_u32_e32 v7, 1, v6
	v_xor_b32_e32 v2, s63, v2
	v_cndmask_b32_e64 v6, v6, v7, s[4:5]
	v_xor_b32_e32 v6, v6, v2
	v_sub_u32_e32 v16, v6, v2
	s_andn2_b64 vcc, exec, s[50:51]
	v_mov_b64_e32 v[6:7], s[20:21]
	s_cbranch_vccnz .LBB52_16
; %bb.6:                                ;   in Loop: Header=BB52_3 Depth=1
	v_mul_lo_u32 v2, v8, s18
	v_mul_lo_u32 v9, v16, s17
	v_lshl_add_u64 v[10:11], v[4:5], 2, s[6:7]
	v_add_u32_e32 v17, s64, v2
	s_mov_b32 s65, 0
	v_mov_b64_e32 v[6:7], 0
	s_mov_b64 s[2:3], s[26:27]
	s_branch .LBB52_8
.LBB52_7:                               ;   in Loop: Header=BB52_8 Depth=2
	s_add_i32 s65, s65, 1
	s_add_u32 s2, s2, s44
	s_addc_u32 s3, s3, s45
	s_cmp_eq_u32 s65, s10
	s_cbranch_scc1 .LBB52_16
.LBB52_8:                               ;   Parent Loop BB52_3 Depth=1
                                        ; =>  This Loop Header: Depth=2
                                        ;       Child Loop BB52_11 Depth 3
                                        ;         Child Loop BB52_14 Depth 4
	s_andn2_b64 vcc, exec, s[36:37]
	s_cbranch_vccnz .LBB52_7
; %bb.9:                                ;   in Loop: Header=BB52_8 Depth=2
	s_mul_i32 s0, s65, s11
	s_mul_hi_u32 s1, s65, s23
	s_add_i32 s5, s1, s0
	s_mul_i32 s4, s65, s23
	s_mov_b32 s66, 0
	s_mov_b64 s[20:21], s[2:3]
	s_branch .LBB52_11
.LBB52_10:                              ;   in Loop: Header=BB52_11 Depth=3
	s_add_i32 s66, s66, 1
	s_add_u32 s20, s20, s46
	s_addc_u32 s21, s21, s47
	s_cmp_eq_u32 s66, s13
	s_cbranch_scc1 .LBB52_7
.LBB52_11:                              ;   Parent Loop BB52_3 Depth=1
                                        ;     Parent Loop BB52_8 Depth=2
                                        ; =>    This Loop Header: Depth=3
                                        ;         Child Loop BB52_14 Depth 4
	s_andn2_b64 vcc, exec, s[38:39]
	s_cbranch_vccnz .LBB52_10
; %bb.12:                               ;   in Loop: Header=BB52_11 Depth=3
	s_mul_i32 s0, s66, s15
	s_sub_i32 s0, s0, s19
	v_add_u32_e32 v2, s0, v9
	v_cmp_gt_i32_e32 vcc, 0, v2
	v_cmp_le_i32_e64 s[0:1], s8, v2
	v_lshl_add_u64 v[12:13], s[4:5], 0, v[2:3]
	s_or_b64 s[50:51], vcc, s[0:1]
	v_mul_lo_u32 v2, v13, s58
	v_mul_lo_u32 v18, v12, s57
	v_mad_u64_u32 v[12:13], s[0:1], v12, s58, 0
	v_add3_u32 v13, v13, v18, v2
	v_mov_b32_e32 v2, v17
	s_mov_b64 s[52:53], s[20:21]
	s_mov_b32 s67, s14
	s_branch .LBB52_14
.LBB52_13:                              ;   in Loop: Header=BB52_14 Depth=4
	s_or_b64 exec, exec, s[0:1]
	s_add_i32 s67, s67, -1
	s_add_u32 s52, s52, s48
	s_addc_u32 s53, s53, s49
	s_cmp_eq_u32 s67, 0
	v_add_u32_e32 v2, s16, v2
	s_cbranch_scc1 .LBB52_10
.LBB52_14:                              ;   Parent Loop BB52_3 Depth=1
                                        ;     Parent Loop BB52_8 Depth=2
                                        ;       Parent Loop BB52_11 Depth=3
                                        ; =>      This Inner Loop Header: Depth=4
	v_cmp_gt_i32_e32 vcc, 0, v2
	v_cmp_le_i32_e64 s[0:1], s9, v2
	s_or_b64 s[0:1], vcc, s[0:1]
	s_or_b64 s[0:1], s[50:51], s[0:1]
	s_xor_b64 s[68:69], s[0:1], -1
	s_and_saveexec_b64 s[0:1], s[68:69]
	s_cbranch_execz .LBB52_13
; %bb.15:                               ;   in Loop: Header=BB52_14 Depth=4
	v_lshl_add_u64 v[18:19], v[12:13], 0, v[2:3]
	v_mul_lo_u32 v20, v19, s56
	v_mul_lo_u32 v21, v18, s59
	v_mad_u64_u32 v[18:19], s[68:69], v18, s56, 0
	v_add3_u32 v19, v19, v21, v20
	v_lshl_add_u64 v[18:19], v[18:19], 2, v[10:11]
	global_load_dword v18, v[18:19], off
	s_load_dword s68, s[52:53], 0x0
	s_waitcnt lgkmcnt(0)
	v_cvt_f64_f32_e32 v[20:21], s68
	s_waitcnt vmcnt(0)
	v_cvt_f64_f32_e32 v[18:19], v18
	v_fmac_f64_e32 v[6:7], v[18:19], v[20:21]
	s_branch .LBB52_13
.LBB52_16:                              ;   in Loop: Header=BB52_3 Depth=1
	v_ashrrev_i32_e32 v9, 31, v8
	v_mad_i64_i32 v[8:9], s[0:1], v16, s22, v[8:9]
	v_mul_lo_u32 v2, v9, s55
	v_mul_lo_u32 v10, v8, s54
	v_mad_u64_u32 v[8:9], s[0:1], v8, s55, 0
	v_add3_u32 v9, v9, v10, v2
	v_lshl_add_u64 v[8:9], v[8:9], 2, s[24:25]
	s_andn2_b64 vcc, exec, s[42:43]
	v_lshl_add_u64 v[4:5], v[4:5], 2, v[8:9]
	s_cbranch_vccnz .LBB52_2
; %bb.17:                               ;   in Loop: Header=BB52_3 Depth=1
	global_load_dword v2, v[4:5], off
	s_waitcnt vmcnt(0)
	v_cvt_f64_f32_e32 v[8:9], v2
	v_mul_f64 v[8:9], v[8:9], s[30:31]
	v_fmac_f64_e32 v[8:9], s[28:29], v[6:7]
	v_mov_b64_e32 v[6:7], v[8:9]
	s_branch .LBB52_2
.LBB52_18:
	s_endpgm
	.section	.rodata,"a",@progbits
	.p2align	6, 0x0
	.amdhsa_kernel naive_conv_ab_packed_wrw_nhwc_float_double_float_0
		.amdhsa_group_segment_fixed_size 0
		.amdhsa_private_segment_fixed_size 0
		.amdhsa_kernarg_size 480
		.amdhsa_user_sgpr_count 2
		.amdhsa_user_sgpr_dispatch_ptr 0
		.amdhsa_user_sgpr_queue_ptr 0
		.amdhsa_user_sgpr_kernarg_segment_ptr 1
		.amdhsa_user_sgpr_dispatch_id 0
		.amdhsa_user_sgpr_kernarg_preload_length 0
		.amdhsa_user_sgpr_kernarg_preload_offset 0
		.amdhsa_user_sgpr_private_segment_size 0
		.amdhsa_uses_dynamic_stack 0
		.amdhsa_enable_private_segment 0
		.amdhsa_system_sgpr_workgroup_id_x 1
		.amdhsa_system_sgpr_workgroup_id_y 0
		.amdhsa_system_sgpr_workgroup_id_z 0
		.amdhsa_system_sgpr_workgroup_info 0
		.amdhsa_system_vgpr_workitem_id 0
		.amdhsa_next_free_vgpr 22
		.amdhsa_next_free_sgpr 70
		.amdhsa_accum_offset 24
		.amdhsa_reserve_vcc 1
		.amdhsa_float_round_mode_32 0
		.amdhsa_float_round_mode_16_64 0
		.amdhsa_float_denorm_mode_32 3
		.amdhsa_float_denorm_mode_16_64 3
		.amdhsa_dx10_clamp 1
		.amdhsa_ieee_mode 1
		.amdhsa_fp16_overflow 0
		.amdhsa_tg_split 0
		.amdhsa_exception_fp_ieee_invalid_op 0
		.amdhsa_exception_fp_denorm_src 0
		.amdhsa_exception_fp_ieee_div_zero 0
		.amdhsa_exception_fp_ieee_overflow 0
		.amdhsa_exception_fp_ieee_underflow 0
		.amdhsa_exception_fp_ieee_inexact 0
		.amdhsa_exception_int_div_zero 0
	.end_amdhsa_kernel
	.text
.Lfunc_end52:
	.size	naive_conv_ab_packed_wrw_nhwc_float_double_float_0, .Lfunc_end52-naive_conv_ab_packed_wrw_nhwc_float_double_float_0
                                        ; -- End function
	.section	.AMDGPU.csdata,"",@progbits
; Kernel info:
; codeLenInByte = 1412
; NumSgprs: 76
; NumVgprs: 22
; NumAgprs: 0
; TotalNumVgprs: 22
; ScratchSize: 0
; MemoryBound: 0
; FloatMode: 240
; IeeeMode: 1
; LDSByteSize: 0 bytes/workgroup (compile time only)
; SGPRBlocks: 9
; VGPRBlocks: 2
; NumSGPRsForWavesPerEU: 76
; NumVGPRsForWavesPerEU: 22
; AccumOffset: 24
; Occupancy: 8
; WaveLimiterHint : 0
; COMPUTE_PGM_RSRC2:SCRATCH_EN: 0
; COMPUTE_PGM_RSRC2:USER_SGPR: 2
; COMPUTE_PGM_RSRC2:TRAP_HANDLER: 0
; COMPUTE_PGM_RSRC2:TGID_X_EN: 1
; COMPUTE_PGM_RSRC2:TGID_Y_EN: 0
; COMPUTE_PGM_RSRC2:TGID_Z_EN: 0
; COMPUTE_PGM_RSRC2:TIDIG_COMP_CNT: 0
; COMPUTE_PGM_RSRC3_GFX90A:ACCUM_OFFSET: 5
; COMPUTE_PGM_RSRC3_GFX90A:TG_SPLIT: 0
	.text
	.protected	naive_conv_ab_nonpacked_wrw_nhwc_float_double_float_0 ; -- Begin function naive_conv_ab_nonpacked_wrw_nhwc_float_double_float_0
	.globl	naive_conv_ab_nonpacked_wrw_nhwc_float_double_float_0
	.p2align	8
	.type	naive_conv_ab_nonpacked_wrw_nhwc_float_double_float_0,@function
naive_conv_ab_nonpacked_wrw_nhwc_float_double_float_0: ; @naive_conv_ab_nonpacked_wrw_nhwc_float_double_float_0
; %bb.0:
	s_load_dwordx8 s[24:31], s[0:1], 0xa0
	s_load_dwordx4 s[4:7], s[0:1], 0xd0
	s_waitcnt lgkmcnt(0)
	s_abs_i32 s34, s27
	v_cvt_f32_u32_e32 v1, s34
	s_mul_i32 s3, s6, s28
	s_mul_i32 s33, s3, s5
	v_cmp_gt_i32_e32 vcc, s33, v0
	v_rcp_iflag_f32_e32 v1, v1
	s_nop 0
	v_mul_f32_e32 v1, 0x4f7ffffe, v1
	v_cvt_u32_f32_e32 v1, v1
	s_nop 0
	v_readfirstlane_b32 s5, v1
	s_and_saveexec_b64 s[8:9], vcc
	s_cbranch_execz .LBB53_18
; %bb.1:
	s_sub_i32 s8, 0, s34
	s_mul_i32 s8, s8, s5
	s_mul_hi_u32 s8, s5, s8
	s_abs_i32 s58, s2
	s_add_i32 s5, s5, s8
	s_ashr_i32 s7, s2, 31
	s_ashr_i32 s35, s27, 31
	s_mul_hi_u32 s5, s58, s5
	s_xor_b32 s7, s7, s35
	s_mul_i32 s35, s5, s34
	s_sub_i32 s35, s58, s35
	s_add_i32 s58, s5, 1
	s_sub_i32 s59, s35, s34
	s_cmp_ge_u32 s35, s34
	s_cselect_b32 s5, s58, s5
	s_cselect_b32 s35, s59, s35
	s_add_i32 s58, s5, 1
	s_cmp_ge_u32 s35, s34
	s_cselect_b32 s5, s58, s5
	s_xor_b32 s5, s5, s7
	s_sub_i32 s5, s5, s7
	s_load_dwordx8 s[36:43], s[0:1], 0x0
	s_load_dwordx2 s[56:57], s[0:1], 0x20
	s_load_dwordx16 s[8:23], s[0:1], 0x28
	s_load_dwordx2 s[60:61], s[0:1], 0x98
	s_load_dwordx4 s[52:55], s[0:1], 0x88
	s_load_dwordx8 s[44:51], s[0:1], 0x68
	s_mul_i32 s7, s5, s27
	s_sub_i32 s2, s2, s7
	s_ashr_i32 s7, s5, 31
	s_waitcnt lgkmcnt(0)
	s_mul_i32 s27, s10, s7
	s_mul_hi_u32 s34, s10, s5
	s_add_i32 s27, s34, s27
	s_mul_i32 s11, s11, s5
	s_add_i32 s11, s27, s11
	s_mul_i32 s10, s10, s5
	s_lshl_b64 s[10:11], s[10:11], 2
	s_add_u32 s10, s36, s10
	s_mul_i32 s27, s46, s7
	s_mul_hi_u32 s34, s46, s5
	s_addc_u32 s11, s37, s11
	s_add_i32 s27, s34, s27
	s_mul_i32 s34, s47, s5
	s_add_i32 s35, s27, s34
	s_ashr_i32 s27, s2, 31
	s_mul_i32 s36, s44, s27
	s_mul_hi_u32 s37, s44, s2
	s_mul_i32 s34, s46, s5
	s_add_i32 s36, s37, s36
	s_mul_i32 s37, s45, s2
	s_add_i32 s37, s36, s37
	s_lshl_b64 s[34:35], s[34:35], 2
	s_mul_i32 s36, s44, s2
	s_add_u32 s38, s38, s34
	s_addc_u32 s39, s39, s35
	s_lshl_b64 s[34:35], s[36:37], 2
	s_add_u32 s34, s38, s34
	s_mul_i32 s7, s50, s7
	s_mul_hi_u32 s36, s50, s5
	s_addc_u32 s35, s39, s35
	s_add_i32 s7, s36, s7
	s_mul_i32 s36, s51, s5
	s_add_i32 s37, s7, s36
	s_mul_i32 s36, s50, s5
	s_mul_i32 s5, s48, s27
	s_mul_hi_u32 s7, s48, s2
	s_add_i32 s5, s7, s5
	s_mul_i32 s7, s49, s2
	s_add_i32 s39, s5, s7
	s_lshl_b64 s[36:37], s[36:37], 2
	s_mul_i32 s38, s48, s2
	s_add_u32 s2, s56, s36
	s_addc_u32 s5, s57, s37
	s_lshl_b64 s[36:37], s[38:39], 2
	s_add_u32 s44, s2, s36
	s_addc_u32 s45, s5, s37
	s_cmp_lt_i32 s26, 1
	s_cselect_b64 s[46:47], -1, 0
	s_cmp_gt_i32 s29, 0
	s_cselect_b64 s[48:49], -1, 0
	s_cmp_gt_i32 s30, 0
	s_cselect_b64 s[50:51], -1, 0
	s_abs_i32 s27, s28
	v_cvt_f32_u32_e32 v1, s27
	s_abs_i32 s65, s6
	v_cvt_f32_u32_e32 v2, s65
	s_abs_i32 s67, s3
	v_rcp_iflag_f32_e32 v1, v1
	v_cmp_neq_f64_e64 s[58:59], s[40:41], 1.0
	s_load_dwordx4 s[36:39], s[0:1], 0xc0
	s_load_dword s2, s[0:1], 0xec
	v_cmp_neq_f64_e64 s[0:1], s[42:43], 0
	v_mul_f32_e32 v1, 0x4f7ffffe, v1
	v_cvt_u32_f32_e32 v1, v1
	v_cvt_f32_u32_e32 v4, s67
	s_or_b64 s[58:59], s[58:59], s[0:1]
	s_sub_i32 s0, 0, s27
	v_mul_lo_u32 v3, s0, v1
	v_rcp_iflag_f32_e32 v2, v2
	v_mul_hi_u32 v3, v1, v3
	v_add_u32_e32 v12, v1, v3
	v_rcp_iflag_f32_e32 v1, v4
	v_mul_f32_e32 v2, 0x4f7ffffe, v2
	v_cvt_u32_f32_e32 v2, v2
	s_sub_i32 s0, 0, s65
	v_mul_f32_e32 v1, 0x4f7ffffe, v1
	v_cvt_u32_f32_e32 v1, v1
	v_mul_lo_u32 v3, s0, v2
	v_mul_hi_u32 v3, v2, v3
	s_sub_i32 s0, 0, s67
	v_add_u32_e32 v13, v2, v3
	v_mul_lo_u32 v2, s0, v1
	v_mul_hi_u32 v2, v1, v2
	s_mov_b64 s[56:57], 0
	s_waitcnt lgkmcnt(0)
	s_and_b32 s64, s2, 0xffff
	s_ashr_i32 s66, s28, 31
	s_ashr_i32 s68, s3, 31
	v_add_u32_e32 v14, v1, v2
	s_lshl_b64 s[6:7], s[60:61], 2
	s_lshl_b64 s[54:55], s[54:55], 2
	;; [unrolled: 1-line block ×3, first 2 shown]
	s_sub_i32 s69, 0, s4
	s_branch .LBB53_3
.LBB53_2:                               ;   in Loop: Header=BB53_3 Depth=1
	v_add_u32_e32 v0, s64, v0
	v_cmp_le_i32_e32 vcc, s33, v0
	v_cvt_f32_f64_e32 v1, v[4:5]
	s_or_b64 s[56:57], vcc, s[56:57]
	global_store_dword v[2:3], v1, off
	s_andn2_b64 exec, exec, s[56:57]
	s_cbranch_execz .LBB53_18
.LBB53_3:                               ; =>This Loop Header: Depth=1
                                        ;     Child Loop BB53_8 Depth 2
                                        ;       Child Loop BB53_11 Depth 3
                                        ;         Child Loop BB53_14 Depth 4
	v_sub_u32_e32 v2, 0, v0
	v_max_i32_e32 v7, v0, v2
	v_mul_hi_u32 v2, v7, v12
	v_mul_lo_u32 v3, v2, s27
	v_sub_u32_e32 v3, v7, v3
	v_add_u32_e32 v5, 1, v2
	v_cmp_le_u32_e32 vcc, s27, v3
	v_ashrrev_i32_e32 v4, 31, v0
	v_xor_b32_e32 v1, s66, v4
	v_cndmask_b32_e32 v2, v2, v5, vcc
	v_subrev_u32_e32 v5, s27, v3
	v_cndmask_b32_e32 v3, v3, v5, vcc
	v_add_u32_e32 v5, 1, v2
	v_cmp_le_u32_e32 vcc, s27, v3
	s_mov_b64 s[62:63], -1
                                        ; implicit-def: $sgpr60_sgpr61
	s_nop 0
	v_cndmask_b32_e32 v2, v2, v5, vcc
	v_xor_b32_e32 v2, v2, v1
	v_sub_u32_e32 v3, v2, v1
	v_mul_lo_u32 v1, v3, s28
	v_sub_u32_e32 v2, v0, v1
	v_sub_u32_e32 v1, 0, v3
	v_max_i32_e32 v1, v3, v1
	v_mul_hi_u32 v5, v1, v13
	v_mul_lo_u32 v5, v5, s65
	v_sub_u32_e32 v1, v1, v5
	v_subrev_u32_e32 v5, s65, v1
	v_cmp_le_u32_e32 vcc, s65, v1
	s_nop 1
	v_cndmask_b32_e32 v6, v1, v5, vcc
	v_mul_hi_u32 v5, v7, v14
	v_mul_lo_u32 v1, v5, s67
	v_sub_u32_e32 v1, v7, v1
	v_subrev_u32_e32 v7, s67, v1
	v_cmp_le_u32_e64 s[2:3], s67, v1
	v_cmp_le_u32_e64 s[0:1], s65, v6
	s_andn2_b64 vcc, exec, s[46:47]
	v_cndmask_b32_e64 v1, v1, v7, s[2:3]
	v_cmp_le_u32_e64 s[4:5], s67, v1
	v_ashrrev_i32_e32 v1, 31, v2
	s_cbranch_vccnz .LBB53_5
; %bb.4:                                ;   in Loop: Header=BB53_3 Depth=1
	s_mov_b64 s[62:63], 0
	s_mov_b64 s[60:61], 0
.LBB53_5:                               ;   in Loop: Header=BB53_3 Depth=1
	v_subrev_u32_e32 v7, s65, v6
	v_ashrrev_i32_e32 v3, 31, v3
	v_cndmask_b32_e64 v6, v6, v7, s[0:1]
	v_xor_b32_e32 v6, v6, v3
	v_sub_u32_e32 v3, v6, v3
	v_add_u32_e32 v6, 1, v5
	v_cndmask_b32_e64 v5, v5, v6, s[2:3]
	v_add_u32_e32 v6, 1, v5
	v_xor_b32_e32 v4, s68, v4
	v_cndmask_b32_e64 v5, v5, v6, s[4:5]
	v_xor_b32_e32 v5, v5, v4
	v_sub_u32_e32 v15, v5, v4
	s_andn2_b64 vcc, exec, s[62:63]
	v_mov_b64_e32 v[4:5], s[60:61]
	s_cbranch_vccnz .LBB53_16
; %bb.6:                                ;   in Loop: Header=BB53_3 Depth=1
	v_mul_lo_u32 v6, s9, v2
	v_mul_lo_u32 v7, s8, v1
	v_mad_u64_u32 v[4:5], s[0:1], s8, v2, 0
	v_mul_lo_u32 v8, v3, s38
	v_add3_u32 v5, v5, v7, v6
	v_mul_lo_u32 v16, v15, s37
	v_lshl_add_u64 v[6:7], v[4:5], 2, s[10:11]
	v_add_u32_e32 v17, s69, v8
	s_mov_b32 s70, 0
	v_mov_b64_e32 v[4:5], 0
	s_mov_b64 s[2:3], s[44:45]
	s_branch .LBB53_8
.LBB53_7:                               ;   in Loop: Header=BB53_8 Depth=2
	s_add_i32 s70, s70, 1
	s_add_u32 s2, s2, s6
	s_addc_u32 s3, s3, s7
	s_cmp_eq_u32 s70, s26
	s_cbranch_scc1 .LBB53_16
.LBB53_8:                               ;   Parent Loop BB53_3 Depth=1
                                        ; =>  This Loop Header: Depth=2
                                        ;       Child Loop BB53_11 Depth 3
                                        ;         Child Loop BB53_14 Depth 4
	s_andn2_b64 vcc, exec, s[48:49]
	s_cbranch_vccnz .LBB53_7
; %bb.9:                                ;   in Loop: Header=BB53_8 Depth=2
	s_mul_i32 s0, s17, s70
	s_mul_hi_u32 s1, s16, s70
	s_add_i32 s1, s1, s0
	s_mul_i32 s0, s16, s70
	v_lshl_add_u64 v[8:9], s[0:1], 2, v[6:7]
	s_mov_b32 s71, 0
	s_mov_b64 s[4:5], s[2:3]
	s_branch .LBB53_11
.LBB53_10:                              ;   in Loop: Header=BB53_11 Depth=3
	s_add_i32 s71, s71, 1
	s_add_u32 s4, s4, s54
	s_addc_u32 s5, s5, s55
	s_cmp_eq_u32 s71, s29
	s_cbranch_scc1 .LBB53_7
.LBB53_11:                              ;   Parent Loop BB53_3 Depth=1
                                        ;     Parent Loop BB53_8 Depth=2
                                        ; =>    This Loop Header: Depth=3
                                        ;         Child Loop BB53_14 Depth 4
	s_andn2_b64 vcc, exec, s[50:51]
	s_cbranch_vccnz .LBB53_10
; %bb.12:                               ;   in Loop: Header=BB53_11 Depth=3
	s_mul_i32 s0, s71, s31
	s_sub_i32 s0, s0, s39
	v_add_u32_e32 v19, s0, v16
	v_cmp_gt_i32_e32 vcc, 0, v19
	v_cmp_le_i32_e64 s[0:1], s24, v19
	s_or_b64 s[60:61], vcc, s[0:1]
	v_mad_u64_u32 v[10:11], s[0:1], s14, v19, 0
	v_mov_b32_e32 v18, v11
	v_mad_u64_u32 v[18:19], s[0:1], s15, v19, v[18:19]
	v_mov_b32_e32 v11, v18
	v_lshl_add_u64 v[10:11], v[10:11], 2, v[8:9]
	v_mov_b32_e32 v18, v17
	s_mov_b64 s[62:63], s[4:5]
	s_mov_b32 s72, s30
	s_branch .LBB53_14
.LBB53_13:                              ;   in Loop: Header=BB53_14 Depth=4
	s_or_b64 exec, exec, s[0:1]
	s_add_i32 s72, s72, -1
	s_add_u32 s62, s62, s52
	s_addc_u32 s63, s63, s53
	s_cmp_eq_u32 s72, 0
	v_add_u32_e32 v18, s36, v18
	s_cbranch_scc1 .LBB53_10
.LBB53_14:                              ;   Parent Loop BB53_3 Depth=1
                                        ;     Parent Loop BB53_8 Depth=2
                                        ;       Parent Loop BB53_11 Depth=3
                                        ; =>      This Inner Loop Header: Depth=4
	v_cmp_gt_i32_e32 vcc, 0, v18
	v_cmp_le_i32_e64 s[0:1], s25, v18
	s_or_b64 s[0:1], vcc, s[0:1]
	s_or_b64 s[0:1], s[60:61], s[0:1]
	s_xor_b64 s[74:75], s[0:1], -1
	s_and_saveexec_b64 s[0:1], s[74:75]
	s_cbranch_execz .LBB53_13
; %bb.15:                               ;   in Loop: Header=BB53_14 Depth=4
	v_mad_u64_u32 v[20:21], s[74:75], s12, v18, 0
	v_mov_b32_e32 v22, v21
	v_mad_u64_u32 v[22:23], s[74:75], s13, v18, v[22:23]
	v_mov_b32_e32 v21, v22
	v_lshl_add_u64 v[20:21], v[20:21], 2, v[10:11]
	global_load_dword v19, v[20:21], off
	s_load_dword s73, s[62:63], 0x0
	s_waitcnt lgkmcnt(0)
	v_cvt_f64_f32_e32 v[22:23], s73
	s_waitcnt vmcnt(0)
	v_cvt_f64_f32_e32 v[20:21], v19
	v_fmac_f64_e32 v[4:5], v[20:21], v[22:23]
	s_branch .LBB53_13
.LBB53_16:                              ;   in Loop: Header=BB53_3 Depth=1
	v_ashrrev_i32_e32 v6, 31, v15
	v_mul_lo_u32 v8, s23, v15
	v_mul_lo_u32 v9, s22, v6
	v_mad_u64_u32 v[6:7], s[0:1], s22, v15, 0
	v_add3_u32 v7, v7, v9, v8
	v_ashrrev_i32_e32 v8, 31, v3
	v_mul_lo_u32 v10, s21, v3
	v_mul_lo_u32 v11, s20, v8
	v_mad_u64_u32 v[8:9], s[0:1], s20, v3, 0
	v_add3_u32 v9, v9, v11, v10
	v_mul_lo_u32 v1, v1, s18
	v_mul_lo_u32 v10, v2, s19
	v_mad_u64_u32 v[2:3], s[0:1], v2, s18, 0
	v_lshl_add_u64 v[6:7], v[6:7], 2, s[34:35]
	v_add3_u32 v3, v3, v10, v1
	v_lshl_add_u64 v[6:7], v[8:9], 2, v[6:7]
	s_andn2_b64 vcc, exec, s[58:59]
	v_lshl_add_u64 v[2:3], v[2:3], 2, v[6:7]
	s_cbranch_vccnz .LBB53_2
; %bb.17:                               ;   in Loop: Header=BB53_3 Depth=1
	global_load_dword v1, v[2:3], off
	s_waitcnt vmcnt(0)
	v_cvt_f64_f32_e32 v[6:7], v1
	v_mul_f64 v[6:7], v[6:7], s[42:43]
	v_fmac_f64_e32 v[6:7], s[40:41], v[4:5]
	v_mov_b64_e32 v[4:5], v[6:7]
	s_branch .LBB53_2
.LBB53_18:
	s_endpgm
	.section	.rodata,"a",@progbits
	.p2align	6, 0x0
	.amdhsa_kernel naive_conv_ab_nonpacked_wrw_nhwc_float_double_float_0
		.amdhsa_group_segment_fixed_size 0
		.amdhsa_private_segment_fixed_size 0
		.amdhsa_kernarg_size 480
		.amdhsa_user_sgpr_count 2
		.amdhsa_user_sgpr_dispatch_ptr 0
		.amdhsa_user_sgpr_queue_ptr 0
		.amdhsa_user_sgpr_kernarg_segment_ptr 1
		.amdhsa_user_sgpr_dispatch_id 0
		.amdhsa_user_sgpr_kernarg_preload_length 0
		.amdhsa_user_sgpr_kernarg_preload_offset 0
		.amdhsa_user_sgpr_private_segment_size 0
		.amdhsa_uses_dynamic_stack 0
		.amdhsa_enable_private_segment 0
		.amdhsa_system_sgpr_workgroup_id_x 1
		.amdhsa_system_sgpr_workgroup_id_y 0
		.amdhsa_system_sgpr_workgroup_id_z 0
		.amdhsa_system_sgpr_workgroup_info 0
		.amdhsa_system_vgpr_workitem_id 0
		.amdhsa_next_free_vgpr 24
		.amdhsa_next_free_sgpr 76
		.amdhsa_accum_offset 24
		.amdhsa_reserve_vcc 1
		.amdhsa_float_round_mode_32 0
		.amdhsa_float_round_mode_16_64 0
		.amdhsa_float_denorm_mode_32 3
		.amdhsa_float_denorm_mode_16_64 3
		.amdhsa_dx10_clamp 1
		.amdhsa_ieee_mode 1
		.amdhsa_fp16_overflow 0
		.amdhsa_tg_split 0
		.amdhsa_exception_fp_ieee_invalid_op 0
		.amdhsa_exception_fp_denorm_src 0
		.amdhsa_exception_fp_ieee_div_zero 0
		.amdhsa_exception_fp_ieee_overflow 0
		.amdhsa_exception_fp_ieee_underflow 0
		.amdhsa_exception_fp_ieee_inexact 0
		.amdhsa_exception_int_div_zero 0
	.end_amdhsa_kernel
	.text
.Lfunc_end53:
	.size	naive_conv_ab_nonpacked_wrw_nhwc_float_double_float_0, .Lfunc_end53-naive_conv_ab_nonpacked_wrw_nhwc_float_double_float_0
                                        ; -- End function
	.section	.AMDGPU.csdata,"",@progbits
; Kernel info:
; codeLenInByte = 1528
; NumSgprs: 82
; NumVgprs: 24
; NumAgprs: 0
; TotalNumVgprs: 24
; ScratchSize: 0
; MemoryBound: 0
; FloatMode: 240
; IeeeMode: 1
; LDSByteSize: 0 bytes/workgroup (compile time only)
; SGPRBlocks: 10
; VGPRBlocks: 2
; NumSGPRsForWavesPerEU: 82
; NumVGPRsForWavesPerEU: 24
; AccumOffset: 24
; Occupancy: 8
; WaveLimiterHint : 0
; COMPUTE_PGM_RSRC2:SCRATCH_EN: 0
; COMPUTE_PGM_RSRC2:USER_SGPR: 2
; COMPUTE_PGM_RSRC2:TRAP_HANDLER: 0
; COMPUTE_PGM_RSRC2:TGID_X_EN: 1
; COMPUTE_PGM_RSRC2:TGID_Y_EN: 0
; COMPUTE_PGM_RSRC2:TGID_Z_EN: 0
; COMPUTE_PGM_RSRC2:TIDIG_COMP_CNT: 0
; COMPUTE_PGM_RSRC3_GFX90A:ACCUM_OFFSET: 5
; COMPUTE_PGM_RSRC3_GFX90A:TG_SPLIT: 0
	.text
	.protected	naive_conv_ab_packed_wrw_nhwc_float_double_float_1 ; -- Begin function naive_conv_ab_packed_wrw_nhwc_float_double_float_1
	.globl	naive_conv_ab_packed_wrw_nhwc_float_double_float_1
	.p2align	8
	.type	naive_conv_ab_packed_wrw_nhwc_float_double_float_1,@function
naive_conv_ab_packed_wrw_nhwc_float_double_float_1: ; @naive_conv_ab_packed_wrw_nhwc_float_double_float_1
; %bb.0:
	s_load_dwordx16 s[8:23], s[0:1], 0xa0
	s_waitcnt lgkmcnt(0)
	s_abs_i32 s4, s11
	v_cvt_f32_u32_e32 v1, s4
	s_mul_i32 s3, s22, s12
	s_mul_i32 s33, s3, s21
	v_cmp_gt_i32_e32 vcc, s33, v0
	v_rcp_iflag_f32_e32 v1, v1
	s_nop 0
	v_mul_f32_e32 v1, 0x4f7ffffe, v1
	v_cvt_u32_f32_e32 v1, v1
	s_nop 0
	v_readfirstlane_b32 s5, v1
	s_and_saveexec_b64 s[6:7], vcc
	s_cbranch_execz .LBB54_18
; %bb.1:
	s_sub_i32 s35, 0, s4
	s_mul_i32 s35, s35, s5
	s_mul_hi_u32 s35, s5, s35
	s_abs_i32 s34, s2
	s_add_i32 s5, s5, s35
	s_ashr_i32 s6, s2, 31
	s_ashr_i32 s7, s11, 31
	s_mul_hi_u32 s5, s34, s5
	s_xor_b32 s6, s6, s7
	s_mul_i32 s7, s5, s4
	s_sub_i32 s7, s34, s7
	s_add_i32 s34, s5, 1
	s_sub_i32 s35, s7, s4
	s_cmp_ge_u32 s7, s4
	s_cselect_b32 s5, s34, s5
	s_cselect_b32 s7, s35, s7
	s_add_i32 s34, s5, 1
	s_cmp_ge_u32 s7, s4
	s_load_dwordx8 s[24:31], s[0:1], 0x0
	s_cselect_b32 s4, s34, s5
	s_xor_b32 s4, s4, s6
	s_sub_i32 s5, s4, s6
	s_mul_i32 s4, s5, s11
	s_mul_hi_i32 s7, s5, s12
	s_mul_i32 s6, s5, s12
	s_sub_i32 s34, s2, s4
	s_ashr_i32 s54, s12, 31
	s_lshl_b64 s[6:7], s[6:7], 2
	s_waitcnt lgkmcnt(0)
	s_add_u32 s6, s24, s6
	s_addc_u32 s7, s25, s7
	s_ashr_i32 s2, s22, 31
	s_ashr_i32 s35, s34, 31
	s_mul_hi_i32 s36, s21, s12
	s_mul_i32 s21, s21, s12
	s_mul_hi_i32 s5, s5, s11
	s_add_u32 s24, s4, s34
	s_mul_i32 s2, s21, s2
	s_mul_hi_u32 s37, s21, s22
	s_addc_u32 s25, s5, s35
	s_add_i32 s2, s37, s2
	s_mul_i32 s36, s36, s22
	s_mul_i32 s21, s21, s22
	s_add_i32 s2, s2, s36
	s_mul_i32 s25, s21, s25
	s_mul_hi_u32 s36, s21, s24
	s_add_i32 s25, s36, s25
	s_mul_i32 s2, s2, s24
	s_load_dwordx2 s[36:37], s[0:1], 0x20
	s_add_i32 s25, s25, s2
	s_load_dword s2, s[0:1], 0xec
	s_mul_i32 s24, s21, s24
	s_lshl_b64 s[24:25], s[24:25], 2
	s_add_u32 s24, s26, s24
	s_addc_u32 s25, s27, s25
	s_lshl_b64 s[4:5], s[4:5], 2
	s_waitcnt lgkmcnt(0)
	s_add_u32 s4, s36, s4
	s_addc_u32 s5, s37, s5
	s_lshl_b64 s[0:1], s[34:35], 2
	s_add_u32 s26, s4, s0
	s_addc_u32 s27, s5, s1
	s_cmp_lt_i32 s10, 1
	s_cselect_b64 s[34:35], -1, 0
	s_cmp_gt_i32 s13, 0
	s_cselect_b64 s[36:37], -1, 0
	s_cmp_gt_i32 s14, 0
	s_mov_b32 s55, s12
	s_mul_i32 s56, s23, s12
	s_cselect_b64 s[38:39], -1, 0
	s_abs_i32 s12, s12
	v_cvt_f32_u32_e32 v1, s12
	s_abs_i32 s60, s22
	v_cvt_f32_u32_e32 v2, s60
	s_abs_i32 s62, s3
	v_rcp_iflag_f32_e32 v1, v1
	v_cvt_f32_u32_e32 v4, s62
	s_and_b32 s61, s2, 0xffff
	s_sub_i32 s2, 0, s12
	v_mul_f32_e32 v1, 0x4f7ffffe, v1
	v_cvt_u32_f32_e32 v1, v1
	v_rcp_iflag_f32_e32 v2, v2
	s_mul_i32 s0, s23, s11
	s_ashr_i32 s21, s13, 31
	v_mul_lo_u32 v3, s2, v1
	v_mul_hi_u32 v3, v1, v3
	v_add_u32_e32 v1, v1, v3
	v_rcp_iflag_f32_e32 v3, v4
	v_mul_f32_e32 v2, 0x4f7ffffe, v2
	v_cvt_u32_f32_e32 v2, v2
	s_sub_i32 s2, 0, s60
	v_mul_f32_e32 v3, 0x4f7ffffe, v3
	v_cvt_u32_f32_e32 v3, v3
	v_mul_lo_u32 v4, s2, v2
	v_mul_hi_u32 v4, v2, v4
	s_sub_i32 s2, 0, s62
	v_cmp_neq_f64_e64 s[4:5], s[28:29], 1.0
	v_cmp_neq_f64_e64 s[42:43], s[30:31], 0
	v_add_u32_e32 v14, v2, v4
	v_mul_lo_u32 v2, s2, v3
	s_mul_i32 s2, s14, s0
	s_or_b64 s[42:43], s[4:5], s[42:43]
	s_ashr_i32 s63, s3, 31
	s_mul_i32 s3, s2, s21
	s_mul_hi_u32 s4, s2, s13
	s_add_i32 s4, s4, s3
	s_mul_hi_i32 s3, s14, s0
	s_mul_i32 s5, s3, s13
	s_ashr_i32 s1, s0, 31
	v_mul_hi_u32 v2, v3, v2
	s_add_i32 s5, s4, s5
	s_mul_i32 s4, s2, s13
	s_ashr_i32 s11, s8, 31
	s_mov_b32 s23, s8
	s_ashr_i32 s57, s9, 31
	s_mov_b32 s58, s9
	s_ashr_i32 s59, s56, 31
	s_mov_b64 s[40:41], 0
	v_add_u32_e32 v15, v3, v2
	s_lshl_b64 s[44:45], s[4:5], 2
	s_lshl_b64 s[46:47], s[2:3], 2
	;; [unrolled: 1-line block ×3, first 2 shown]
	s_sub_i32 s64, 0, s20
	v_mov_b32_e32 v3, 0
	s_branch .LBB54_3
.LBB54_2:                               ;   in Loop: Header=BB54_3 Depth=1
	v_add_u32_e32 v0, s61, v0
	v_cmp_le_i32_e32 vcc, s33, v0
	v_cvt_f32_f64_e32 v2, v[6:7]
	s_or_b64 s[40:41], vcc, s[40:41]
	global_store_dword v[4:5], v2, off
	s_andn2_b64 exec, exec, s[40:41]
	s_cbranch_execz .LBB54_18
.LBB54_3:                               ; =>This Loop Header: Depth=1
                                        ;     Child Loop BB54_8 Depth 2
                                        ;       Child Loop BB54_11 Depth 3
                                        ;         Child Loop BB54_14 Depth 4
	v_sub_u32_e32 v5, 0, v0
	v_max_i32_e32 v5, v0, v5
	v_mul_hi_u32 v6, v5, v1
	v_mul_lo_u32 v7, v6, s12
	v_sub_u32_e32 v7, v5, v7
	v_add_u32_e32 v8, 1, v6
	v_cmp_le_u32_e32 vcc, s12, v7
	v_ashrrev_i32_e32 v2, 31, v0
	v_xor_b32_e32 v4, s54, v2
	v_cndmask_b32_e32 v6, v6, v8, vcc
	v_subrev_u32_e32 v8, s12, v7
	v_cndmask_b32_e32 v7, v7, v8, vcc
	v_add_u32_e32 v8, 1, v6
	v_cmp_le_u32_e32 vcc, s12, v7
	s_mov_b64 s[50:51], -1
                                        ; implicit-def: $sgpr20_sgpr21
	s_nop 0
	v_cndmask_b32_e32 v6, v6, v8, vcc
	v_xor_b32_e32 v6, v6, v4
	v_sub_u32_e32 v6, v6, v4
	v_sub_u32_e32 v7, 0, v6
	v_max_i32_e32 v7, v6, v7
	v_mul_hi_u32 v8, v7, v14
	v_mul_lo_u32 v8, v8, s60
	v_sub_u32_e32 v7, v7, v8
	v_subrev_u32_e32 v8, s60, v7
	v_cmp_le_u32_e32 vcc, s60, v7
	v_mul_lo_u32 v4, v6, s55
	v_sub_u32_e32 v4, v0, v4
	v_cndmask_b32_e32 v8, v7, v8, vcc
	v_mul_hi_u32 v7, v5, v15
	v_mul_lo_u32 v9, v7, s62
	v_sub_u32_e32 v5, v5, v9
	v_subrev_u32_e32 v9, s62, v5
	v_cmp_le_u32_e64 s[2:3], s62, v5
	v_cmp_le_u32_e64 s[0:1], s60, v8
	s_andn2_b64 vcc, exec, s[34:35]
	v_cndmask_b32_e64 v5, v5, v9, s[2:3]
	v_cmp_le_u32_e64 s[4:5], s62, v5
	v_ashrrev_i32_e32 v5, 31, v4
	s_cbranch_vccnz .LBB54_5
; %bb.4:                                ;   in Loop: Header=BB54_3 Depth=1
	s_mov_b64 s[50:51], 0
	s_mov_b64 s[20:21], 0
.LBB54_5:                               ;   in Loop: Header=BB54_3 Depth=1
	v_subrev_u32_e32 v9, s60, v8
	v_ashrrev_i32_e32 v6, 31, v6
	v_cndmask_b32_e64 v8, v8, v9, s[0:1]
	v_xor_b32_e32 v8, v8, v6
	v_sub_u32_e32 v8, v8, v6
	v_add_u32_e32 v6, 1, v7
	v_cndmask_b32_e64 v6, v7, v6, s[2:3]
	v_add_u32_e32 v7, 1, v6
	v_xor_b32_e32 v2, s63, v2
	v_cndmask_b32_e64 v6, v6, v7, s[4:5]
	v_xor_b32_e32 v6, v6, v2
	v_sub_u32_e32 v16, v6, v2
	s_andn2_b64 vcc, exec, s[50:51]
	v_mov_b64_e32 v[6:7], s[20:21]
	s_cbranch_vccnz .LBB54_16
; %bb.6:                                ;   in Loop: Header=BB54_3 Depth=1
	v_mul_lo_u32 v2, v8, s18
	v_mul_lo_u32 v9, v16, s17
	v_lshl_add_u64 v[10:11], v[4:5], 2, s[6:7]
	v_add_u32_e32 v17, s64, v2
	s_mov_b32 s65, 0
	v_mov_b64_e32 v[6:7], 0
	s_mov_b64 s[2:3], s[26:27]
	s_branch .LBB54_8
.LBB54_7:                               ;   in Loop: Header=BB54_8 Depth=2
	s_add_i32 s65, s65, 1
	s_add_u32 s2, s2, s44
	s_addc_u32 s3, s3, s45
	s_cmp_eq_u32 s65, s10
	s_cbranch_scc1 .LBB54_16
.LBB54_8:                               ;   Parent Loop BB54_3 Depth=1
                                        ; =>  This Loop Header: Depth=2
                                        ;       Child Loop BB54_11 Depth 3
                                        ;         Child Loop BB54_14 Depth 4
	s_andn2_b64 vcc, exec, s[36:37]
	s_cbranch_vccnz .LBB54_7
; %bb.9:                                ;   in Loop: Header=BB54_8 Depth=2
	s_mul_i32 s0, s65, s11
	s_mul_hi_u32 s1, s65, s23
	s_add_i32 s5, s1, s0
	s_mul_i32 s4, s65, s23
	s_mov_b32 s66, 0
	s_mov_b64 s[20:21], s[2:3]
	s_branch .LBB54_11
.LBB54_10:                              ;   in Loop: Header=BB54_11 Depth=3
	s_add_i32 s66, s66, 1
	s_add_u32 s20, s20, s46
	s_addc_u32 s21, s21, s47
	s_cmp_eq_u32 s66, s13
	s_cbranch_scc1 .LBB54_7
.LBB54_11:                              ;   Parent Loop BB54_3 Depth=1
                                        ;     Parent Loop BB54_8 Depth=2
                                        ; =>    This Loop Header: Depth=3
                                        ;         Child Loop BB54_14 Depth 4
	s_andn2_b64 vcc, exec, s[38:39]
	s_cbranch_vccnz .LBB54_10
; %bb.12:                               ;   in Loop: Header=BB54_11 Depth=3
	s_mul_i32 s0, s66, s15
	s_sub_i32 s0, s0, s19
	v_add_u32_e32 v2, s0, v9
	v_cmp_gt_i32_e32 vcc, 0, v2
	v_cmp_le_i32_e64 s[0:1], s8, v2
	v_lshl_add_u64 v[12:13], s[4:5], 0, v[2:3]
	s_or_b64 s[50:51], vcc, s[0:1]
	v_mul_lo_u32 v2, v13, s58
	v_mul_lo_u32 v18, v12, s57
	v_mad_u64_u32 v[12:13], s[0:1], v12, s58, 0
	v_add3_u32 v13, v13, v18, v2
	v_mov_b32_e32 v2, v17
	s_mov_b64 s[52:53], s[20:21]
	s_mov_b32 s67, s14
	s_branch .LBB54_14
.LBB54_13:                              ;   in Loop: Header=BB54_14 Depth=4
	s_or_b64 exec, exec, s[0:1]
	s_add_i32 s67, s67, -1
	s_add_u32 s52, s52, s48
	s_addc_u32 s53, s53, s49
	s_cmp_eq_u32 s67, 0
	v_add_u32_e32 v2, s16, v2
	s_cbranch_scc1 .LBB54_10
.LBB54_14:                              ;   Parent Loop BB54_3 Depth=1
                                        ;     Parent Loop BB54_8 Depth=2
                                        ;       Parent Loop BB54_11 Depth=3
                                        ; =>      This Inner Loop Header: Depth=4
	v_cmp_gt_i32_e32 vcc, 0, v2
	v_cmp_le_i32_e64 s[0:1], s9, v2
	s_or_b64 s[0:1], vcc, s[0:1]
	s_or_b64 s[0:1], s[50:51], s[0:1]
	s_xor_b64 s[68:69], s[0:1], -1
	s_and_saveexec_b64 s[0:1], s[68:69]
	s_cbranch_execz .LBB54_13
; %bb.15:                               ;   in Loop: Header=BB54_14 Depth=4
	v_lshl_add_u64 v[18:19], v[12:13], 0, v[2:3]
	v_mul_lo_u32 v20, v19, s56
	v_mul_lo_u32 v21, v18, s59
	v_mad_u64_u32 v[18:19], s[68:69], v18, s56, 0
	v_add3_u32 v19, v19, v21, v20
	v_lshl_add_u64 v[18:19], v[18:19], 2, v[10:11]
	global_load_dword v18, v[18:19], off
	s_load_dword s68, s[52:53], 0x0
	s_waitcnt lgkmcnt(0)
	s_and_b32 s68, s68, 0xffffe000
	v_cvt_f64_f32_e32 v[20:21], s68
	s_waitcnt vmcnt(0)
	v_and_b32_e32 v18, 0xffffe000, v18
	v_cvt_f64_f32_e32 v[18:19], v18
	v_fmac_f64_e32 v[6:7], v[18:19], v[20:21]
	s_branch .LBB54_13
.LBB54_16:                              ;   in Loop: Header=BB54_3 Depth=1
	v_ashrrev_i32_e32 v9, 31, v8
	v_mad_i64_i32 v[8:9], s[0:1], v16, s22, v[8:9]
	v_mul_lo_u32 v2, v9, s55
	v_mul_lo_u32 v10, v8, s54
	v_mad_u64_u32 v[8:9], s[0:1], v8, s55, 0
	v_add3_u32 v9, v9, v10, v2
	v_lshl_add_u64 v[8:9], v[8:9], 2, s[24:25]
	s_andn2_b64 vcc, exec, s[42:43]
	v_lshl_add_u64 v[4:5], v[4:5], 2, v[8:9]
	s_cbranch_vccnz .LBB54_2
; %bb.17:                               ;   in Loop: Header=BB54_3 Depth=1
	global_load_dword v2, v[4:5], off
	s_waitcnt vmcnt(0)
	v_cvt_f64_f32_e32 v[8:9], v2
	v_mul_f64 v[8:9], v[8:9], s[30:31]
	v_fmac_f64_e32 v[8:9], s[28:29], v[6:7]
	v_mov_b64_e32 v[6:7], v[8:9]
	s_branch .LBB54_2
.LBB54_18:
	s_endpgm
	.section	.rodata,"a",@progbits
	.p2align	6, 0x0
	.amdhsa_kernel naive_conv_ab_packed_wrw_nhwc_float_double_float_1
		.amdhsa_group_segment_fixed_size 0
		.amdhsa_private_segment_fixed_size 0
		.amdhsa_kernarg_size 480
		.amdhsa_user_sgpr_count 2
		.amdhsa_user_sgpr_dispatch_ptr 0
		.amdhsa_user_sgpr_queue_ptr 0
		.amdhsa_user_sgpr_kernarg_segment_ptr 1
		.amdhsa_user_sgpr_dispatch_id 0
		.amdhsa_user_sgpr_kernarg_preload_length 0
		.amdhsa_user_sgpr_kernarg_preload_offset 0
		.amdhsa_user_sgpr_private_segment_size 0
		.amdhsa_uses_dynamic_stack 0
		.amdhsa_enable_private_segment 0
		.amdhsa_system_sgpr_workgroup_id_x 1
		.amdhsa_system_sgpr_workgroup_id_y 0
		.amdhsa_system_sgpr_workgroup_id_z 0
		.amdhsa_system_sgpr_workgroup_info 0
		.amdhsa_system_vgpr_workitem_id 0
		.amdhsa_next_free_vgpr 22
		.amdhsa_next_free_sgpr 70
		.amdhsa_accum_offset 24
		.amdhsa_reserve_vcc 1
		.amdhsa_float_round_mode_32 0
		.amdhsa_float_round_mode_16_64 0
		.amdhsa_float_denorm_mode_32 3
		.amdhsa_float_denorm_mode_16_64 3
		.amdhsa_dx10_clamp 1
		.amdhsa_ieee_mode 1
		.amdhsa_fp16_overflow 0
		.amdhsa_tg_split 0
		.amdhsa_exception_fp_ieee_invalid_op 0
		.amdhsa_exception_fp_denorm_src 0
		.amdhsa_exception_fp_ieee_div_zero 0
		.amdhsa_exception_fp_ieee_overflow 0
		.amdhsa_exception_fp_ieee_underflow 0
		.amdhsa_exception_fp_ieee_inexact 0
		.amdhsa_exception_int_div_zero 0
	.end_amdhsa_kernel
	.text
.Lfunc_end54:
	.size	naive_conv_ab_packed_wrw_nhwc_float_double_float_1, .Lfunc_end54-naive_conv_ab_packed_wrw_nhwc_float_double_float_1
                                        ; -- End function
	.section	.AMDGPU.csdata,"",@progbits
; Kernel info:
; codeLenInByte = 1428
; NumSgprs: 76
; NumVgprs: 22
; NumAgprs: 0
; TotalNumVgprs: 22
; ScratchSize: 0
; MemoryBound: 0
; FloatMode: 240
; IeeeMode: 1
; LDSByteSize: 0 bytes/workgroup (compile time only)
; SGPRBlocks: 9
; VGPRBlocks: 2
; NumSGPRsForWavesPerEU: 76
; NumVGPRsForWavesPerEU: 22
; AccumOffset: 24
; Occupancy: 8
; WaveLimiterHint : 0
; COMPUTE_PGM_RSRC2:SCRATCH_EN: 0
; COMPUTE_PGM_RSRC2:USER_SGPR: 2
; COMPUTE_PGM_RSRC2:TRAP_HANDLER: 0
; COMPUTE_PGM_RSRC2:TGID_X_EN: 1
; COMPUTE_PGM_RSRC2:TGID_Y_EN: 0
; COMPUTE_PGM_RSRC2:TGID_Z_EN: 0
; COMPUTE_PGM_RSRC2:TIDIG_COMP_CNT: 0
; COMPUTE_PGM_RSRC3_GFX90A:ACCUM_OFFSET: 5
; COMPUTE_PGM_RSRC3_GFX90A:TG_SPLIT: 0
	.text
	.protected	naive_conv_ab_nonpacked_wrw_nhwc_float_double_float_1 ; -- Begin function naive_conv_ab_nonpacked_wrw_nhwc_float_double_float_1
	.globl	naive_conv_ab_nonpacked_wrw_nhwc_float_double_float_1
	.p2align	8
	.type	naive_conv_ab_nonpacked_wrw_nhwc_float_double_float_1,@function
naive_conv_ab_nonpacked_wrw_nhwc_float_double_float_1: ; @naive_conv_ab_nonpacked_wrw_nhwc_float_double_float_1
; %bb.0:
	s_load_dwordx8 s[24:31], s[0:1], 0xa0
	s_load_dwordx4 s[4:7], s[0:1], 0xd0
	s_waitcnt lgkmcnt(0)
	s_abs_i32 s34, s27
	v_cvt_f32_u32_e32 v1, s34
	s_mul_i32 s3, s6, s28
	s_mul_i32 s33, s3, s5
	v_cmp_gt_i32_e32 vcc, s33, v0
	v_rcp_iflag_f32_e32 v1, v1
	s_nop 0
	v_mul_f32_e32 v1, 0x4f7ffffe, v1
	v_cvt_u32_f32_e32 v1, v1
	s_nop 0
	v_readfirstlane_b32 s5, v1
	s_and_saveexec_b64 s[8:9], vcc
	s_cbranch_execz .LBB55_18
; %bb.1:
	s_sub_i32 s8, 0, s34
	s_mul_i32 s8, s8, s5
	s_mul_hi_u32 s8, s5, s8
	s_abs_i32 s58, s2
	s_add_i32 s5, s5, s8
	s_ashr_i32 s7, s2, 31
	s_ashr_i32 s35, s27, 31
	s_mul_hi_u32 s5, s58, s5
	s_xor_b32 s7, s7, s35
	s_mul_i32 s35, s5, s34
	s_sub_i32 s35, s58, s35
	s_add_i32 s58, s5, 1
	s_sub_i32 s59, s35, s34
	s_cmp_ge_u32 s35, s34
	s_cselect_b32 s5, s58, s5
	s_cselect_b32 s35, s59, s35
	s_add_i32 s58, s5, 1
	s_cmp_ge_u32 s35, s34
	s_cselect_b32 s5, s58, s5
	s_xor_b32 s5, s5, s7
	s_sub_i32 s5, s5, s7
	s_load_dwordx8 s[36:43], s[0:1], 0x0
	s_load_dwordx2 s[56:57], s[0:1], 0x20
	s_load_dwordx16 s[8:23], s[0:1], 0x28
	s_load_dwordx2 s[60:61], s[0:1], 0x98
	s_load_dwordx4 s[52:55], s[0:1], 0x88
	s_load_dwordx8 s[44:51], s[0:1], 0x68
	s_mul_i32 s7, s5, s27
	s_sub_i32 s2, s2, s7
	s_ashr_i32 s7, s5, 31
	s_waitcnt lgkmcnt(0)
	s_mul_i32 s27, s10, s7
	s_mul_hi_u32 s34, s10, s5
	s_add_i32 s27, s34, s27
	s_mul_i32 s11, s11, s5
	s_add_i32 s11, s27, s11
	s_mul_i32 s10, s10, s5
	s_lshl_b64 s[10:11], s[10:11], 2
	s_add_u32 s10, s36, s10
	s_mul_i32 s27, s46, s7
	s_mul_hi_u32 s34, s46, s5
	s_addc_u32 s11, s37, s11
	s_add_i32 s27, s34, s27
	s_mul_i32 s34, s47, s5
	s_add_i32 s35, s27, s34
	s_ashr_i32 s27, s2, 31
	s_mul_i32 s36, s44, s27
	s_mul_hi_u32 s37, s44, s2
	s_mul_i32 s34, s46, s5
	s_add_i32 s36, s37, s36
	s_mul_i32 s37, s45, s2
	s_add_i32 s37, s36, s37
	s_lshl_b64 s[34:35], s[34:35], 2
	s_mul_i32 s36, s44, s2
	s_add_u32 s38, s38, s34
	s_addc_u32 s39, s39, s35
	s_lshl_b64 s[34:35], s[36:37], 2
	s_add_u32 s34, s38, s34
	s_mul_i32 s7, s50, s7
	s_mul_hi_u32 s36, s50, s5
	s_addc_u32 s35, s39, s35
	s_add_i32 s7, s36, s7
	s_mul_i32 s36, s51, s5
	s_add_i32 s37, s7, s36
	s_mul_i32 s36, s50, s5
	s_mul_i32 s5, s48, s27
	s_mul_hi_u32 s7, s48, s2
	s_add_i32 s5, s7, s5
	s_mul_i32 s7, s49, s2
	s_add_i32 s39, s5, s7
	s_lshl_b64 s[36:37], s[36:37], 2
	s_mul_i32 s38, s48, s2
	s_add_u32 s2, s56, s36
	s_addc_u32 s5, s57, s37
	s_lshl_b64 s[36:37], s[38:39], 2
	s_add_u32 s44, s2, s36
	s_addc_u32 s45, s5, s37
	s_cmp_lt_i32 s26, 1
	s_cselect_b64 s[46:47], -1, 0
	s_cmp_gt_i32 s29, 0
	s_cselect_b64 s[48:49], -1, 0
	s_cmp_gt_i32 s30, 0
	s_cselect_b64 s[50:51], -1, 0
	s_abs_i32 s27, s28
	v_cvt_f32_u32_e32 v1, s27
	s_abs_i32 s65, s6
	v_cvt_f32_u32_e32 v2, s65
	s_abs_i32 s67, s3
	v_rcp_iflag_f32_e32 v1, v1
	v_cmp_neq_f64_e64 s[58:59], s[40:41], 1.0
	s_load_dwordx4 s[36:39], s[0:1], 0xc0
	s_load_dword s2, s[0:1], 0xec
	v_cmp_neq_f64_e64 s[0:1], s[42:43], 0
	v_mul_f32_e32 v1, 0x4f7ffffe, v1
	v_cvt_u32_f32_e32 v1, v1
	v_cvt_f32_u32_e32 v4, s67
	s_or_b64 s[58:59], s[58:59], s[0:1]
	s_sub_i32 s0, 0, s27
	v_mul_lo_u32 v3, s0, v1
	v_rcp_iflag_f32_e32 v2, v2
	v_mul_hi_u32 v3, v1, v3
	v_add_u32_e32 v12, v1, v3
	v_rcp_iflag_f32_e32 v1, v4
	v_mul_f32_e32 v2, 0x4f7ffffe, v2
	v_cvt_u32_f32_e32 v2, v2
	s_sub_i32 s0, 0, s65
	v_mul_f32_e32 v1, 0x4f7ffffe, v1
	v_cvt_u32_f32_e32 v1, v1
	v_mul_lo_u32 v3, s0, v2
	v_mul_hi_u32 v3, v2, v3
	s_sub_i32 s0, 0, s67
	v_add_u32_e32 v13, v2, v3
	v_mul_lo_u32 v2, s0, v1
	v_mul_hi_u32 v2, v1, v2
	s_mov_b64 s[56:57], 0
	s_waitcnt lgkmcnt(0)
	s_and_b32 s64, s2, 0xffff
	s_ashr_i32 s66, s28, 31
	s_ashr_i32 s68, s3, 31
	v_add_u32_e32 v14, v1, v2
	s_lshl_b64 s[6:7], s[60:61], 2
	s_lshl_b64 s[54:55], s[54:55], 2
	;; [unrolled: 1-line block ×3, first 2 shown]
	s_sub_i32 s69, 0, s4
	s_branch .LBB55_3
.LBB55_2:                               ;   in Loop: Header=BB55_3 Depth=1
	v_add_u32_e32 v0, s64, v0
	v_cmp_le_i32_e32 vcc, s33, v0
	v_cvt_f32_f64_e32 v1, v[4:5]
	s_or_b64 s[56:57], vcc, s[56:57]
	global_store_dword v[2:3], v1, off
	s_andn2_b64 exec, exec, s[56:57]
	s_cbranch_execz .LBB55_18
.LBB55_3:                               ; =>This Loop Header: Depth=1
                                        ;     Child Loop BB55_8 Depth 2
                                        ;       Child Loop BB55_11 Depth 3
                                        ;         Child Loop BB55_14 Depth 4
	v_sub_u32_e32 v2, 0, v0
	v_max_i32_e32 v7, v0, v2
	v_mul_hi_u32 v2, v7, v12
	v_mul_lo_u32 v3, v2, s27
	v_sub_u32_e32 v3, v7, v3
	v_add_u32_e32 v5, 1, v2
	v_cmp_le_u32_e32 vcc, s27, v3
	v_ashrrev_i32_e32 v4, 31, v0
	v_xor_b32_e32 v1, s66, v4
	v_cndmask_b32_e32 v2, v2, v5, vcc
	v_subrev_u32_e32 v5, s27, v3
	v_cndmask_b32_e32 v3, v3, v5, vcc
	v_add_u32_e32 v5, 1, v2
	v_cmp_le_u32_e32 vcc, s27, v3
	s_mov_b64 s[62:63], -1
                                        ; implicit-def: $sgpr60_sgpr61
	s_nop 0
	v_cndmask_b32_e32 v2, v2, v5, vcc
	v_xor_b32_e32 v2, v2, v1
	v_sub_u32_e32 v3, v2, v1
	v_mul_lo_u32 v1, v3, s28
	v_sub_u32_e32 v2, v0, v1
	v_sub_u32_e32 v1, 0, v3
	v_max_i32_e32 v1, v3, v1
	v_mul_hi_u32 v5, v1, v13
	v_mul_lo_u32 v5, v5, s65
	v_sub_u32_e32 v1, v1, v5
	v_subrev_u32_e32 v5, s65, v1
	v_cmp_le_u32_e32 vcc, s65, v1
	s_nop 1
	v_cndmask_b32_e32 v6, v1, v5, vcc
	v_mul_hi_u32 v5, v7, v14
	v_mul_lo_u32 v1, v5, s67
	v_sub_u32_e32 v1, v7, v1
	v_subrev_u32_e32 v7, s67, v1
	v_cmp_le_u32_e64 s[2:3], s67, v1
	v_cmp_le_u32_e64 s[0:1], s65, v6
	s_andn2_b64 vcc, exec, s[46:47]
	v_cndmask_b32_e64 v1, v1, v7, s[2:3]
	v_cmp_le_u32_e64 s[4:5], s67, v1
	v_ashrrev_i32_e32 v1, 31, v2
	s_cbranch_vccnz .LBB55_5
; %bb.4:                                ;   in Loop: Header=BB55_3 Depth=1
	s_mov_b64 s[62:63], 0
	s_mov_b64 s[60:61], 0
.LBB55_5:                               ;   in Loop: Header=BB55_3 Depth=1
	v_subrev_u32_e32 v7, s65, v6
	v_ashrrev_i32_e32 v3, 31, v3
	v_cndmask_b32_e64 v6, v6, v7, s[0:1]
	v_xor_b32_e32 v6, v6, v3
	v_sub_u32_e32 v3, v6, v3
	v_add_u32_e32 v6, 1, v5
	v_cndmask_b32_e64 v5, v5, v6, s[2:3]
	v_add_u32_e32 v6, 1, v5
	v_xor_b32_e32 v4, s68, v4
	v_cndmask_b32_e64 v5, v5, v6, s[4:5]
	v_xor_b32_e32 v5, v5, v4
	v_sub_u32_e32 v15, v5, v4
	s_andn2_b64 vcc, exec, s[62:63]
	v_mov_b64_e32 v[4:5], s[60:61]
	s_cbranch_vccnz .LBB55_16
; %bb.6:                                ;   in Loop: Header=BB55_3 Depth=1
	v_mul_lo_u32 v6, s9, v2
	v_mul_lo_u32 v7, s8, v1
	v_mad_u64_u32 v[4:5], s[0:1], s8, v2, 0
	v_mul_lo_u32 v8, v3, s38
	v_add3_u32 v5, v5, v7, v6
	v_mul_lo_u32 v16, v15, s37
	v_lshl_add_u64 v[6:7], v[4:5], 2, s[10:11]
	v_add_u32_e32 v17, s69, v8
	s_mov_b32 s70, 0
	v_mov_b64_e32 v[4:5], 0
	s_mov_b64 s[2:3], s[44:45]
	s_branch .LBB55_8
.LBB55_7:                               ;   in Loop: Header=BB55_8 Depth=2
	s_add_i32 s70, s70, 1
	s_add_u32 s2, s2, s6
	s_addc_u32 s3, s3, s7
	s_cmp_eq_u32 s70, s26
	s_cbranch_scc1 .LBB55_16
.LBB55_8:                               ;   Parent Loop BB55_3 Depth=1
                                        ; =>  This Loop Header: Depth=2
                                        ;       Child Loop BB55_11 Depth 3
                                        ;         Child Loop BB55_14 Depth 4
	s_andn2_b64 vcc, exec, s[48:49]
	s_cbranch_vccnz .LBB55_7
; %bb.9:                                ;   in Loop: Header=BB55_8 Depth=2
	s_mul_i32 s0, s17, s70
	s_mul_hi_u32 s1, s16, s70
	s_add_i32 s1, s1, s0
	s_mul_i32 s0, s16, s70
	v_lshl_add_u64 v[8:9], s[0:1], 2, v[6:7]
	s_mov_b32 s71, 0
	s_mov_b64 s[4:5], s[2:3]
	s_branch .LBB55_11
.LBB55_10:                              ;   in Loop: Header=BB55_11 Depth=3
	s_add_i32 s71, s71, 1
	s_add_u32 s4, s4, s54
	s_addc_u32 s5, s5, s55
	s_cmp_eq_u32 s71, s29
	s_cbranch_scc1 .LBB55_7
.LBB55_11:                              ;   Parent Loop BB55_3 Depth=1
                                        ;     Parent Loop BB55_8 Depth=2
                                        ; =>    This Loop Header: Depth=3
                                        ;         Child Loop BB55_14 Depth 4
	s_andn2_b64 vcc, exec, s[50:51]
	s_cbranch_vccnz .LBB55_10
; %bb.12:                               ;   in Loop: Header=BB55_11 Depth=3
	s_mul_i32 s0, s71, s31
	s_sub_i32 s0, s0, s39
	v_add_u32_e32 v19, s0, v16
	v_cmp_gt_i32_e32 vcc, 0, v19
	v_cmp_le_i32_e64 s[0:1], s24, v19
	s_or_b64 s[60:61], vcc, s[0:1]
	v_mad_u64_u32 v[10:11], s[0:1], s14, v19, 0
	v_mov_b32_e32 v18, v11
	v_mad_u64_u32 v[18:19], s[0:1], s15, v19, v[18:19]
	v_mov_b32_e32 v11, v18
	v_lshl_add_u64 v[10:11], v[10:11], 2, v[8:9]
	v_mov_b32_e32 v18, v17
	s_mov_b64 s[62:63], s[4:5]
	s_mov_b32 s72, s30
	s_branch .LBB55_14
.LBB55_13:                              ;   in Loop: Header=BB55_14 Depth=4
	s_or_b64 exec, exec, s[0:1]
	s_add_i32 s72, s72, -1
	s_add_u32 s62, s62, s52
	s_addc_u32 s63, s63, s53
	s_cmp_eq_u32 s72, 0
	v_add_u32_e32 v18, s36, v18
	s_cbranch_scc1 .LBB55_10
.LBB55_14:                              ;   Parent Loop BB55_3 Depth=1
                                        ;     Parent Loop BB55_8 Depth=2
                                        ;       Parent Loop BB55_11 Depth=3
                                        ; =>      This Inner Loop Header: Depth=4
	v_cmp_gt_i32_e32 vcc, 0, v18
	v_cmp_le_i32_e64 s[0:1], s25, v18
	s_or_b64 s[0:1], vcc, s[0:1]
	s_or_b64 s[0:1], s[60:61], s[0:1]
	s_xor_b64 s[74:75], s[0:1], -1
	s_and_saveexec_b64 s[0:1], s[74:75]
	s_cbranch_execz .LBB55_13
; %bb.15:                               ;   in Loop: Header=BB55_14 Depth=4
	v_mad_u64_u32 v[20:21], s[74:75], s12, v18, 0
	v_mov_b32_e32 v22, v21
	v_mad_u64_u32 v[22:23], s[74:75], s13, v18, v[22:23]
	v_mov_b32_e32 v21, v22
	v_lshl_add_u64 v[20:21], v[20:21], 2, v[10:11]
	global_load_dword v19, v[20:21], off
	s_load_dword s73, s[62:63], 0x0
	s_waitcnt lgkmcnt(0)
	s_and_b32 s73, s73, 0xffffe000
	v_cvt_f64_f32_e32 v[22:23], s73
	s_waitcnt vmcnt(0)
	v_and_b32_e32 v19, 0xffffe000, v19
	v_cvt_f64_f32_e32 v[20:21], v19
	v_fmac_f64_e32 v[4:5], v[20:21], v[22:23]
	s_branch .LBB55_13
.LBB55_16:                              ;   in Loop: Header=BB55_3 Depth=1
	v_ashrrev_i32_e32 v6, 31, v15
	v_mul_lo_u32 v8, s23, v15
	v_mul_lo_u32 v9, s22, v6
	v_mad_u64_u32 v[6:7], s[0:1], s22, v15, 0
	v_add3_u32 v7, v7, v9, v8
	v_ashrrev_i32_e32 v8, 31, v3
	v_mul_lo_u32 v10, s21, v3
	v_mul_lo_u32 v11, s20, v8
	v_mad_u64_u32 v[8:9], s[0:1], s20, v3, 0
	v_add3_u32 v9, v9, v11, v10
	v_mul_lo_u32 v1, v1, s18
	v_mul_lo_u32 v10, v2, s19
	v_mad_u64_u32 v[2:3], s[0:1], v2, s18, 0
	v_lshl_add_u64 v[6:7], v[6:7], 2, s[34:35]
	v_add3_u32 v3, v3, v10, v1
	v_lshl_add_u64 v[6:7], v[8:9], 2, v[6:7]
	s_andn2_b64 vcc, exec, s[58:59]
	v_lshl_add_u64 v[2:3], v[2:3], 2, v[6:7]
	s_cbranch_vccnz .LBB55_2
; %bb.17:                               ;   in Loop: Header=BB55_3 Depth=1
	global_load_dword v1, v[2:3], off
	s_waitcnt vmcnt(0)
	v_cvt_f64_f32_e32 v[6:7], v1
	v_mul_f64 v[6:7], v[6:7], s[42:43]
	v_fmac_f64_e32 v[6:7], s[40:41], v[4:5]
	v_mov_b64_e32 v[4:5], v[6:7]
	s_branch .LBB55_2
.LBB55_18:
	s_endpgm
	.section	.rodata,"a",@progbits
	.p2align	6, 0x0
	.amdhsa_kernel naive_conv_ab_nonpacked_wrw_nhwc_float_double_float_1
		.amdhsa_group_segment_fixed_size 0
		.amdhsa_private_segment_fixed_size 0
		.amdhsa_kernarg_size 480
		.amdhsa_user_sgpr_count 2
		.amdhsa_user_sgpr_dispatch_ptr 0
		.amdhsa_user_sgpr_queue_ptr 0
		.amdhsa_user_sgpr_kernarg_segment_ptr 1
		.amdhsa_user_sgpr_dispatch_id 0
		.amdhsa_user_sgpr_kernarg_preload_length 0
		.amdhsa_user_sgpr_kernarg_preload_offset 0
		.amdhsa_user_sgpr_private_segment_size 0
		.amdhsa_uses_dynamic_stack 0
		.amdhsa_enable_private_segment 0
		.amdhsa_system_sgpr_workgroup_id_x 1
		.amdhsa_system_sgpr_workgroup_id_y 0
		.amdhsa_system_sgpr_workgroup_id_z 0
		.amdhsa_system_sgpr_workgroup_info 0
		.amdhsa_system_vgpr_workitem_id 0
		.amdhsa_next_free_vgpr 24
		.amdhsa_next_free_sgpr 76
		.amdhsa_accum_offset 24
		.amdhsa_reserve_vcc 1
		.amdhsa_float_round_mode_32 0
		.amdhsa_float_round_mode_16_64 0
		.amdhsa_float_denorm_mode_32 3
		.amdhsa_float_denorm_mode_16_64 3
		.amdhsa_dx10_clamp 1
		.amdhsa_ieee_mode 1
		.amdhsa_fp16_overflow 0
		.amdhsa_tg_split 0
		.amdhsa_exception_fp_ieee_invalid_op 0
		.amdhsa_exception_fp_denorm_src 0
		.amdhsa_exception_fp_ieee_div_zero 0
		.amdhsa_exception_fp_ieee_overflow 0
		.amdhsa_exception_fp_ieee_underflow 0
		.amdhsa_exception_fp_ieee_inexact 0
		.amdhsa_exception_int_div_zero 0
	.end_amdhsa_kernel
	.text
.Lfunc_end55:
	.size	naive_conv_ab_nonpacked_wrw_nhwc_float_double_float_1, .Lfunc_end55-naive_conv_ab_nonpacked_wrw_nhwc_float_double_float_1
                                        ; -- End function
	.section	.AMDGPU.csdata,"",@progbits
; Kernel info:
; codeLenInByte = 1544
; NumSgprs: 82
; NumVgprs: 24
; NumAgprs: 0
; TotalNumVgprs: 24
; ScratchSize: 0
; MemoryBound: 0
; FloatMode: 240
; IeeeMode: 1
; LDSByteSize: 0 bytes/workgroup (compile time only)
; SGPRBlocks: 10
; VGPRBlocks: 2
; NumSGPRsForWavesPerEU: 82
; NumVGPRsForWavesPerEU: 24
; AccumOffset: 24
; Occupancy: 8
; WaveLimiterHint : 0
; COMPUTE_PGM_RSRC2:SCRATCH_EN: 0
; COMPUTE_PGM_RSRC2:USER_SGPR: 2
; COMPUTE_PGM_RSRC2:TRAP_HANDLER: 0
; COMPUTE_PGM_RSRC2:TGID_X_EN: 1
; COMPUTE_PGM_RSRC2:TGID_Y_EN: 0
; COMPUTE_PGM_RSRC2:TGID_Z_EN: 0
; COMPUTE_PGM_RSRC2:TIDIG_COMP_CNT: 0
; COMPUTE_PGM_RSRC3_GFX90A:ACCUM_OFFSET: 5
; COMPUTE_PGM_RSRC3_GFX90A:TG_SPLIT: 0
	.text
	.protected	naive_conv_ab_packed_wrw_nhwc_half_double_half_0 ; -- Begin function naive_conv_ab_packed_wrw_nhwc_half_double_half_0
	.globl	naive_conv_ab_packed_wrw_nhwc_half_double_half_0
	.p2align	8
	.type	naive_conv_ab_packed_wrw_nhwc_half_double_half_0,@function
naive_conv_ab_packed_wrw_nhwc_half_double_half_0: ; @naive_conv_ab_packed_wrw_nhwc_half_double_half_0
; %bb.0:
	s_load_dwordx16 s[8:23], s[0:1], 0xa0
	s_waitcnt lgkmcnt(0)
	s_abs_i32 s4, s11
	v_cvt_f32_u32_e32 v1, s4
	s_mul_i32 s3, s22, s12
	s_mul_i32 s33, s3, s21
	v_cmp_gt_i32_e32 vcc, s33, v0
	v_rcp_iflag_f32_e32 v1, v1
	s_nop 0
	v_mul_f32_e32 v1, 0x4f7ffffe, v1
	v_cvt_u32_f32_e32 v1, v1
	s_nop 0
	v_readfirstlane_b32 s5, v1
	s_and_saveexec_b64 s[6:7], vcc
	s_cbranch_execz .LBB56_20
; %bb.1:
	s_sub_i32 s35, 0, s4
	s_mul_i32 s35, s35, s5
	s_mul_hi_u32 s35, s5, s35
	s_abs_i32 s34, s2
	s_add_i32 s5, s5, s35
	s_ashr_i32 s6, s2, 31
	s_ashr_i32 s7, s11, 31
	s_mul_hi_u32 s5, s34, s5
	s_xor_b32 s6, s6, s7
	s_mul_i32 s7, s5, s4
	s_sub_i32 s7, s34, s7
	s_add_i32 s34, s5, 1
	s_sub_i32 s35, s7, s4
	s_cmp_ge_u32 s7, s4
	s_cselect_b32 s5, s34, s5
	s_cselect_b32 s7, s35, s7
	s_add_i32 s34, s5, 1
	s_cmp_ge_u32 s7, s4
	s_load_dwordx8 s[24:31], s[0:1], 0x0
	s_cselect_b32 s4, s34, s5
	s_xor_b32 s4, s4, s6
	s_sub_i32 s5, s4, s6
	s_mul_i32 s4, s5, s11
	s_mul_hi_i32 s7, s5, s12
	s_mul_i32 s6, s5, s12
	s_sub_i32 s34, s2, s4
	s_ashr_i32 s54, s12, 31
	s_lshl_b64 s[6:7], s[6:7], 1
	s_waitcnt lgkmcnt(0)
	s_add_u32 s6, s24, s6
	s_addc_u32 s7, s25, s7
	s_ashr_i32 s2, s22, 31
	s_ashr_i32 s35, s34, 31
	s_mul_hi_i32 s36, s21, s12
	s_mul_i32 s21, s21, s12
	s_mul_hi_i32 s5, s5, s11
	s_add_u32 s24, s4, s34
	s_mul_i32 s2, s21, s2
	s_mul_hi_u32 s37, s21, s22
	s_addc_u32 s25, s5, s35
	s_add_i32 s2, s37, s2
	s_mul_i32 s36, s36, s22
	s_mul_i32 s21, s21, s22
	s_add_i32 s2, s2, s36
	s_mul_i32 s25, s21, s25
	s_mul_hi_u32 s36, s21, s24
	s_add_i32 s25, s36, s25
	s_mul_i32 s2, s2, s24
	s_load_dwordx2 s[36:37], s[0:1], 0x20
	s_add_i32 s25, s25, s2
	s_load_dword s2, s[0:1], 0xec
	s_mul_i32 s24, s21, s24
	s_lshl_b64 s[24:25], s[24:25], 1
	s_add_u32 s24, s26, s24
	s_addc_u32 s25, s27, s25
	s_lshl_b64 s[4:5], s[4:5], 1
	s_waitcnt lgkmcnt(0)
	s_add_u32 s4, s36, s4
	s_addc_u32 s5, s37, s5
	s_lshl_b64 s[0:1], s[34:35], 1
	s_add_u32 s26, s4, s0
	s_addc_u32 s27, s5, s1
	s_cmp_lt_i32 s10, 1
	s_cselect_b64 s[34:35], -1, 0
	s_cmp_gt_i32 s13, 0
	s_cselect_b64 s[36:37], -1, 0
	s_cmp_gt_i32 s14, 0
	s_mov_b32 s55, s12
	s_mul_i32 s56, s23, s12
	s_cselect_b64 s[38:39], -1, 0
	s_abs_i32 s12, s12
	v_cvt_f32_u32_e32 v1, s12
	s_abs_i32 s60, s22
	v_cvt_f32_u32_e32 v2, s60
	s_abs_i32 s62, s3
	v_rcp_iflag_f32_e32 v1, v1
	v_cvt_f32_u32_e32 v4, s62
	s_and_b32 s61, s2, 0xffff
	s_sub_i32 s2, 0, s12
	v_mul_f32_e32 v1, 0x4f7ffffe, v1
	v_cvt_u32_f32_e32 v1, v1
	v_rcp_iflag_f32_e32 v2, v2
	s_mul_i32 s0, s23, s11
	s_ashr_i32 s21, s13, 31
	v_mul_lo_u32 v3, s2, v1
	v_mul_hi_u32 v3, v1, v3
	v_add_u32_e32 v1, v1, v3
	v_rcp_iflag_f32_e32 v3, v4
	v_mul_f32_e32 v2, 0x4f7ffffe, v2
	v_cvt_u32_f32_e32 v2, v2
	s_sub_i32 s2, 0, s60
	v_mul_f32_e32 v3, 0x4f7ffffe, v3
	v_cvt_u32_f32_e32 v3, v3
	v_mul_lo_u32 v4, s2, v2
	v_mul_hi_u32 v4, v2, v4
	s_sub_i32 s2, 0, s62
	v_cmp_neq_f64_e64 s[4:5], s[28:29], 1.0
	v_cmp_neq_f64_e64 s[42:43], s[30:31], 0
	v_add_u32_e32 v14, v2, v4
	v_mul_lo_u32 v2, s2, v3
	s_mul_i32 s2, s14, s0
	s_or_b64 s[42:43], s[4:5], s[42:43]
	s_ashr_i32 s63, s3, 31
	s_mul_i32 s3, s2, s21
	s_mul_hi_u32 s4, s2, s13
	s_add_i32 s4, s4, s3
	s_mul_hi_i32 s3, s14, s0
	s_mul_i32 s5, s3, s13
	s_ashr_i32 s1, s0, 31
	v_mul_hi_u32 v2, v3, v2
	s_add_i32 s5, s4, s5
	s_mul_i32 s4, s2, s13
	s_ashr_i32 s11, s8, 31
	s_mov_b32 s23, s8
	s_ashr_i32 s57, s9, 31
	s_mov_b32 s58, s9
	s_ashr_i32 s59, s56, 31
	s_mov_b64 s[40:41], 0
	v_add_u32_e32 v15, v3, v2
	s_lshl_b64 s[44:45], s[4:5], 1
	s_lshl_b64 s[46:47], s[2:3], 1
	;; [unrolled: 1-line block ×3, first 2 shown]
	s_sub_i32 s64, 0, s20
	v_mov_b32_e32 v3, 0
	s_branch .LBB56_3
.LBB56_2:                               ;   in Loop: Header=BB56_3 Depth=1
	v_add_u32_e32 v0, s61, v0
	v_cmp_le_i32_e32 vcc, s33, v0
	s_or_b64 s[40:41], vcc, s[40:41]
	s_andn2_b64 exec, exec, s[40:41]
	s_cbranch_execz .LBB56_20
.LBB56_3:                               ; =>This Loop Header: Depth=1
                                        ;     Child Loop BB56_8 Depth 2
                                        ;       Child Loop BB56_11 Depth 3
                                        ;         Child Loop BB56_14 Depth 4
	v_sub_u32_e32 v5, 0, v0
	v_max_i32_e32 v5, v0, v5
	v_mul_hi_u32 v6, v5, v1
	v_mul_lo_u32 v7, v6, s12
	v_sub_u32_e32 v7, v5, v7
	v_add_u32_e32 v8, 1, v6
	v_cmp_le_u32_e32 vcc, s12, v7
	v_ashrrev_i32_e32 v2, 31, v0
	v_xor_b32_e32 v4, s54, v2
	v_cndmask_b32_e32 v6, v6, v8, vcc
	v_subrev_u32_e32 v8, s12, v7
	v_cndmask_b32_e32 v7, v7, v8, vcc
	v_add_u32_e32 v8, 1, v6
	v_cmp_le_u32_e32 vcc, s12, v7
	s_mov_b64 s[50:51], -1
                                        ; implicit-def: $sgpr20_sgpr21
	s_nop 0
	v_cndmask_b32_e32 v6, v6, v8, vcc
	v_xor_b32_e32 v6, v6, v4
	v_sub_u32_e32 v6, v6, v4
	v_sub_u32_e32 v7, 0, v6
	v_max_i32_e32 v7, v6, v7
	v_mul_hi_u32 v8, v7, v14
	v_mul_lo_u32 v8, v8, s60
	v_sub_u32_e32 v7, v7, v8
	v_subrev_u32_e32 v8, s60, v7
	v_cmp_le_u32_e32 vcc, s60, v7
	v_mul_lo_u32 v4, v6, s55
	v_sub_u32_e32 v4, v0, v4
	v_cndmask_b32_e32 v8, v7, v8, vcc
	v_mul_hi_u32 v7, v5, v15
	v_mul_lo_u32 v9, v7, s62
	v_sub_u32_e32 v5, v5, v9
	v_subrev_u32_e32 v9, s62, v5
	v_cmp_le_u32_e64 s[2:3], s62, v5
	v_cmp_le_u32_e64 s[0:1], s60, v8
	s_andn2_b64 vcc, exec, s[34:35]
	v_cndmask_b32_e64 v5, v5, v9, s[2:3]
	v_cmp_le_u32_e64 s[4:5], s62, v5
	v_ashrrev_i32_e32 v5, 31, v4
	s_cbranch_vccnz .LBB56_5
; %bb.4:                                ;   in Loop: Header=BB56_3 Depth=1
	s_mov_b64 s[50:51], 0
	s_mov_b64 s[20:21], 0
.LBB56_5:                               ;   in Loop: Header=BB56_3 Depth=1
	v_subrev_u32_e32 v9, s60, v8
	v_ashrrev_i32_e32 v6, 31, v6
	v_cndmask_b32_e64 v8, v8, v9, s[0:1]
	v_xor_b32_e32 v8, v8, v6
	v_sub_u32_e32 v8, v8, v6
	v_add_u32_e32 v6, 1, v7
	v_cndmask_b32_e64 v6, v7, v6, s[2:3]
	v_add_u32_e32 v7, 1, v6
	v_xor_b32_e32 v2, s63, v2
	v_cndmask_b32_e64 v6, v6, v7, s[4:5]
	v_xor_b32_e32 v6, v6, v2
	v_sub_u32_e32 v16, v6, v2
	s_andn2_b64 vcc, exec, s[50:51]
	v_mov_b64_e32 v[6:7], s[20:21]
	s_cbranch_vccnz .LBB56_16
; %bb.6:                                ;   in Loop: Header=BB56_3 Depth=1
	v_mul_lo_u32 v2, v8, s18
	v_mul_lo_u32 v9, v16, s17
	v_lshl_add_u64 v[10:11], v[4:5], 1, s[6:7]
	v_add_u32_e32 v17, s64, v2
	s_mov_b32 s65, 0
	v_mov_b64_e32 v[6:7], 0
	s_mov_b64 s[2:3], s[26:27]
	s_branch .LBB56_8
.LBB56_7:                               ;   in Loop: Header=BB56_8 Depth=2
	s_add_i32 s65, s65, 1
	s_add_u32 s2, s2, s44
	s_addc_u32 s3, s3, s45
	s_cmp_eq_u32 s65, s10
	s_cbranch_scc1 .LBB56_16
.LBB56_8:                               ;   Parent Loop BB56_3 Depth=1
                                        ; =>  This Loop Header: Depth=2
                                        ;       Child Loop BB56_11 Depth 3
                                        ;         Child Loop BB56_14 Depth 4
	s_andn2_b64 vcc, exec, s[36:37]
	s_cbranch_vccnz .LBB56_7
; %bb.9:                                ;   in Loop: Header=BB56_8 Depth=2
	s_mul_i32 s0, s65, s11
	s_mul_hi_u32 s1, s65, s23
	s_add_i32 s5, s1, s0
	s_mul_i32 s4, s65, s23
	s_mov_b32 s66, 0
	s_mov_b64 s[20:21], s[2:3]
	s_branch .LBB56_11
.LBB56_10:                              ;   in Loop: Header=BB56_11 Depth=3
	s_add_i32 s66, s66, 1
	s_add_u32 s20, s20, s46
	s_addc_u32 s21, s21, s47
	s_cmp_eq_u32 s66, s13
	s_cbranch_scc1 .LBB56_7
.LBB56_11:                              ;   Parent Loop BB56_3 Depth=1
                                        ;     Parent Loop BB56_8 Depth=2
                                        ; =>    This Loop Header: Depth=3
                                        ;         Child Loop BB56_14 Depth 4
	s_andn2_b64 vcc, exec, s[38:39]
	s_cbranch_vccnz .LBB56_10
; %bb.12:                               ;   in Loop: Header=BB56_11 Depth=3
	s_mul_i32 s0, s66, s15
	s_sub_i32 s0, s0, s19
	v_add_u32_e32 v2, s0, v9
	v_cmp_gt_i32_e32 vcc, 0, v2
	v_cmp_le_i32_e64 s[0:1], s8, v2
	v_lshl_add_u64 v[12:13], s[4:5], 0, v[2:3]
	s_or_b64 s[50:51], vcc, s[0:1]
	v_mul_lo_u32 v2, v13, s58
	v_mul_lo_u32 v18, v12, s57
	v_mad_u64_u32 v[12:13], s[0:1], v12, s58, 0
	v_add3_u32 v13, v13, v18, v2
	v_mov_b32_e32 v2, v17
	s_mov_b64 s[52:53], s[20:21]
	s_mov_b32 s67, s14
	s_branch .LBB56_14
.LBB56_13:                              ;   in Loop: Header=BB56_14 Depth=4
	s_or_b64 exec, exec, s[0:1]
	s_add_i32 s67, s67, -1
	s_add_u32 s52, s52, s48
	s_addc_u32 s53, s53, s49
	s_cmp_eq_u32 s67, 0
	v_add_u32_e32 v2, s16, v2
	s_cbranch_scc1 .LBB56_10
.LBB56_14:                              ;   Parent Loop BB56_3 Depth=1
                                        ;     Parent Loop BB56_8 Depth=2
                                        ;       Parent Loop BB56_11 Depth=3
                                        ; =>      This Inner Loop Header: Depth=4
	v_cmp_gt_i32_e32 vcc, 0, v2
	v_cmp_le_i32_e64 s[0:1], s9, v2
	s_or_b64 s[0:1], vcc, s[0:1]
	s_or_b64 s[0:1], s[50:51], s[0:1]
	s_xor_b64 s[68:69], s[0:1], -1
	s_and_saveexec_b64 s[0:1], s[68:69]
	s_cbranch_execz .LBB56_13
; %bb.15:                               ;   in Loop: Header=BB56_14 Depth=4
	v_lshl_add_u64 v[18:19], v[12:13], 0, v[2:3]
	v_mul_lo_u32 v20, v19, s56
	v_mul_lo_u32 v21, v18, s59
	v_mad_u64_u32 v[18:19], s[68:69], v18, s56, 0
	v_add3_u32 v19, v19, v21, v20
	v_lshl_add_u64 v[18:19], v[18:19], 1, v[10:11]
	global_load_ushort v18, v[18:19], off
	s_nop 0
	global_load_ushort v19, v3, s[52:53]
	s_waitcnt vmcnt(1)
	v_cvt_f32_f16_e32 v18, v18
	s_waitcnt vmcnt(0)
	v_cvt_f32_f16_e32 v20, v19
	v_cvt_f64_f32_e32 v[18:19], v18
	v_cvt_f64_f32_e32 v[20:21], v20
	v_fmac_f64_e32 v[6:7], v[18:19], v[20:21]
	s_branch .LBB56_13
.LBB56_16:                              ;   in Loop: Header=BB56_3 Depth=1
	v_ashrrev_i32_e32 v9, 31, v8
	v_mad_i64_i32 v[8:9], s[0:1], v16, s22, v[8:9]
	v_mul_lo_u32 v2, v8, s54
	v_mul_lo_u32 v9, v9, s55
	v_mad_u64_u32 v[4:5], s[0:1], v8, s55, v[4:5]
	v_add3_u32 v5, v9, v5, v2
	s_mov_b64 s[0:1], -1
	s_and_b64 vcc, exec, s[42:43]
	v_lshl_add_u64 v[4:5], v[4:5], 1, s[24:25]
	s_cbranch_vccz .LBB56_18
; %bb.17:                               ;   in Loop: Header=BB56_3 Depth=1
	global_load_ushort v2, v[4:5], off
	s_mov_b64 s[0:1], 0
	s_waitcnt vmcnt(0)
	v_cvt_f32_f16_e32 v2, v2
	v_cvt_f64_f32_e32 v[8:9], v2
	v_mul_f64 v[8:9], v[8:9], s[30:31]
	v_fmac_f64_e32 v[8:9], s[28:29], v[6:7]
	v_cvt_f32_f64_e32 v2, v[8:9]
	v_cvt_f16_f32_e32 v2, v2
	global_store_short v[4:5], v2, off
.LBB56_18:                              ;   in Loop: Header=BB56_3 Depth=1
	s_andn2_b64 vcc, exec, s[0:1]
	s_cbranch_vccnz .LBB56_2
; %bb.19:                               ;   in Loop: Header=BB56_3 Depth=1
	v_cvt_f32_f64_e32 v2, v[6:7]
	v_cvt_f16_f32_e32 v2, v2
	global_store_short v[4:5], v2, off
	s_branch .LBB56_2
.LBB56_20:
	s_endpgm
	.section	.rodata,"a",@progbits
	.p2align	6, 0x0
	.amdhsa_kernel naive_conv_ab_packed_wrw_nhwc_half_double_half_0
		.amdhsa_group_segment_fixed_size 0
		.amdhsa_private_segment_fixed_size 0
		.amdhsa_kernarg_size 480
		.amdhsa_user_sgpr_count 2
		.amdhsa_user_sgpr_dispatch_ptr 0
		.amdhsa_user_sgpr_queue_ptr 0
		.amdhsa_user_sgpr_kernarg_segment_ptr 1
		.amdhsa_user_sgpr_dispatch_id 0
		.amdhsa_user_sgpr_kernarg_preload_length 0
		.amdhsa_user_sgpr_kernarg_preload_offset 0
		.amdhsa_user_sgpr_private_segment_size 0
		.amdhsa_uses_dynamic_stack 0
		.amdhsa_enable_private_segment 0
		.amdhsa_system_sgpr_workgroup_id_x 1
		.amdhsa_system_sgpr_workgroup_id_y 0
		.amdhsa_system_sgpr_workgroup_id_z 0
		.amdhsa_system_sgpr_workgroup_info 0
		.amdhsa_system_vgpr_workitem_id 0
		.amdhsa_next_free_vgpr 22
		.amdhsa_next_free_sgpr 70
		.amdhsa_accum_offset 24
		.amdhsa_reserve_vcc 1
		.amdhsa_float_round_mode_32 0
		.amdhsa_float_round_mode_16_64 0
		.amdhsa_float_denorm_mode_32 3
		.amdhsa_float_denorm_mode_16_64 3
		.amdhsa_dx10_clamp 1
		.amdhsa_ieee_mode 1
		.amdhsa_fp16_overflow 0
		.amdhsa_tg_split 0
		.amdhsa_exception_fp_ieee_invalid_op 0
		.amdhsa_exception_fp_denorm_src 0
		.amdhsa_exception_fp_ieee_div_zero 0
		.amdhsa_exception_fp_ieee_overflow 0
		.amdhsa_exception_fp_ieee_underflow 0
		.amdhsa_exception_fp_ieee_inexact 0
		.amdhsa_exception_int_div_zero 0
	.end_amdhsa_kernel
	.text
.Lfunc_end56:
	.size	naive_conv_ab_packed_wrw_nhwc_half_double_half_0, .Lfunc_end56-naive_conv_ab_packed_wrw_nhwc_half_double_half_0
                                        ; -- End function
	.section	.AMDGPU.csdata,"",@progbits
; Kernel info:
; codeLenInByte = 1452
; NumSgprs: 76
; NumVgprs: 22
; NumAgprs: 0
; TotalNumVgprs: 22
; ScratchSize: 0
; MemoryBound: 0
; FloatMode: 240
; IeeeMode: 1
; LDSByteSize: 0 bytes/workgroup (compile time only)
; SGPRBlocks: 9
; VGPRBlocks: 2
; NumSGPRsForWavesPerEU: 76
; NumVGPRsForWavesPerEU: 22
; AccumOffset: 24
; Occupancy: 8
; WaveLimiterHint : 0
; COMPUTE_PGM_RSRC2:SCRATCH_EN: 0
; COMPUTE_PGM_RSRC2:USER_SGPR: 2
; COMPUTE_PGM_RSRC2:TRAP_HANDLER: 0
; COMPUTE_PGM_RSRC2:TGID_X_EN: 1
; COMPUTE_PGM_RSRC2:TGID_Y_EN: 0
; COMPUTE_PGM_RSRC2:TGID_Z_EN: 0
; COMPUTE_PGM_RSRC2:TIDIG_COMP_CNT: 0
; COMPUTE_PGM_RSRC3_GFX90A:ACCUM_OFFSET: 5
; COMPUTE_PGM_RSRC3_GFX90A:TG_SPLIT: 0
	.text
	.protected	naive_conv_ab_nonpacked_wrw_nhwc_half_double_half_0 ; -- Begin function naive_conv_ab_nonpacked_wrw_nhwc_half_double_half_0
	.globl	naive_conv_ab_nonpacked_wrw_nhwc_half_double_half_0
	.p2align	8
	.type	naive_conv_ab_nonpacked_wrw_nhwc_half_double_half_0,@function
naive_conv_ab_nonpacked_wrw_nhwc_half_double_half_0: ; @naive_conv_ab_nonpacked_wrw_nhwc_half_double_half_0
; %bb.0:
	s_load_dwordx8 s[24:31], s[0:1], 0xa0
	s_load_dwordx4 s[4:7], s[0:1], 0xd0
	s_waitcnt lgkmcnt(0)
	s_abs_i32 s34, s27
	v_cvt_f32_u32_e32 v1, s34
	s_mul_i32 s3, s6, s28
	s_mul_i32 s33, s3, s5
	v_cmp_gt_i32_e32 vcc, s33, v0
	v_rcp_iflag_f32_e32 v1, v1
	s_nop 0
	v_mul_f32_e32 v1, 0x4f7ffffe, v1
	v_cvt_u32_f32_e32 v1, v1
	s_nop 0
	v_readfirstlane_b32 s5, v1
	s_and_saveexec_b64 s[8:9], vcc
	s_cbranch_execz .LBB57_20
; %bb.1:
	s_sub_i32 s8, 0, s34
	s_mul_i32 s8, s8, s5
	s_mul_hi_u32 s8, s5, s8
	s_abs_i32 s58, s2
	s_add_i32 s5, s5, s8
	s_ashr_i32 s7, s2, 31
	s_ashr_i32 s35, s27, 31
	s_mul_hi_u32 s5, s58, s5
	s_xor_b32 s7, s7, s35
	s_mul_i32 s35, s5, s34
	s_sub_i32 s35, s58, s35
	s_add_i32 s58, s5, 1
	s_sub_i32 s59, s35, s34
	s_cmp_ge_u32 s35, s34
	s_cselect_b32 s5, s58, s5
	s_cselect_b32 s35, s59, s35
	s_add_i32 s58, s5, 1
	s_cmp_ge_u32 s35, s34
	s_cselect_b32 s5, s58, s5
	s_xor_b32 s5, s5, s7
	s_sub_i32 s5, s5, s7
	s_load_dwordx8 s[36:43], s[0:1], 0x0
	s_load_dwordx2 s[56:57], s[0:1], 0x20
	s_load_dwordx16 s[8:23], s[0:1], 0x28
	s_load_dwordx2 s[60:61], s[0:1], 0x98
	s_load_dwordx4 s[52:55], s[0:1], 0x88
	s_load_dwordx8 s[44:51], s[0:1], 0x68
	s_mul_i32 s7, s5, s27
	s_sub_i32 s2, s2, s7
	s_ashr_i32 s7, s5, 31
	s_waitcnt lgkmcnt(0)
	s_mul_i32 s27, s10, s7
	s_mul_hi_u32 s34, s10, s5
	s_add_i32 s27, s34, s27
	s_mul_i32 s11, s11, s5
	s_add_i32 s11, s27, s11
	s_mul_i32 s10, s10, s5
	s_lshl_b64 s[10:11], s[10:11], 1
	s_add_u32 s10, s36, s10
	s_mul_i32 s27, s46, s7
	s_mul_hi_u32 s34, s46, s5
	s_addc_u32 s11, s37, s11
	s_add_i32 s27, s34, s27
	s_mul_i32 s34, s47, s5
	s_add_i32 s35, s27, s34
	s_ashr_i32 s27, s2, 31
	s_mul_i32 s36, s44, s27
	s_mul_hi_u32 s37, s44, s2
	s_mul_i32 s34, s46, s5
	s_add_i32 s36, s37, s36
	s_mul_i32 s37, s45, s2
	s_add_i32 s37, s36, s37
	s_lshl_b64 s[34:35], s[34:35], 1
	s_mul_i32 s36, s44, s2
	s_add_u32 s38, s38, s34
	s_addc_u32 s39, s39, s35
	s_lshl_b64 s[34:35], s[36:37], 1
	s_add_u32 s34, s38, s34
	s_mul_i32 s7, s50, s7
	s_mul_hi_u32 s36, s50, s5
	s_addc_u32 s35, s39, s35
	s_add_i32 s7, s36, s7
	s_mul_i32 s36, s51, s5
	s_add_i32 s37, s7, s36
	s_mul_i32 s36, s50, s5
	s_mul_i32 s5, s48, s27
	s_mul_hi_u32 s7, s48, s2
	s_add_i32 s5, s7, s5
	s_mul_i32 s7, s49, s2
	s_add_i32 s39, s5, s7
	s_lshl_b64 s[36:37], s[36:37], 1
	s_mul_i32 s38, s48, s2
	s_add_u32 s2, s56, s36
	s_addc_u32 s5, s57, s37
	s_lshl_b64 s[36:37], s[38:39], 1
	s_add_u32 s44, s2, s36
	s_addc_u32 s45, s5, s37
	s_cmp_lt_i32 s26, 1
	s_cselect_b64 s[46:47], -1, 0
	s_cmp_gt_i32 s29, 0
	s_cselect_b64 s[48:49], -1, 0
	s_cmp_gt_i32 s30, 0
	s_cselect_b64 s[50:51], -1, 0
	s_abs_i32 s27, s28
	v_cvt_f32_u32_e32 v1, s27
	s_abs_i32 s65, s6
	v_cvt_f32_u32_e32 v2, s65
	s_abs_i32 s67, s3
	v_rcp_iflag_f32_e32 v1, v1
	v_cmp_neq_f64_e64 s[58:59], s[40:41], 1.0
	s_load_dwordx4 s[36:39], s[0:1], 0xc0
	s_load_dword s2, s[0:1], 0xec
	v_cmp_neq_f64_e64 s[0:1], s[42:43], 0
	v_mul_f32_e32 v1, 0x4f7ffffe, v1
	v_cvt_u32_f32_e32 v1, v1
	v_cvt_f32_u32_e32 v4, s67
	s_or_b64 s[58:59], s[58:59], s[0:1]
	s_sub_i32 s0, 0, s27
	v_mul_lo_u32 v3, s0, v1
	v_rcp_iflag_f32_e32 v2, v2
	v_mul_hi_u32 v3, v1, v3
	v_add_u32_e32 v12, v1, v3
	v_rcp_iflag_f32_e32 v1, v4
	v_mul_f32_e32 v2, 0x4f7ffffe, v2
	v_cvt_u32_f32_e32 v2, v2
	s_sub_i32 s0, 0, s65
	v_mul_f32_e32 v1, 0x4f7ffffe, v1
	v_cvt_u32_f32_e32 v1, v1
	v_mul_lo_u32 v3, s0, v2
	v_mul_hi_u32 v3, v2, v3
	s_sub_i32 s0, 0, s67
	v_add_u32_e32 v13, v2, v3
	v_mul_lo_u32 v2, s0, v1
	v_mul_hi_u32 v2, v1, v2
	s_mov_b64 s[56:57], 0
	s_waitcnt lgkmcnt(0)
	s_and_b32 s64, s2, 0xffff
	s_ashr_i32 s66, s28, 31
	s_ashr_i32 s68, s3, 31
	v_add_u32_e32 v14, v1, v2
	s_lshl_b64 s[6:7], s[60:61], 1
	s_lshl_b64 s[54:55], s[54:55], 1
	;; [unrolled: 1-line block ×3, first 2 shown]
	s_sub_i32 s69, 0, s4
	v_mov_b32_e32 v15, 0
	s_branch .LBB57_3
.LBB57_2:                               ;   in Loop: Header=BB57_3 Depth=1
	v_add_u32_e32 v0, s64, v0
	v_cmp_le_i32_e32 vcc, s33, v0
	s_or_b64 s[56:57], vcc, s[56:57]
	s_andn2_b64 exec, exec, s[56:57]
	s_cbranch_execz .LBB57_20
.LBB57_3:                               ; =>This Loop Header: Depth=1
                                        ;     Child Loop BB57_8 Depth 2
                                        ;       Child Loop BB57_11 Depth 3
                                        ;         Child Loop BB57_14 Depth 4
	v_sub_u32_e32 v2, 0, v0
	v_max_i32_e32 v7, v0, v2
	v_mul_hi_u32 v2, v7, v12
	v_mul_lo_u32 v3, v2, s27
	v_sub_u32_e32 v3, v7, v3
	v_add_u32_e32 v5, 1, v2
	v_cmp_le_u32_e32 vcc, s27, v3
	v_ashrrev_i32_e32 v4, 31, v0
	v_xor_b32_e32 v1, s66, v4
	v_cndmask_b32_e32 v2, v2, v5, vcc
	v_subrev_u32_e32 v5, s27, v3
	v_cndmask_b32_e32 v3, v3, v5, vcc
	v_add_u32_e32 v5, 1, v2
	v_cmp_le_u32_e32 vcc, s27, v3
	s_mov_b64 s[62:63], -1
                                        ; implicit-def: $sgpr60_sgpr61
	s_nop 0
	v_cndmask_b32_e32 v2, v2, v5, vcc
	v_xor_b32_e32 v2, v2, v1
	v_sub_u32_e32 v3, v2, v1
	v_mul_lo_u32 v1, v3, s28
	v_sub_u32_e32 v2, v0, v1
	v_sub_u32_e32 v1, 0, v3
	v_max_i32_e32 v1, v3, v1
	v_mul_hi_u32 v5, v1, v13
	v_mul_lo_u32 v5, v5, s65
	v_sub_u32_e32 v1, v1, v5
	v_subrev_u32_e32 v5, s65, v1
	v_cmp_le_u32_e32 vcc, s65, v1
	s_nop 1
	v_cndmask_b32_e32 v6, v1, v5, vcc
	v_mul_hi_u32 v5, v7, v14
	v_mul_lo_u32 v1, v5, s67
	v_sub_u32_e32 v1, v7, v1
	v_subrev_u32_e32 v7, s67, v1
	v_cmp_le_u32_e64 s[2:3], s67, v1
	v_cmp_le_u32_e64 s[0:1], s65, v6
	s_andn2_b64 vcc, exec, s[46:47]
	v_cndmask_b32_e64 v1, v1, v7, s[2:3]
	v_cmp_le_u32_e64 s[4:5], s67, v1
	v_ashrrev_i32_e32 v1, 31, v2
	s_cbranch_vccnz .LBB57_5
; %bb.4:                                ;   in Loop: Header=BB57_3 Depth=1
	s_mov_b64 s[62:63], 0
	s_mov_b64 s[60:61], 0
.LBB57_5:                               ;   in Loop: Header=BB57_3 Depth=1
	v_subrev_u32_e32 v7, s65, v6
	v_ashrrev_i32_e32 v3, 31, v3
	v_cndmask_b32_e64 v6, v6, v7, s[0:1]
	v_xor_b32_e32 v6, v6, v3
	v_sub_u32_e32 v3, v6, v3
	v_add_u32_e32 v6, 1, v5
	v_cndmask_b32_e64 v5, v5, v6, s[2:3]
	v_add_u32_e32 v6, 1, v5
	v_xor_b32_e32 v4, s68, v4
	v_cndmask_b32_e64 v5, v5, v6, s[4:5]
	v_xor_b32_e32 v5, v5, v4
	v_sub_u32_e32 v16, v5, v4
	s_andn2_b64 vcc, exec, s[62:63]
	v_mov_b64_e32 v[4:5], s[60:61]
	s_cbranch_vccnz .LBB57_16
; %bb.6:                                ;   in Loop: Header=BB57_3 Depth=1
	v_mul_lo_u32 v6, s9, v2
	v_mul_lo_u32 v7, s8, v1
	v_mad_u64_u32 v[4:5], s[0:1], s8, v2, 0
	v_mul_lo_u32 v8, v3, s38
	v_add3_u32 v5, v5, v7, v6
	v_mul_lo_u32 v17, v16, s37
	v_lshl_add_u64 v[6:7], v[4:5], 1, s[10:11]
	v_add_u32_e32 v18, s69, v8
	s_mov_b32 s70, 0
	v_mov_b64_e32 v[4:5], 0
	s_mov_b64 s[2:3], s[44:45]
	s_branch .LBB57_8
.LBB57_7:                               ;   in Loop: Header=BB57_8 Depth=2
	s_add_i32 s70, s70, 1
	s_add_u32 s2, s2, s6
	s_addc_u32 s3, s3, s7
	s_cmp_eq_u32 s70, s26
	s_cbranch_scc1 .LBB57_16
.LBB57_8:                               ;   Parent Loop BB57_3 Depth=1
                                        ; =>  This Loop Header: Depth=2
                                        ;       Child Loop BB57_11 Depth 3
                                        ;         Child Loop BB57_14 Depth 4
	s_andn2_b64 vcc, exec, s[48:49]
	s_cbranch_vccnz .LBB57_7
; %bb.9:                                ;   in Loop: Header=BB57_8 Depth=2
	s_mul_i32 s0, s17, s70
	s_mul_hi_u32 s1, s16, s70
	s_add_i32 s1, s1, s0
	s_mul_i32 s0, s16, s70
	v_lshl_add_u64 v[8:9], s[0:1], 1, v[6:7]
	s_mov_b32 s71, 0
	s_mov_b64 s[4:5], s[2:3]
	s_branch .LBB57_11
.LBB57_10:                              ;   in Loop: Header=BB57_11 Depth=3
	s_add_i32 s71, s71, 1
	s_add_u32 s4, s4, s54
	s_addc_u32 s5, s5, s55
	s_cmp_eq_u32 s71, s29
	s_cbranch_scc1 .LBB57_7
.LBB57_11:                              ;   Parent Loop BB57_3 Depth=1
                                        ;     Parent Loop BB57_8 Depth=2
                                        ; =>    This Loop Header: Depth=3
                                        ;         Child Loop BB57_14 Depth 4
	s_andn2_b64 vcc, exec, s[50:51]
	s_cbranch_vccnz .LBB57_10
; %bb.12:                               ;   in Loop: Header=BB57_11 Depth=3
	s_mul_i32 s0, s71, s31
	s_sub_i32 s0, s0, s39
	v_add_u32_e32 v19, s0, v17
	v_cmp_gt_i32_e32 vcc, 0, v19
	v_cmp_le_i32_e64 s[0:1], s24, v19
	s_or_b64 s[60:61], vcc, s[0:1]
	v_mad_u64_u32 v[10:11], s[0:1], s14, v19, 0
	v_mov_b32_e32 v20, v11
	v_mad_u64_u32 v[20:21], s[0:1], s15, v19, v[20:21]
	v_mov_b32_e32 v11, v20
	v_lshl_add_u64 v[10:11], v[10:11], 1, v[8:9]
	v_mov_b32_e32 v19, v18
	s_mov_b64 s[62:63], s[4:5]
	s_mov_b32 s72, s30
	s_branch .LBB57_14
.LBB57_13:                              ;   in Loop: Header=BB57_14 Depth=4
	s_or_b64 exec, exec, s[0:1]
	s_add_i32 s72, s72, -1
	s_add_u32 s62, s62, s52
	s_addc_u32 s63, s63, s53
	s_cmp_eq_u32 s72, 0
	v_add_u32_e32 v19, s36, v19
	s_cbranch_scc1 .LBB57_10
.LBB57_14:                              ;   Parent Loop BB57_3 Depth=1
                                        ;     Parent Loop BB57_8 Depth=2
                                        ;       Parent Loop BB57_11 Depth=3
                                        ; =>      This Inner Loop Header: Depth=4
	v_cmp_gt_i32_e32 vcc, 0, v19
	v_cmp_le_i32_e64 s[0:1], s25, v19
	s_or_b64 s[0:1], vcc, s[0:1]
	s_or_b64 s[0:1], s[60:61], s[0:1]
	s_xor_b64 s[74:75], s[0:1], -1
	s_and_saveexec_b64 s[0:1], s[74:75]
	s_cbranch_execz .LBB57_13
; %bb.15:                               ;   in Loop: Header=BB57_14 Depth=4
	v_mad_u64_u32 v[20:21], s[74:75], s12, v19, 0
	v_mov_b32_e32 v22, v21
	v_mad_u64_u32 v[22:23], s[74:75], s13, v19, v[22:23]
	v_mov_b32_e32 v21, v22
	v_lshl_add_u64 v[20:21], v[20:21], 1, v[10:11]
	global_load_ushort v20, v[20:21], off
	s_nop 0
	global_load_ushort v21, v15, s[62:63]
	s_waitcnt vmcnt(1)
	v_cvt_f32_f16_e32 v20, v20
	s_waitcnt vmcnt(0)
	v_cvt_f32_f16_e32 v22, v21
	v_cvt_f64_f32_e32 v[20:21], v20
	v_cvt_f64_f32_e32 v[22:23], v22
	v_fmac_f64_e32 v[4:5], v[20:21], v[22:23]
	s_branch .LBB57_13
.LBB57_16:                              ;   in Loop: Header=BB57_3 Depth=1
	v_ashrrev_i32_e32 v6, 31, v3
	v_mul_lo_u32 v9, s21, v3
	v_mul_lo_u32 v10, s20, v6
	v_mad_u64_u32 v[6:7], s[0:1], s20, v3, 0
	v_ashrrev_i32_e32 v8, 31, v16
	v_add3_u32 v7, v7, v10, v9
	v_mad_u64_u32 v[6:7], s[0:1], s22, v16, v[6:7]
	v_mul_lo_u32 v3, s23, v16
	v_mul_lo_u32 v8, s22, v8
	v_add3_u32 v7, v3, v7, v8
	v_mad_u64_u32 v[6:7], s[0:1], v2, s18, v[6:7]
	v_mul_lo_u32 v2, v2, s19
	v_mul_lo_u32 v1, v1, s18
	v_add3_u32 v7, v1, v7, v2
	s_mov_b64 s[0:1], -1
	s_and_b64 vcc, exec, s[58:59]
	v_lshl_add_u64 v[2:3], v[6:7], 1, s[34:35]
	s_cbranch_vccz .LBB57_18
; %bb.17:                               ;   in Loop: Header=BB57_3 Depth=1
	global_load_ushort v1, v[2:3], off
	s_mov_b64 s[0:1], 0
	s_waitcnt vmcnt(0)
	v_cvt_f32_f16_e32 v1, v1
	v_cvt_f64_f32_e32 v[6:7], v1
	v_mul_f64 v[6:7], v[6:7], s[42:43]
	v_fmac_f64_e32 v[6:7], s[40:41], v[4:5]
	v_cvt_f32_f64_e32 v1, v[6:7]
	v_cvt_f16_f32_e32 v1, v1
	global_store_short v[2:3], v1, off
.LBB57_18:                              ;   in Loop: Header=BB57_3 Depth=1
	s_andn2_b64 vcc, exec, s[0:1]
	s_cbranch_vccnz .LBB57_2
; %bb.19:                               ;   in Loop: Header=BB57_3 Depth=1
	v_cvt_f32_f64_e32 v1, v[4:5]
	v_cvt_f16_f32_e32 v1, v1
	global_store_short v[2:3], v1, off
	s_branch .LBB57_2
.LBB57_20:
	s_endpgm
	.section	.rodata,"a",@progbits
	.p2align	6, 0x0
	.amdhsa_kernel naive_conv_ab_nonpacked_wrw_nhwc_half_double_half_0
		.amdhsa_group_segment_fixed_size 0
		.amdhsa_private_segment_fixed_size 0
		.amdhsa_kernarg_size 480
		.amdhsa_user_sgpr_count 2
		.amdhsa_user_sgpr_dispatch_ptr 0
		.amdhsa_user_sgpr_queue_ptr 0
		.amdhsa_user_sgpr_kernarg_segment_ptr 1
		.amdhsa_user_sgpr_dispatch_id 0
		.amdhsa_user_sgpr_kernarg_preload_length 0
		.amdhsa_user_sgpr_kernarg_preload_offset 0
		.amdhsa_user_sgpr_private_segment_size 0
		.amdhsa_uses_dynamic_stack 0
		.amdhsa_enable_private_segment 0
		.amdhsa_system_sgpr_workgroup_id_x 1
		.amdhsa_system_sgpr_workgroup_id_y 0
		.amdhsa_system_sgpr_workgroup_id_z 0
		.amdhsa_system_sgpr_workgroup_info 0
		.amdhsa_system_vgpr_workitem_id 0
		.amdhsa_next_free_vgpr 24
		.amdhsa_next_free_sgpr 76
		.amdhsa_accum_offset 24
		.amdhsa_reserve_vcc 1
		.amdhsa_float_round_mode_32 0
		.amdhsa_float_round_mode_16_64 0
		.amdhsa_float_denorm_mode_32 3
		.amdhsa_float_denorm_mode_16_64 3
		.amdhsa_dx10_clamp 1
		.amdhsa_ieee_mode 1
		.amdhsa_fp16_overflow 0
		.amdhsa_tg_split 0
		.amdhsa_exception_fp_ieee_invalid_op 0
		.amdhsa_exception_fp_denorm_src 0
		.amdhsa_exception_fp_ieee_div_zero 0
		.amdhsa_exception_fp_ieee_overflow 0
		.amdhsa_exception_fp_ieee_underflow 0
		.amdhsa_exception_fp_ieee_inexact 0
		.amdhsa_exception_int_div_zero 0
	.end_amdhsa_kernel
	.text
.Lfunc_end57:
	.size	naive_conv_ab_nonpacked_wrw_nhwc_half_double_half_0, .Lfunc_end57-naive_conv_ab_nonpacked_wrw_nhwc_half_double_half_0
                                        ; -- End function
	.section	.AMDGPU.csdata,"",@progbits
; Kernel info:
; codeLenInByte = 1564
; NumSgprs: 82
; NumVgprs: 24
; NumAgprs: 0
; TotalNumVgprs: 24
; ScratchSize: 0
; MemoryBound: 0
; FloatMode: 240
; IeeeMode: 1
; LDSByteSize: 0 bytes/workgroup (compile time only)
; SGPRBlocks: 10
; VGPRBlocks: 2
; NumSGPRsForWavesPerEU: 82
; NumVGPRsForWavesPerEU: 24
; AccumOffset: 24
; Occupancy: 8
; WaveLimiterHint : 0
; COMPUTE_PGM_RSRC2:SCRATCH_EN: 0
; COMPUTE_PGM_RSRC2:USER_SGPR: 2
; COMPUTE_PGM_RSRC2:TRAP_HANDLER: 0
; COMPUTE_PGM_RSRC2:TGID_X_EN: 1
; COMPUTE_PGM_RSRC2:TGID_Y_EN: 0
; COMPUTE_PGM_RSRC2:TGID_Z_EN: 0
; COMPUTE_PGM_RSRC2:TIDIG_COMP_CNT: 0
; COMPUTE_PGM_RSRC3_GFX90A:ACCUM_OFFSET: 5
; COMPUTE_PGM_RSRC3_GFX90A:TG_SPLIT: 0
	.text
	.protected	naive_conv_ab_packed_wrw_nhwc_ushort_double_ushort_0 ; -- Begin function naive_conv_ab_packed_wrw_nhwc_ushort_double_ushort_0
	.globl	naive_conv_ab_packed_wrw_nhwc_ushort_double_ushort_0
	.p2align	8
	.type	naive_conv_ab_packed_wrw_nhwc_ushort_double_ushort_0,@function
naive_conv_ab_packed_wrw_nhwc_ushort_double_ushort_0: ; @naive_conv_ab_packed_wrw_nhwc_ushort_double_ushort_0
; %bb.0:
	s_load_dwordx16 s[8:23], s[0:1], 0xa0
	s_waitcnt lgkmcnt(0)
	s_abs_i32 s4, s11
	v_cvt_f32_u32_e32 v1, s4
	s_mul_i32 s3, s22, s12
	s_mul_i32 s33, s3, s21
	v_cmp_gt_i32_e32 vcc, s33, v0
	v_rcp_iflag_f32_e32 v1, v1
	s_nop 0
	v_mul_f32_e32 v1, 0x4f7ffffe, v1
	v_cvt_u32_f32_e32 v1, v1
	s_nop 0
	v_readfirstlane_b32 s5, v1
	s_and_saveexec_b64 s[6:7], vcc
	s_cbranch_execz .LBB58_20
; %bb.1:
	s_sub_i32 s35, 0, s4
	s_mul_i32 s35, s35, s5
	s_mul_hi_u32 s35, s5, s35
	s_abs_i32 s34, s2
	s_add_i32 s5, s5, s35
	s_ashr_i32 s6, s2, 31
	s_ashr_i32 s7, s11, 31
	s_mul_hi_u32 s5, s34, s5
	s_xor_b32 s6, s6, s7
	s_mul_i32 s7, s5, s4
	s_sub_i32 s7, s34, s7
	s_add_i32 s34, s5, 1
	s_sub_i32 s35, s7, s4
	s_cmp_ge_u32 s7, s4
	s_cselect_b32 s5, s34, s5
	s_cselect_b32 s7, s35, s7
	s_add_i32 s34, s5, 1
	s_cmp_ge_u32 s7, s4
	s_load_dwordx8 s[24:31], s[0:1], 0x0
	s_cselect_b32 s4, s34, s5
	s_xor_b32 s4, s4, s6
	s_sub_i32 s5, s4, s6
	s_mul_i32 s4, s5, s11
	s_mul_hi_i32 s7, s5, s12
	s_mul_i32 s6, s5, s12
	s_sub_i32 s34, s2, s4
	s_ashr_i32 s54, s12, 31
	s_lshl_b64 s[6:7], s[6:7], 1
	s_waitcnt lgkmcnt(0)
	s_add_u32 s6, s24, s6
	s_addc_u32 s7, s25, s7
	s_ashr_i32 s2, s22, 31
	s_ashr_i32 s35, s34, 31
	s_mul_hi_i32 s36, s21, s12
	s_mul_i32 s21, s21, s12
	s_mul_hi_i32 s5, s5, s11
	s_add_u32 s24, s4, s34
	s_mul_i32 s2, s21, s2
	s_mul_hi_u32 s37, s21, s22
	s_addc_u32 s25, s5, s35
	s_add_i32 s2, s37, s2
	s_mul_i32 s36, s36, s22
	s_mul_i32 s21, s21, s22
	s_add_i32 s2, s2, s36
	s_mul_i32 s25, s21, s25
	s_mul_hi_u32 s36, s21, s24
	s_add_i32 s25, s36, s25
	s_mul_i32 s2, s2, s24
	s_load_dwordx2 s[36:37], s[0:1], 0x20
	s_add_i32 s25, s25, s2
	s_load_dword s2, s[0:1], 0xec
	s_mul_i32 s24, s21, s24
	s_lshl_b64 s[24:25], s[24:25], 1
	s_add_u32 s24, s26, s24
	s_addc_u32 s25, s27, s25
	s_lshl_b64 s[4:5], s[4:5], 1
	s_waitcnt lgkmcnt(0)
	s_add_u32 s4, s36, s4
	s_addc_u32 s5, s37, s5
	s_lshl_b64 s[0:1], s[34:35], 1
	s_add_u32 s26, s4, s0
	s_addc_u32 s27, s5, s1
	s_cmp_lt_i32 s10, 1
	s_cselect_b64 s[34:35], -1, 0
	s_cmp_gt_i32 s13, 0
	s_cselect_b64 s[36:37], -1, 0
	s_cmp_gt_i32 s14, 0
	s_mov_b32 s55, s12
	s_mul_i32 s56, s23, s12
	s_cselect_b64 s[38:39], -1, 0
	s_abs_i32 s12, s12
	v_cvt_f32_u32_e32 v1, s12
	s_abs_i32 s60, s22
	v_cvt_f32_u32_e32 v2, s60
	s_abs_i32 s62, s3
	v_rcp_iflag_f32_e32 v1, v1
	v_cvt_f32_u32_e32 v4, s62
	s_and_b32 s61, s2, 0xffff
	s_sub_i32 s2, 0, s12
	v_mul_f32_e32 v1, 0x4f7ffffe, v1
	v_cvt_u32_f32_e32 v1, v1
	v_rcp_iflag_f32_e32 v2, v2
	s_mul_i32 s0, s23, s11
	s_ashr_i32 s21, s13, 31
	v_mul_lo_u32 v3, s2, v1
	v_mul_hi_u32 v3, v1, v3
	v_add_u32_e32 v1, v1, v3
	v_rcp_iflag_f32_e32 v3, v4
	v_mul_f32_e32 v2, 0x4f7ffffe, v2
	v_cvt_u32_f32_e32 v2, v2
	s_sub_i32 s2, 0, s60
	v_mul_f32_e32 v3, 0x4f7ffffe, v3
	v_cvt_u32_f32_e32 v3, v3
	v_mul_lo_u32 v4, s2, v2
	v_mul_hi_u32 v4, v2, v4
	s_sub_i32 s2, 0, s62
	v_cmp_neq_f64_e64 s[4:5], s[28:29], 1.0
	v_cmp_neq_f64_e64 s[42:43], s[30:31], 0
	v_add_u32_e32 v14, v2, v4
	v_mul_lo_u32 v2, s2, v3
	s_mul_i32 s2, s14, s0
	s_or_b64 s[42:43], s[4:5], s[42:43]
	s_ashr_i32 s63, s3, 31
	s_mul_i32 s3, s2, s21
	s_mul_hi_u32 s4, s2, s13
	s_add_i32 s4, s4, s3
	s_mul_hi_i32 s3, s14, s0
	s_mul_i32 s5, s3, s13
	s_ashr_i32 s1, s0, 31
	v_mul_hi_u32 v2, v3, v2
	s_add_i32 s5, s4, s5
	s_mul_i32 s4, s2, s13
	s_ashr_i32 s11, s8, 31
	s_mov_b32 s23, s8
	s_ashr_i32 s57, s9, 31
	s_mov_b32 s58, s9
	s_ashr_i32 s59, s56, 31
	s_mov_b64 s[40:41], 0
	v_add_u32_e32 v15, v3, v2
	s_lshl_b64 s[44:45], s[4:5], 1
	s_lshl_b64 s[46:47], s[2:3], 1
	;; [unrolled: 1-line block ×3, first 2 shown]
	s_sub_i32 s64, 0, s20
	v_mov_b32_e32 v3, 0
	s_mov_b32 s65, 0x7f800000
	s_branch .LBB58_3
.LBB58_2:                               ;   in Loop: Header=BB58_3 Depth=1
	v_add_u32_e32 v0, s61, v0
	v_cmp_le_i32_e32 vcc, s33, v0
	s_or_b64 s[40:41], vcc, s[40:41]
	s_andn2_b64 exec, exec, s[40:41]
	s_cbranch_execz .LBB58_20
.LBB58_3:                               ; =>This Loop Header: Depth=1
                                        ;     Child Loop BB58_8 Depth 2
                                        ;       Child Loop BB58_11 Depth 3
                                        ;         Child Loop BB58_14 Depth 4
	v_sub_u32_e32 v5, 0, v0
	v_max_i32_e32 v5, v0, v5
	v_mul_hi_u32 v6, v5, v1
	v_mul_lo_u32 v7, v6, s12
	v_sub_u32_e32 v7, v5, v7
	v_add_u32_e32 v8, 1, v6
	v_cmp_le_u32_e32 vcc, s12, v7
	v_ashrrev_i32_e32 v2, 31, v0
	v_xor_b32_e32 v4, s54, v2
	v_cndmask_b32_e32 v6, v6, v8, vcc
	v_subrev_u32_e32 v8, s12, v7
	v_cndmask_b32_e32 v7, v7, v8, vcc
	v_add_u32_e32 v8, 1, v6
	v_cmp_le_u32_e32 vcc, s12, v7
	s_mov_b64 s[50:51], -1
                                        ; implicit-def: $sgpr20_sgpr21
	s_nop 0
	v_cndmask_b32_e32 v6, v6, v8, vcc
	v_xor_b32_e32 v6, v6, v4
	v_sub_u32_e32 v6, v6, v4
	v_sub_u32_e32 v7, 0, v6
	v_max_i32_e32 v7, v6, v7
	v_mul_hi_u32 v8, v7, v14
	v_mul_lo_u32 v8, v8, s60
	v_sub_u32_e32 v7, v7, v8
	v_subrev_u32_e32 v8, s60, v7
	v_cmp_le_u32_e32 vcc, s60, v7
	v_mul_lo_u32 v4, v6, s55
	v_sub_u32_e32 v4, v0, v4
	v_cndmask_b32_e32 v8, v7, v8, vcc
	v_mul_hi_u32 v7, v5, v15
	v_mul_lo_u32 v9, v7, s62
	v_sub_u32_e32 v5, v5, v9
	v_subrev_u32_e32 v9, s62, v5
	v_cmp_le_u32_e64 s[2:3], s62, v5
	v_cmp_le_u32_e64 s[0:1], s60, v8
	s_andn2_b64 vcc, exec, s[34:35]
	v_cndmask_b32_e64 v5, v5, v9, s[2:3]
	v_cmp_le_u32_e64 s[4:5], s62, v5
	v_ashrrev_i32_e32 v5, 31, v4
	s_cbranch_vccnz .LBB58_5
; %bb.4:                                ;   in Loop: Header=BB58_3 Depth=1
	s_mov_b64 s[50:51], 0
	s_mov_b64 s[20:21], 0
.LBB58_5:                               ;   in Loop: Header=BB58_3 Depth=1
	v_subrev_u32_e32 v9, s60, v8
	v_ashrrev_i32_e32 v6, 31, v6
	v_cndmask_b32_e64 v8, v8, v9, s[0:1]
	v_xor_b32_e32 v8, v8, v6
	v_sub_u32_e32 v8, v8, v6
	v_add_u32_e32 v6, 1, v7
	v_cndmask_b32_e64 v6, v7, v6, s[2:3]
	v_add_u32_e32 v7, 1, v6
	v_xor_b32_e32 v2, s63, v2
	v_cndmask_b32_e64 v6, v6, v7, s[4:5]
	v_xor_b32_e32 v6, v6, v2
	v_sub_u32_e32 v16, v6, v2
	s_andn2_b64 vcc, exec, s[50:51]
	v_mov_b64_e32 v[6:7], s[20:21]
	s_cbranch_vccnz .LBB58_16
; %bb.6:                                ;   in Loop: Header=BB58_3 Depth=1
	v_mul_lo_u32 v2, v8, s18
	v_mul_lo_u32 v9, v16, s17
	v_lshl_add_u64 v[10:11], v[4:5], 1, s[6:7]
	v_add_u32_e32 v17, s64, v2
	s_mov_b32 s66, 0
	v_mov_b64_e32 v[6:7], 0
	s_mov_b64 s[2:3], s[26:27]
	s_branch .LBB58_8
.LBB58_7:                               ;   in Loop: Header=BB58_8 Depth=2
	s_add_i32 s66, s66, 1
	s_add_u32 s2, s2, s44
	s_addc_u32 s3, s3, s45
	s_cmp_eq_u32 s66, s10
	s_cbranch_scc1 .LBB58_16
.LBB58_8:                               ;   Parent Loop BB58_3 Depth=1
                                        ; =>  This Loop Header: Depth=2
                                        ;       Child Loop BB58_11 Depth 3
                                        ;         Child Loop BB58_14 Depth 4
	s_andn2_b64 vcc, exec, s[36:37]
	s_cbranch_vccnz .LBB58_7
; %bb.9:                                ;   in Loop: Header=BB58_8 Depth=2
	s_mul_i32 s0, s66, s11
	s_mul_hi_u32 s1, s66, s23
	s_add_i32 s5, s1, s0
	s_mul_i32 s4, s66, s23
	s_mov_b32 s67, 0
	s_mov_b64 s[20:21], s[2:3]
	s_branch .LBB58_11
.LBB58_10:                              ;   in Loop: Header=BB58_11 Depth=3
	s_add_i32 s67, s67, 1
	s_add_u32 s20, s20, s46
	s_addc_u32 s21, s21, s47
	s_cmp_eq_u32 s67, s13
	s_cbranch_scc1 .LBB58_7
.LBB58_11:                              ;   Parent Loop BB58_3 Depth=1
                                        ;     Parent Loop BB58_8 Depth=2
                                        ; =>    This Loop Header: Depth=3
                                        ;         Child Loop BB58_14 Depth 4
	s_andn2_b64 vcc, exec, s[38:39]
	s_cbranch_vccnz .LBB58_10
; %bb.12:                               ;   in Loop: Header=BB58_11 Depth=3
	s_mul_i32 s0, s67, s15
	s_sub_i32 s0, s0, s19
	v_add_u32_e32 v2, s0, v9
	v_cmp_gt_i32_e32 vcc, 0, v2
	v_cmp_le_i32_e64 s[0:1], s8, v2
	v_lshl_add_u64 v[12:13], s[4:5], 0, v[2:3]
	s_or_b64 s[50:51], vcc, s[0:1]
	v_mul_lo_u32 v2, v13, s58
	v_mul_lo_u32 v18, v12, s57
	v_mad_u64_u32 v[12:13], s[0:1], v12, s58, 0
	v_add3_u32 v13, v13, v18, v2
	v_mov_b32_e32 v2, v17
	s_mov_b64 s[52:53], s[20:21]
	s_mov_b32 s68, s14
	s_branch .LBB58_14
.LBB58_13:                              ;   in Loop: Header=BB58_14 Depth=4
	s_or_b64 exec, exec, s[0:1]
	s_add_i32 s68, s68, -1
	s_add_u32 s52, s52, s48
	s_addc_u32 s53, s53, s49
	s_cmp_eq_u32 s68, 0
	v_add_u32_e32 v2, s16, v2
	s_cbranch_scc1 .LBB58_10
.LBB58_14:                              ;   Parent Loop BB58_3 Depth=1
                                        ;     Parent Loop BB58_8 Depth=2
                                        ;       Parent Loop BB58_11 Depth=3
                                        ; =>      This Inner Loop Header: Depth=4
	v_cmp_gt_i32_e32 vcc, 0, v2
	v_cmp_le_i32_e64 s[0:1], s9, v2
	s_or_b64 s[0:1], vcc, s[0:1]
	s_or_b64 s[0:1], s[50:51], s[0:1]
	s_xor_b64 s[70:71], s[0:1], -1
	s_and_saveexec_b64 s[0:1], s[70:71]
	s_cbranch_execz .LBB58_13
; %bb.15:                               ;   in Loop: Header=BB58_14 Depth=4
	v_lshl_add_u64 v[18:19], v[12:13], 0, v[2:3]
	v_mul_lo_u32 v20, v19, s56
	v_mul_lo_u32 v21, v18, s59
	v_mad_u64_u32 v[18:19], s[70:71], v18, s56, 0
	v_add3_u32 v19, v19, v21, v20
	v_lshl_add_u64 v[18:19], v[18:19], 1, v[10:11]
	global_load_ushort v20, v3, s[52:53]
	s_nop 0
	global_load_ushort v18, v[18:19], off
	s_waitcnt vmcnt(1)
	v_lshlrev_b32_e32 v20, 16, v20
	s_waitcnt vmcnt(0)
	v_lshlrev_b32_e32 v18, 16, v18
	v_cvt_f64_f32_e32 v[18:19], v18
	v_cvt_f64_f32_e32 v[20:21], v20
	v_fmac_f64_e32 v[6:7], v[18:19], v[20:21]
	s_branch .LBB58_13
.LBB58_16:                              ;   in Loop: Header=BB58_3 Depth=1
	v_ashrrev_i32_e32 v9, 31, v8
	v_mad_i64_i32 v[8:9], s[0:1], v16, s22, v[8:9]
	v_mul_lo_u32 v2, v8, s54
	v_mul_lo_u32 v9, v9, s55
	v_mad_u64_u32 v[4:5], s[0:1], v8, s55, v[4:5]
	v_add3_u32 v5, v9, v5, v2
	s_mov_b64 s[0:1], -1
	s_and_b64 vcc, exec, s[42:43]
	v_lshl_add_u64 v[4:5], v[4:5], 1, s[24:25]
	s_cbranch_vccz .LBB58_18
; %bb.17:                               ;   in Loop: Header=BB58_3 Depth=1
	global_load_ushort v2, v[4:5], off
	s_waitcnt vmcnt(0)
	v_lshlrev_b32_e32 v2, 16, v2
	v_cvt_f64_f32_e32 v[8:9], v2
	v_mul_f64 v[8:9], v[8:9], s[30:31]
	v_fmac_f64_e32 v[8:9], s[28:29], v[6:7]
	v_cvt_f32_f64_e32 v2, v[8:9]
	v_and_b32_e32 v8, 0x7f800000, v2
	v_cmp_ne_u32_sdwa s[0:1], v2, v3 src0_sel:WORD_0 src1_sel:DWORD
	v_cmp_eq_u32_e32 vcc, s65, v8
	s_and_b64 s[0:1], vcc, s[0:1]
	v_cndmask_b32_e64 v8, 0, 1, s[0:1]
	v_or_b32_sdwa v2, v2, v8 dst_sel:DWORD dst_unused:UNUSED_PAD src0_sel:WORD_1 src1_sel:DWORD
	global_store_short v[4:5], v2, off
	s_mov_b64 s[0:1], 0
.LBB58_18:                              ;   in Loop: Header=BB58_3 Depth=1
	s_andn2_b64 vcc, exec, s[0:1]
	s_cbranch_vccnz .LBB58_2
; %bb.19:                               ;   in Loop: Header=BB58_3 Depth=1
	v_cvt_f32_f64_e32 v2, v[6:7]
	v_and_b32_e32 v6, 0x7f800000, v2
	v_cmp_eq_u32_e32 vcc, s65, v6
	v_cmp_ne_u32_sdwa s[0:1], v2, v3 src0_sel:WORD_0 src1_sel:DWORD
	s_and_b64 s[0:1], vcc, s[0:1]
	s_nop 0
	v_cndmask_b32_e64 v6, 0, 1, s[0:1]
	v_or_b32_sdwa v2, v2, v6 dst_sel:DWORD dst_unused:UNUSED_PAD src0_sel:WORD_1 src1_sel:DWORD
	global_store_short v[4:5], v2, off
	s_branch .LBB58_2
.LBB58_20:
	s_endpgm
	.section	.rodata,"a",@progbits
	.p2align	6, 0x0
	.amdhsa_kernel naive_conv_ab_packed_wrw_nhwc_ushort_double_ushort_0
		.amdhsa_group_segment_fixed_size 0
		.amdhsa_private_segment_fixed_size 0
		.amdhsa_kernarg_size 480
		.amdhsa_user_sgpr_count 2
		.amdhsa_user_sgpr_dispatch_ptr 0
		.amdhsa_user_sgpr_queue_ptr 0
		.amdhsa_user_sgpr_kernarg_segment_ptr 1
		.amdhsa_user_sgpr_dispatch_id 0
		.amdhsa_user_sgpr_kernarg_preload_length 0
		.amdhsa_user_sgpr_kernarg_preload_offset 0
		.amdhsa_user_sgpr_private_segment_size 0
		.amdhsa_uses_dynamic_stack 0
		.amdhsa_enable_private_segment 0
		.amdhsa_system_sgpr_workgroup_id_x 1
		.amdhsa_system_sgpr_workgroup_id_y 0
		.amdhsa_system_sgpr_workgroup_id_z 0
		.amdhsa_system_sgpr_workgroup_info 0
		.amdhsa_system_vgpr_workitem_id 0
		.amdhsa_next_free_vgpr 22
		.amdhsa_next_free_sgpr 72
		.amdhsa_accum_offset 24
		.amdhsa_reserve_vcc 1
		.amdhsa_float_round_mode_32 0
		.amdhsa_float_round_mode_16_64 0
		.amdhsa_float_denorm_mode_32 3
		.amdhsa_float_denorm_mode_16_64 3
		.amdhsa_dx10_clamp 1
		.amdhsa_ieee_mode 1
		.amdhsa_fp16_overflow 0
		.amdhsa_tg_split 0
		.amdhsa_exception_fp_ieee_invalid_op 0
		.amdhsa_exception_fp_denorm_src 0
		.amdhsa_exception_fp_ieee_div_zero 0
		.amdhsa_exception_fp_ieee_overflow 0
		.amdhsa_exception_fp_ieee_underflow 0
		.amdhsa_exception_fp_ieee_inexact 0
		.amdhsa_exception_int_div_zero 0
	.end_amdhsa_kernel
	.text
.Lfunc_end58:
	.size	naive_conv_ab_packed_wrw_nhwc_ushort_double_ushort_0, .Lfunc_end58-naive_conv_ab_packed_wrw_nhwc_ushort_double_ushort_0
                                        ; -- End function
	.section	.AMDGPU.csdata,"",@progbits
; Kernel info:
; codeLenInByte = 1536
; NumSgprs: 78
; NumVgprs: 22
; NumAgprs: 0
; TotalNumVgprs: 22
; ScratchSize: 0
; MemoryBound: 0
; FloatMode: 240
; IeeeMode: 1
; LDSByteSize: 0 bytes/workgroup (compile time only)
; SGPRBlocks: 9
; VGPRBlocks: 2
; NumSGPRsForWavesPerEU: 78
; NumVGPRsForWavesPerEU: 22
; AccumOffset: 24
; Occupancy: 8
; WaveLimiterHint : 0
; COMPUTE_PGM_RSRC2:SCRATCH_EN: 0
; COMPUTE_PGM_RSRC2:USER_SGPR: 2
; COMPUTE_PGM_RSRC2:TRAP_HANDLER: 0
; COMPUTE_PGM_RSRC2:TGID_X_EN: 1
; COMPUTE_PGM_RSRC2:TGID_Y_EN: 0
; COMPUTE_PGM_RSRC2:TGID_Z_EN: 0
; COMPUTE_PGM_RSRC2:TIDIG_COMP_CNT: 0
; COMPUTE_PGM_RSRC3_GFX90A:ACCUM_OFFSET: 5
; COMPUTE_PGM_RSRC3_GFX90A:TG_SPLIT: 0
	.text
	.protected	naive_conv_ab_nonpacked_wrw_nhwc_ushort_double_ushort_0 ; -- Begin function naive_conv_ab_nonpacked_wrw_nhwc_ushort_double_ushort_0
	.globl	naive_conv_ab_nonpacked_wrw_nhwc_ushort_double_ushort_0
	.p2align	8
	.type	naive_conv_ab_nonpacked_wrw_nhwc_ushort_double_ushort_0,@function
naive_conv_ab_nonpacked_wrw_nhwc_ushort_double_ushort_0: ; @naive_conv_ab_nonpacked_wrw_nhwc_ushort_double_ushort_0
; %bb.0:
	s_load_dwordx8 s[24:31], s[0:1], 0xa0
	s_load_dwordx4 s[4:7], s[0:1], 0xd0
	s_waitcnt lgkmcnt(0)
	s_abs_i32 s34, s27
	v_cvt_f32_u32_e32 v1, s34
	s_mul_i32 s3, s6, s28
	s_mul_i32 s33, s3, s5
	v_cmp_gt_i32_e32 vcc, s33, v0
	v_rcp_iflag_f32_e32 v1, v1
	s_nop 0
	v_mul_f32_e32 v1, 0x4f7ffffe, v1
	v_cvt_u32_f32_e32 v1, v1
	s_nop 0
	v_readfirstlane_b32 s5, v1
	s_and_saveexec_b64 s[8:9], vcc
	s_cbranch_execz .LBB59_20
; %bb.1:
	s_sub_i32 s8, 0, s34
	s_mul_i32 s8, s8, s5
	s_mul_hi_u32 s8, s5, s8
	s_abs_i32 s58, s2
	s_add_i32 s5, s5, s8
	s_ashr_i32 s7, s2, 31
	s_ashr_i32 s35, s27, 31
	s_mul_hi_u32 s5, s58, s5
	s_xor_b32 s7, s7, s35
	s_mul_i32 s35, s5, s34
	s_sub_i32 s35, s58, s35
	s_add_i32 s58, s5, 1
	s_sub_i32 s59, s35, s34
	s_cmp_ge_u32 s35, s34
	s_cselect_b32 s5, s58, s5
	s_cselect_b32 s35, s59, s35
	s_add_i32 s58, s5, 1
	s_cmp_ge_u32 s35, s34
	s_cselect_b32 s5, s58, s5
	s_xor_b32 s5, s5, s7
	s_sub_i32 s5, s5, s7
	s_load_dwordx8 s[36:43], s[0:1], 0x0
	s_load_dwordx2 s[56:57], s[0:1], 0x20
	s_load_dwordx16 s[8:23], s[0:1], 0x28
	s_load_dwordx2 s[60:61], s[0:1], 0x98
	s_load_dwordx4 s[52:55], s[0:1], 0x88
	s_load_dwordx8 s[44:51], s[0:1], 0x68
	s_mul_i32 s7, s5, s27
	s_sub_i32 s2, s2, s7
	s_ashr_i32 s7, s5, 31
	s_waitcnt lgkmcnt(0)
	s_mul_i32 s27, s10, s7
	s_mul_hi_u32 s34, s10, s5
	s_add_i32 s27, s34, s27
	s_mul_i32 s11, s11, s5
	s_add_i32 s11, s27, s11
	s_mul_i32 s10, s10, s5
	s_lshl_b64 s[10:11], s[10:11], 1
	s_add_u32 s10, s36, s10
	s_mul_i32 s27, s46, s7
	s_mul_hi_u32 s34, s46, s5
	s_addc_u32 s11, s37, s11
	s_add_i32 s27, s34, s27
	s_mul_i32 s34, s47, s5
	s_add_i32 s35, s27, s34
	s_ashr_i32 s27, s2, 31
	s_mul_i32 s36, s44, s27
	s_mul_hi_u32 s37, s44, s2
	s_mul_i32 s34, s46, s5
	s_add_i32 s36, s37, s36
	s_mul_i32 s37, s45, s2
	s_add_i32 s37, s36, s37
	s_lshl_b64 s[34:35], s[34:35], 1
	s_mul_i32 s36, s44, s2
	s_add_u32 s38, s38, s34
	s_addc_u32 s39, s39, s35
	s_lshl_b64 s[34:35], s[36:37], 1
	s_add_u32 s34, s38, s34
	s_mul_i32 s7, s50, s7
	s_mul_hi_u32 s36, s50, s5
	s_addc_u32 s35, s39, s35
	s_add_i32 s7, s36, s7
	s_mul_i32 s36, s51, s5
	s_add_i32 s37, s7, s36
	s_mul_i32 s36, s50, s5
	s_mul_i32 s5, s48, s27
	s_mul_hi_u32 s7, s48, s2
	s_add_i32 s5, s7, s5
	s_mul_i32 s7, s49, s2
	s_add_i32 s39, s5, s7
	s_lshl_b64 s[36:37], s[36:37], 1
	s_mul_i32 s38, s48, s2
	s_add_u32 s2, s56, s36
	s_addc_u32 s5, s57, s37
	s_lshl_b64 s[36:37], s[38:39], 1
	s_add_u32 s44, s2, s36
	s_addc_u32 s45, s5, s37
	s_cmp_lt_i32 s26, 1
	s_cselect_b64 s[46:47], -1, 0
	s_cmp_gt_i32 s29, 0
	s_cselect_b64 s[48:49], -1, 0
	s_cmp_gt_i32 s30, 0
	s_cselect_b64 s[50:51], -1, 0
	s_abs_i32 s27, s28
	v_cvt_f32_u32_e32 v1, s27
	s_abs_i32 s65, s6
	v_cvt_f32_u32_e32 v2, s65
	s_abs_i32 s67, s3
	v_rcp_iflag_f32_e32 v1, v1
	v_cmp_neq_f64_e64 s[58:59], s[40:41], 1.0
	s_load_dwordx4 s[36:39], s[0:1], 0xc0
	s_load_dword s2, s[0:1], 0xec
	v_cmp_neq_f64_e64 s[0:1], s[42:43], 0
	v_mul_f32_e32 v1, 0x4f7ffffe, v1
	v_cvt_u32_f32_e32 v1, v1
	v_cvt_f32_u32_e32 v4, s67
	s_or_b64 s[58:59], s[58:59], s[0:1]
	s_sub_i32 s0, 0, s27
	v_mul_lo_u32 v3, s0, v1
	v_rcp_iflag_f32_e32 v2, v2
	v_mul_hi_u32 v3, v1, v3
	v_add_u32_e32 v12, v1, v3
	v_rcp_iflag_f32_e32 v1, v4
	v_mul_f32_e32 v2, 0x4f7ffffe, v2
	v_cvt_u32_f32_e32 v2, v2
	s_sub_i32 s0, 0, s65
	v_mul_f32_e32 v1, 0x4f7ffffe, v1
	v_cvt_u32_f32_e32 v1, v1
	v_mul_lo_u32 v3, s0, v2
	v_mul_hi_u32 v3, v2, v3
	s_sub_i32 s0, 0, s67
	v_add_u32_e32 v13, v2, v3
	v_mul_lo_u32 v2, s0, v1
	v_mul_hi_u32 v2, v1, v2
	s_mov_b64 s[56:57], 0
	s_waitcnt lgkmcnt(0)
	s_and_b32 s64, s2, 0xffff
	s_ashr_i32 s66, s28, 31
	s_ashr_i32 s68, s3, 31
	v_add_u32_e32 v14, v1, v2
	s_lshl_b64 s[6:7], s[60:61], 1
	s_lshl_b64 s[54:55], s[54:55], 1
	;; [unrolled: 1-line block ×3, first 2 shown]
	s_sub_i32 s69, 0, s4
	v_mov_b32_e32 v15, 0
	s_mov_b32 s70, 0x7f800000
	s_branch .LBB59_3
.LBB59_2:                               ;   in Loop: Header=BB59_3 Depth=1
	v_add_u32_e32 v0, s64, v0
	v_cmp_le_i32_e32 vcc, s33, v0
	s_or_b64 s[56:57], vcc, s[56:57]
	s_andn2_b64 exec, exec, s[56:57]
	s_cbranch_execz .LBB59_20
.LBB59_3:                               ; =>This Loop Header: Depth=1
                                        ;     Child Loop BB59_8 Depth 2
                                        ;       Child Loop BB59_11 Depth 3
                                        ;         Child Loop BB59_14 Depth 4
	v_sub_u32_e32 v2, 0, v0
	v_max_i32_e32 v7, v0, v2
	v_mul_hi_u32 v2, v7, v12
	v_mul_lo_u32 v3, v2, s27
	v_sub_u32_e32 v3, v7, v3
	v_add_u32_e32 v5, 1, v2
	v_cmp_le_u32_e32 vcc, s27, v3
	v_ashrrev_i32_e32 v4, 31, v0
	v_xor_b32_e32 v1, s66, v4
	v_cndmask_b32_e32 v2, v2, v5, vcc
	v_subrev_u32_e32 v5, s27, v3
	v_cndmask_b32_e32 v3, v3, v5, vcc
	v_add_u32_e32 v5, 1, v2
	v_cmp_le_u32_e32 vcc, s27, v3
	s_mov_b64 s[62:63], -1
                                        ; implicit-def: $sgpr60_sgpr61
	s_nop 0
	v_cndmask_b32_e32 v2, v2, v5, vcc
	v_xor_b32_e32 v2, v2, v1
	v_sub_u32_e32 v3, v2, v1
	v_mul_lo_u32 v1, v3, s28
	v_sub_u32_e32 v2, v0, v1
	v_sub_u32_e32 v1, 0, v3
	v_max_i32_e32 v1, v3, v1
	v_mul_hi_u32 v5, v1, v13
	v_mul_lo_u32 v5, v5, s65
	v_sub_u32_e32 v1, v1, v5
	v_subrev_u32_e32 v5, s65, v1
	v_cmp_le_u32_e32 vcc, s65, v1
	s_nop 1
	v_cndmask_b32_e32 v6, v1, v5, vcc
	v_mul_hi_u32 v5, v7, v14
	v_mul_lo_u32 v1, v5, s67
	v_sub_u32_e32 v1, v7, v1
	v_subrev_u32_e32 v7, s67, v1
	v_cmp_le_u32_e64 s[2:3], s67, v1
	v_cmp_le_u32_e64 s[0:1], s65, v6
	s_andn2_b64 vcc, exec, s[46:47]
	v_cndmask_b32_e64 v1, v1, v7, s[2:3]
	v_cmp_le_u32_e64 s[4:5], s67, v1
	v_ashrrev_i32_e32 v1, 31, v2
	s_cbranch_vccnz .LBB59_5
; %bb.4:                                ;   in Loop: Header=BB59_3 Depth=1
	s_mov_b64 s[62:63], 0
	s_mov_b64 s[60:61], 0
.LBB59_5:                               ;   in Loop: Header=BB59_3 Depth=1
	v_subrev_u32_e32 v7, s65, v6
	v_ashrrev_i32_e32 v3, 31, v3
	v_cndmask_b32_e64 v6, v6, v7, s[0:1]
	v_xor_b32_e32 v6, v6, v3
	v_sub_u32_e32 v3, v6, v3
	v_add_u32_e32 v6, 1, v5
	v_cndmask_b32_e64 v5, v5, v6, s[2:3]
	v_add_u32_e32 v6, 1, v5
	v_xor_b32_e32 v4, s68, v4
	v_cndmask_b32_e64 v5, v5, v6, s[4:5]
	v_xor_b32_e32 v5, v5, v4
	v_sub_u32_e32 v16, v5, v4
	s_andn2_b64 vcc, exec, s[62:63]
	v_mov_b64_e32 v[4:5], s[60:61]
	s_cbranch_vccnz .LBB59_16
; %bb.6:                                ;   in Loop: Header=BB59_3 Depth=1
	v_mul_lo_u32 v6, s9, v2
	v_mul_lo_u32 v7, s8, v1
	v_mad_u64_u32 v[4:5], s[0:1], s8, v2, 0
	v_mul_lo_u32 v8, v3, s38
	v_add3_u32 v5, v5, v7, v6
	v_mul_lo_u32 v17, v16, s37
	v_lshl_add_u64 v[6:7], v[4:5], 1, s[10:11]
	v_add_u32_e32 v18, s69, v8
	s_mov_b32 s71, 0
	v_mov_b64_e32 v[4:5], 0
	s_mov_b64 s[2:3], s[44:45]
	s_branch .LBB59_8
.LBB59_7:                               ;   in Loop: Header=BB59_8 Depth=2
	s_add_i32 s71, s71, 1
	s_add_u32 s2, s2, s6
	s_addc_u32 s3, s3, s7
	s_cmp_eq_u32 s71, s26
	s_cbranch_scc1 .LBB59_16
.LBB59_8:                               ;   Parent Loop BB59_3 Depth=1
                                        ; =>  This Loop Header: Depth=2
                                        ;       Child Loop BB59_11 Depth 3
                                        ;         Child Loop BB59_14 Depth 4
	s_andn2_b64 vcc, exec, s[48:49]
	s_cbranch_vccnz .LBB59_7
; %bb.9:                                ;   in Loop: Header=BB59_8 Depth=2
	s_mul_i32 s0, s17, s71
	s_mul_hi_u32 s1, s16, s71
	s_add_i32 s1, s1, s0
	s_mul_i32 s0, s16, s71
	v_lshl_add_u64 v[8:9], s[0:1], 1, v[6:7]
	s_mov_b32 s72, 0
	s_mov_b64 s[4:5], s[2:3]
	s_branch .LBB59_11
.LBB59_10:                              ;   in Loop: Header=BB59_11 Depth=3
	s_add_i32 s72, s72, 1
	s_add_u32 s4, s4, s54
	s_addc_u32 s5, s5, s55
	s_cmp_eq_u32 s72, s29
	s_cbranch_scc1 .LBB59_7
.LBB59_11:                              ;   Parent Loop BB59_3 Depth=1
                                        ;     Parent Loop BB59_8 Depth=2
                                        ; =>    This Loop Header: Depth=3
                                        ;         Child Loop BB59_14 Depth 4
	s_andn2_b64 vcc, exec, s[50:51]
	s_cbranch_vccnz .LBB59_10
; %bb.12:                               ;   in Loop: Header=BB59_11 Depth=3
	s_mul_i32 s0, s72, s31
	s_sub_i32 s0, s0, s39
	v_add_u32_e32 v19, s0, v17
	v_cmp_gt_i32_e32 vcc, 0, v19
	v_cmp_le_i32_e64 s[0:1], s24, v19
	s_or_b64 s[60:61], vcc, s[0:1]
	v_mad_u64_u32 v[10:11], s[0:1], s14, v19, 0
	v_mov_b32_e32 v20, v11
	v_mad_u64_u32 v[20:21], s[0:1], s15, v19, v[20:21]
	v_mov_b32_e32 v11, v20
	v_lshl_add_u64 v[10:11], v[10:11], 1, v[8:9]
	v_mov_b32_e32 v19, v18
	s_mov_b64 s[62:63], s[4:5]
	s_mov_b32 s73, s30
	s_branch .LBB59_14
.LBB59_13:                              ;   in Loop: Header=BB59_14 Depth=4
	s_or_b64 exec, exec, s[0:1]
	s_add_i32 s73, s73, -1
	s_add_u32 s62, s62, s52
	s_addc_u32 s63, s63, s53
	s_cmp_eq_u32 s73, 0
	v_add_u32_e32 v19, s36, v19
	s_cbranch_scc1 .LBB59_10
.LBB59_14:                              ;   Parent Loop BB59_3 Depth=1
                                        ;     Parent Loop BB59_8 Depth=2
                                        ;       Parent Loop BB59_11 Depth=3
                                        ; =>      This Inner Loop Header: Depth=4
	v_cmp_gt_i32_e32 vcc, 0, v19
	v_cmp_le_i32_e64 s[0:1], s25, v19
	s_or_b64 s[0:1], vcc, s[0:1]
	s_or_b64 s[0:1], s[60:61], s[0:1]
	s_xor_b64 s[74:75], s[0:1], -1
	s_and_saveexec_b64 s[0:1], s[74:75]
	s_cbranch_execz .LBB59_13
; %bb.15:                               ;   in Loop: Header=BB59_14 Depth=4
	v_mad_u64_u32 v[20:21], s[74:75], s12, v19, 0
	v_mov_b32_e32 v22, v21
	v_mad_u64_u32 v[22:23], s[74:75], s13, v19, v[22:23]
	v_mov_b32_e32 v21, v22
	v_lshl_add_u64 v[20:21], v[20:21], 1, v[10:11]
	global_load_ushort v22, v15, s[62:63]
	s_nop 0
	global_load_ushort v20, v[20:21], off
	s_waitcnt vmcnt(1)
	v_lshlrev_b32_e32 v22, 16, v22
	s_waitcnt vmcnt(0)
	v_lshlrev_b32_e32 v20, 16, v20
	v_cvt_f64_f32_e32 v[20:21], v20
	v_cvt_f64_f32_e32 v[22:23], v22
	v_fmac_f64_e32 v[4:5], v[20:21], v[22:23]
	s_branch .LBB59_13
.LBB59_16:                              ;   in Loop: Header=BB59_3 Depth=1
	v_ashrrev_i32_e32 v6, 31, v3
	v_mul_lo_u32 v9, s21, v3
	v_mul_lo_u32 v10, s20, v6
	v_mad_u64_u32 v[6:7], s[0:1], s20, v3, 0
	v_ashrrev_i32_e32 v8, 31, v16
	v_add3_u32 v7, v7, v10, v9
	v_mad_u64_u32 v[6:7], s[0:1], s22, v16, v[6:7]
	v_mul_lo_u32 v3, s23, v16
	v_mul_lo_u32 v8, s22, v8
	v_add3_u32 v7, v3, v7, v8
	v_mad_u64_u32 v[6:7], s[0:1], v2, s18, v[6:7]
	v_mul_lo_u32 v2, v2, s19
	v_mul_lo_u32 v1, v1, s18
	v_add3_u32 v7, v1, v7, v2
	s_mov_b64 s[0:1], -1
	s_and_b64 vcc, exec, s[58:59]
	v_lshl_add_u64 v[2:3], v[6:7], 1, s[34:35]
	s_cbranch_vccz .LBB59_18
; %bb.17:                               ;   in Loop: Header=BB59_3 Depth=1
	global_load_ushort v1, v[2:3], off
	s_waitcnt vmcnt(0)
	v_lshlrev_b32_e32 v1, 16, v1
	v_cvt_f64_f32_e32 v[6:7], v1
	v_mul_f64 v[6:7], v[6:7], s[42:43]
	v_fmac_f64_e32 v[6:7], s[40:41], v[4:5]
	v_cvt_f32_f64_e32 v1, v[6:7]
	v_and_b32_e32 v6, 0x7f800000, v1
	v_cmp_ne_u32_sdwa s[0:1], v1, v15 src0_sel:WORD_0 src1_sel:DWORD
	v_cmp_eq_u32_e32 vcc, s70, v6
	s_and_b64 s[0:1], vcc, s[0:1]
	v_cndmask_b32_e64 v6, 0, 1, s[0:1]
	v_or_b32_sdwa v1, v1, v6 dst_sel:DWORD dst_unused:UNUSED_PAD src0_sel:WORD_1 src1_sel:DWORD
	global_store_short v[2:3], v1, off
	s_mov_b64 s[0:1], 0
.LBB59_18:                              ;   in Loop: Header=BB59_3 Depth=1
	s_andn2_b64 vcc, exec, s[0:1]
	s_cbranch_vccnz .LBB59_2
; %bb.19:                               ;   in Loop: Header=BB59_3 Depth=1
	v_cvt_f32_f64_e32 v1, v[4:5]
	v_and_b32_e32 v4, 0x7f800000, v1
	v_cmp_eq_u32_e32 vcc, s70, v4
	v_cmp_ne_u32_sdwa s[0:1], v1, v15 src0_sel:WORD_0 src1_sel:DWORD
	s_and_b64 s[0:1], vcc, s[0:1]
	s_nop 0
	v_cndmask_b32_e64 v4, 0, 1, s[0:1]
	v_or_b32_sdwa v1, v1, v4 dst_sel:DWORD dst_unused:UNUSED_PAD src0_sel:WORD_1 src1_sel:DWORD
	global_store_short v[2:3], v1, off
	s_branch .LBB59_2
.LBB59_20:
	s_endpgm
	.section	.rodata,"a",@progbits
	.p2align	6, 0x0
	.amdhsa_kernel naive_conv_ab_nonpacked_wrw_nhwc_ushort_double_ushort_0
		.amdhsa_group_segment_fixed_size 0
		.amdhsa_private_segment_fixed_size 0
		.amdhsa_kernarg_size 480
		.amdhsa_user_sgpr_count 2
		.amdhsa_user_sgpr_dispatch_ptr 0
		.amdhsa_user_sgpr_queue_ptr 0
		.amdhsa_user_sgpr_kernarg_segment_ptr 1
		.amdhsa_user_sgpr_dispatch_id 0
		.amdhsa_user_sgpr_kernarg_preload_length 0
		.amdhsa_user_sgpr_kernarg_preload_offset 0
		.amdhsa_user_sgpr_private_segment_size 0
		.amdhsa_uses_dynamic_stack 0
		.amdhsa_enable_private_segment 0
		.amdhsa_system_sgpr_workgroup_id_x 1
		.amdhsa_system_sgpr_workgroup_id_y 0
		.amdhsa_system_sgpr_workgroup_id_z 0
		.amdhsa_system_sgpr_workgroup_info 0
		.amdhsa_system_vgpr_workitem_id 0
		.amdhsa_next_free_vgpr 24
		.amdhsa_next_free_sgpr 76
		.amdhsa_accum_offset 24
		.amdhsa_reserve_vcc 1
		.amdhsa_float_round_mode_32 0
		.amdhsa_float_round_mode_16_64 0
		.amdhsa_float_denorm_mode_32 3
		.amdhsa_float_denorm_mode_16_64 3
		.amdhsa_dx10_clamp 1
		.amdhsa_ieee_mode 1
		.amdhsa_fp16_overflow 0
		.amdhsa_tg_split 0
		.amdhsa_exception_fp_ieee_invalid_op 0
		.amdhsa_exception_fp_denorm_src 0
		.amdhsa_exception_fp_ieee_div_zero 0
		.amdhsa_exception_fp_ieee_overflow 0
		.amdhsa_exception_fp_ieee_underflow 0
		.amdhsa_exception_fp_ieee_inexact 0
		.amdhsa_exception_int_div_zero 0
	.end_amdhsa_kernel
	.text
.Lfunc_end59:
	.size	naive_conv_ab_nonpacked_wrw_nhwc_ushort_double_ushort_0, .Lfunc_end59-naive_conv_ab_nonpacked_wrw_nhwc_ushort_double_ushort_0
                                        ; -- End function
	.section	.AMDGPU.csdata,"",@progbits
; Kernel info:
; codeLenInByte = 1648
; NumSgprs: 82
; NumVgprs: 24
; NumAgprs: 0
; TotalNumVgprs: 24
; ScratchSize: 0
; MemoryBound: 0
; FloatMode: 240
; IeeeMode: 1
; LDSByteSize: 0 bytes/workgroup (compile time only)
; SGPRBlocks: 10
; VGPRBlocks: 2
; NumSGPRsForWavesPerEU: 82
; NumVGPRsForWavesPerEU: 24
; AccumOffset: 24
; Occupancy: 8
; WaveLimiterHint : 0
; COMPUTE_PGM_RSRC2:SCRATCH_EN: 0
; COMPUTE_PGM_RSRC2:USER_SGPR: 2
; COMPUTE_PGM_RSRC2:TRAP_HANDLER: 0
; COMPUTE_PGM_RSRC2:TGID_X_EN: 1
; COMPUTE_PGM_RSRC2:TGID_Y_EN: 0
; COMPUTE_PGM_RSRC2:TGID_Z_EN: 0
; COMPUTE_PGM_RSRC2:TIDIG_COMP_CNT: 0
; COMPUTE_PGM_RSRC3_GFX90A:ACCUM_OFFSET: 5
; COMPUTE_PGM_RSRC3_GFX90A:TG_SPLIT: 0
	.text
	.protected	naive_conv_ab_packed_fwd_ncdhw_float_double_float_0 ; -- Begin function naive_conv_ab_packed_fwd_ncdhw_float_double_float_0
	.globl	naive_conv_ab_packed_fwd_ncdhw_float_double_float_0
	.p2align	8
	.type	naive_conv_ab_packed_fwd_ncdhw_float_double_float_0,@function
naive_conv_ab_packed_fwd_ncdhw_float_double_float_0: ; @naive_conv_ab_packed_fwd_ncdhw_float_double_float_0
; %bb.0:
	s_load_dwordx16 s[4:19], s[0:1], 0xb8
	s_abs_i32 s3, s2
	s_waitcnt lgkmcnt(0)
	s_abs_i32 s20, s8
	v_cvt_f32_u32_e32 v1, s20
	s_sub_i32 s21, 0, s20
	s_mul_i32 s28, s8, s7
	s_mul_i32 s46, s12, s11
	v_rcp_iflag_f32_e32 v1, v1
	s_nop 0
	v_mul_f32_e32 v1, 0x4f7ffffe, v1
	v_cvt_u32_f32_e32 v1, v1
	s_nop 0
	v_readfirstlane_b32 s22, v1
	s_mul_i32 s21, s21, s22
	s_mul_hi_u32 s21, s22, s21
	s_add_i32 s22, s22, s21
	s_mul_hi_u32 s21, s3, s22
	s_mul_i32 s22, s21, s20
	s_sub_i32 s22, s3, s22
	s_add_i32 s23, s21, 1
	s_sub_i32 s24, s22, s20
	s_cmp_ge_u32 s22, s20
	s_cselect_b32 s21, s23, s21
	s_cselect_b32 s22, s24, s22
	s_add_i32 s23, s21, 1
	s_cmp_ge_u32 s22, s20
	s_cselect_b32 s29, s23, s21
	s_abs_i32 s38, s7
	s_abs_i32 s33, s28
	v_cvt_f32_u32_e32 v1, s38
	v_cvt_f32_u32_e32 v2, s33
	s_mul_i32 s7, s46, s10
	v_cmp_gt_i32_e32 vcc, s7, v0
	v_rcp_iflag_f32_e32 v1, v1
	v_rcp_iflag_f32_e32 v2, v2
	v_mul_f32_e32 v1, 0x4f7ffffe, v1
	v_mul_f32_e32 v2, 0x4f7ffffe, v2
	v_cvt_u32_f32_e32 v1, v1
	v_cvt_u32_f32_e32 v2, v2
	v_readfirstlane_b32 s31, v1
	v_readfirstlane_b32 s30, v2
	s_and_saveexec_b64 s[20:21], vcc
	s_cbranch_execz .LBB60_20
; %bb.1:
	s_ashr_i32 s39, s2, 31
	s_ashr_i32 s34, s8, 31
	s_xor_b32 s34, s39, s34
	s_xor_b32 s29, s29, s34
	s_sub_i32 s40, s29, s34
	s_sub_i32 s29, 0, s38
	s_mul_i32 s29, s29, s31
	s_mul_hi_u32 s29, s31, s29
	s_ashr_i32 s44, s28, 31
	s_sub_i32 s28, 0, s33
	s_abs_i32 s42, s40
	s_add_i32 s31, s31, s29
	s_mul_i32 s28, s28, s30
	s_mul_hi_u32 s43, s42, s31
	s_mul_hi_u32 s28, s30, s28
	s_add_i32 s30, s30, s28
	s_mul_i32 s43, s43, s38
	s_load_dwordx8 s[20:27], s[0:1], 0x0
	s_ashr_i32 s41, s40, 31
	s_load_dwordx2 s[34:35], s[0:1], 0x108
	s_mul_hi_u32 s45, s3, s30
	s_load_dwordx2 s[36:37], s[0:1], 0x20
	s_load_dwordx4 s[28:31], s[0:1], 0xf8
	s_load_dword s47, s[0:1], 0x11c
	s_mul_i32 s40, s40, s8
	s_sub_i32 s1, s42, s43
	s_sub_i32 s40, s2, s40
	;; [unrolled: 1-line block ×3, first 2 shown]
	s_cmp_ge_u32 s1, s38
	s_cselect_b32 s1, s2, s1
	s_sub_i32 s2, s1, s38
	s_cmp_ge_u32 s1, s38
	s_cselect_b32 s1, s2, s1
	s_mul_i32 s2, s45, s33
	s_xor_b32 s1, s1, s41
	s_sub_i32 s2, s3, s2
	s_waitcnt lgkmcnt(0)
	s_mul_i32 s48, s35, s8
	s_mul_i32 s0, s35, s9
	s_sub_i32 s38, s1, s41
	s_xor_b32 s1, s39, s44
	s_add_i32 s3, s45, 1
	s_sub_i32 s35, s2, s33
	s_cmp_ge_u32 s2, s33
	s_cselect_b32 s3, s3, s45
	s_cselect_b32 s2, s35, s2
	s_add_i32 s35, s3, 1
	s_cmp_ge_u32 s2, s33
	s_cselect_b32 s2, s35, s3
	s_xor_b32 s2, s2, s1
	s_sub_i32 s35, s2, s1
	s_mul_hi_i32 s1, s38, s0
	s_mul_i32 s0, s38, s0
	s_ashr_i32 s33, s4, 31
	s_ashr_i32 s63, s5, 31
	;; [unrolled: 1-line block ×4, first 2 shown]
	s_mul_i32 s3, s35, s9
	s_mul_hi_i32 s2, s35, s9
	s_add_u32 s0, s3, s0
	s_mul_i32 s3, s5, s4
	s_mov_b32 s62, s4
	s_mov_b32 s64, s5
	s_addc_u32 s1, s2, s1
	s_mul_hi_i32 s2, s5, s4
	s_mul_i32 s4, s3, s65
	s_mul_hi_u32 s5, s3, s6
	s_add_i32 s4, s5, s4
	s_mul_i32 s2, s2, s6
	s_mul_i32 s3, s3, s6
	s_add_i32 s2, s4, s2
	s_mul_i32 s1, s3, s1
	s_mul_hi_u32 s4, s3, s0
	s_add_i32 s1, s4, s1
	s_mul_i32 s2, s2, s0
	s_add_i32 s1, s1, s2
	s_mul_i32 s0, s3, s0
	s_lshl_b64 s[0:1], s[0:1], 2
	s_add_u32 s2, s20, s0
	s_addc_u32 s3, s21, s1
	s_mul_hi_i32 s0, s35, s8
	s_mul_i32 s1, s35, s8
	s_ashr_i32 s8, s30, 31
	s_ashr_i32 s35, s34, 31
	;; [unrolled: 1-line block ×3, first 2 shown]
	s_add_u32 s50, s1, s40
	s_addc_u32 s51, s0, s4
	s_mul_hi_i32 s0, s38, s48
	s_mul_i32 s38, s38, s48
	s_ashr_i32 s68, s12, 31
	s_mul_i32 s5, s11, s10
	s_add_u32 s4, s50, s38
	s_mul_hi_i32 s1, s11, s10
	s_mul_i32 s10, s5, s68
	s_mul_hi_u32 s20, s5, s12
	s_addc_u32 s0, s51, s0
	s_add_i32 s10, s20, s10
	s_mul_i32 s1, s1, s12
	s_mul_i32 s5, s5, s12
	s_add_i32 s1, s10, s1
	s_mul_i32 s0, s5, s0
	s_mul_hi_u32 s10, s5, s4
	s_add_i32 s0, s10, s0
	s_mul_i32 s1, s1, s4
	s_add_i32 s1, s0, s1
	s_mul_i32 s0, s5, s4
	s_lshl_b64 s[0:1], s[0:1], 2
	s_add_u32 s4, s36, s0
	s_addc_u32 s5, s37, s1
	s_cmp_gt_i32 s9, 0
	s_cselect_b64 s[20:21], -1, 0
	s_cmp_gt_i32 s30, 0
	s_cselect_b64 s[36:37], -1, 0
	;; [unrolled: 2-line block ×4, first 2 shown]
	s_abs_i32 s69, s12
	v_cvt_f32_u32_e32 v1, s69
	s_abs_i32 s71, s11
	v_cvt_f32_u32_e32 v2, s71
	s_abs_i32 s73, s46
	v_rcp_iflag_f32_e32 v1, v1
	v_cmp_neq_f64_e64 s[0:1], s[24:25], 1.0
	v_cmp_neq_f64_e64 s[44:45], s[26:27], 0
	v_cvt_f32_u32_e32 v4, s73
	v_mul_f32_e32 v1, 0x4f7ffffe, v1
	v_cvt_u32_f32_e32 v1, v1
	s_or_b64 s[44:45], s[0:1], s[44:45]
	s_sub_i32 s0, 0, s69
	v_rcp_iflag_f32_e32 v2, v2
	v_mul_lo_u32 v3, s0, v1
	v_mul_hi_u32 v3, v1, v3
	v_add_u32_e32 v1, v1, v3
	v_rcp_iflag_f32_e32 v3, v4
	v_mul_f32_e32 v2, 0x4f7ffffe, v2
	v_cvt_u32_f32_e32 v2, v2
	s_sub_i32 s0, 0, s71
	v_mul_f32_e32 v3, 0x4f7ffffe, v3
	v_cvt_u32_f32_e32 v3, v3
	v_mul_lo_u32 v4, s0, v2
	v_mul_hi_u32 v4, v2, v4
	s_sub_i32 s0, 0, s73
	v_add_u32_e32 v14, v2, v4
	v_mul_lo_u32 v2, s0, v3
	s_mul_i32 s0, s34, s31
	s_mul_i32 s10, s0, s30
	s_mov_b32 s70, s11
	s_mul_i32 s1, s10, s51
	s_mul_hi_u32 s11, s10, s50
	s_ashr_i32 s74, s46, 31
	s_add_i32 s46, s11, s1
	s_mul_hi_i32 s1, s34, s31
	s_mul_i32 s8, s0, s8
	s_mul_hi_u32 s11, s0, s30
	s_add_i32 s8, s11, s8
	s_mul_i32 s11, s1, s30
	s_add_i32 s11, s8, s11
	s_mov_b32 s67, s31
	s_mul_i32 s8, s11, s50
	s_mul_i32 s31, s10, s50
	s_and_b32 s72, s47, 0xffff
	s_add_i32 s8, s46, s8
	s_mul_i32 s46, s31, s49
	s_mul_hi_u32 s47, s31, s9
	s_add_i32 s46, s47, s46
	s_mul_i32 s8, s8, s9
	s_add_i32 s47, s46, s8
	s_mul_i32 s46, s31, s9
	s_mov_b32 s66, s9
	s_lshl_b64 s[8:9], s[46:47], 2
	v_mul_hi_u32 v2, v3, v2
	s_add_u32 s8, s22, s8
	s_mov_b64 s[42:43], 0
	v_add_u32_e32 v15, v3, v2
	s_addc_u32 s9, s23, s9
	s_lshl_b64 s[10:11], s[10:11], 2
	s_lshl_b64 s[22:23], s[0:1], 2
	s_lshl_b64 s[46:47], s[34:35], 2
	v_mov_b32_e32 v3, 0
	s_branch .LBB60_3
.LBB60_2:                               ;   in Loop: Header=BB60_3 Depth=1
	v_add_u32_e32 v0, s72, v0
	v_cmp_le_i32_e32 vcc, s7, v0
	v_cvt_f32_f64_e32 v2, v[8:9]
	s_or_b64 s[42:43], vcc, s[42:43]
	global_store_dword v[4:5], v2, off
	s_andn2_b64 exec, exec, s[42:43]
	s_cbranch_execz .LBB60_20
.LBB60_3:                               ; =>This Loop Header: Depth=1
                                        ;     Child Loop BB60_6 Depth 2
                                        ;       Child Loop BB60_9 Depth 3
                                        ;         Child Loop BB60_12 Depth 4
                                        ;           Child Loop BB60_15 Depth 5
	v_sub_u32_e32 v5, 0, v0
	v_max_i32_e32 v5, v0, v5
	v_mul_hi_u32 v6, v5, v1
	v_mul_lo_u32 v7, v6, s69
	v_sub_u32_e32 v7, v5, v7
	v_add_u32_e32 v8, 1, v6
	v_cmp_le_u32_e32 vcc, s69, v7
	v_ashrrev_i32_e32 v2, 31, v0
	v_xor_b32_e32 v4, s68, v2
	v_cndmask_b32_e32 v6, v6, v8, vcc
	v_subrev_u32_e32 v8, s69, v7
	v_cndmask_b32_e32 v7, v7, v8, vcc
	v_add_u32_e32 v8, 1, v6
	v_cmp_le_u32_e32 vcc, s69, v7
	v_xor_b32_e32 v2, s74, v2
	s_nop 0
	v_cndmask_b32_e32 v6, v6, v8, vcc
	v_xor_b32_e32 v6, v6, v4
	v_sub_u32_e32 v6, v6, v4
	v_sub_u32_e32 v8, 0, v6
	v_mul_lo_u32 v4, v6, s12
	v_ashrrev_i32_e32 v7, 31, v6
	v_max_i32_e32 v6, v6, v8
	v_mul_hi_u32 v8, v6, v14
	v_mul_lo_u32 v8, v8, s71
	v_sub_u32_e32 v6, v6, v8
	v_subrev_u32_e32 v8, s71, v6
	v_cmp_le_u32_e32 vcc, s71, v6
	v_sub_u32_e32 v4, v0, v4
	s_nop 0
	v_cndmask_b32_e32 v6, v6, v8, vcc
	v_subrev_u32_e32 v8, s71, v6
	v_cmp_le_u32_e32 vcc, s71, v6
	s_nop 1
	v_cndmask_b32_e32 v6, v6, v8, vcc
	v_xor_b32_e32 v6, v6, v7
	v_sub_u32_e32 v6, v6, v7
	v_mul_hi_u32 v7, v5, v15
	v_mul_lo_u32 v8, v7, s73
	v_sub_u32_e32 v5, v5, v8
	v_add_u32_e32 v8, 1, v7
	v_cmp_le_u32_e32 vcc, s73, v5
	s_nop 1
	v_cndmask_b32_e32 v7, v7, v8, vcc
	v_subrev_u32_e32 v8, s73, v5
	v_cndmask_b32_e32 v5, v5, v8, vcc
	v_add_u32_e32 v8, 1, v7
	v_cmp_le_u32_e32 vcc, s73, v5
	s_nop 1
	v_cndmask_b32_e32 v5, v7, v8, vcc
	v_xor_b32_e32 v5, v5, v2
	s_andn2_b64 vcc, exec, s[20:21]
	v_sub_u32_e32 v5, v5, v2
	s_cbranch_vccnz .LBB60_17
; %bb.4:                                ;   in Loop: Header=BB60_3 Depth=1
	v_mul_lo_u32 v2, v5, s13
	v_subrev_u32_e32 v7, s19, v2
	v_mul_lo_u32 v2, v6, s14
	v_subrev_u32_e32 v16, s28, v2
	;; [unrolled: 2-line block ×3, first 2 shown]
	s_mov_b32 s31, 0
	v_mov_b64_e32 v[8:9], 0
	s_mov_b64 s[48:49], s[8:9]
	s_branch .LBB60_6
.LBB60_5:                               ;   in Loop: Header=BB60_6 Depth=2
	s_add_i32 s31, s31, 1
	s_add_u32 s48, s48, s10
	s_addc_u32 s49, s49, s11
	s_cmp_eq_u32 s31, s66
	s_cbranch_scc1 .LBB60_18
.LBB60_6:                               ;   Parent Loop BB60_3 Depth=1
                                        ; =>  This Loop Header: Depth=2
                                        ;       Child Loop BB60_9 Depth 3
                                        ;         Child Loop BB60_12 Depth 4
                                        ;           Child Loop BB60_15 Depth 5
	s_andn2_b64 vcc, exec, s[36:37]
	s_cbranch_vccnz .LBB60_5
; %bb.7:                                ;   in Loop: Header=BB60_6 Depth=2
	s_mul_i32 s0, s31, s33
	s_mul_hi_u32 s1, s31, s62
	s_add_i32 s51, s1, s0
	s_mul_i32 s50, s31, s62
	s_mov_b32 s35, 0
	s_mov_b64 s[52:53], s[48:49]
	s_branch .LBB60_9
.LBB60_8:                               ;   in Loop: Header=BB60_9 Depth=3
	s_add_i32 s35, s35, 1
	s_add_u32 s52, s52, s22
	s_addc_u32 s53, s53, s23
	s_cmp_eq_u32 s35, s30
	s_cbranch_scc1 .LBB60_5
.LBB60_9:                               ;   Parent Loop BB60_3 Depth=1
                                        ;     Parent Loop BB60_6 Depth=2
                                        ; =>    This Loop Header: Depth=3
                                        ;         Child Loop BB60_12 Depth 4
                                        ;           Child Loop BB60_15 Depth 5
	s_andn2_b64 vcc, exec, s[38:39]
	s_cbranch_vccnz .LBB60_8
; %bb.10:                               ;   in Loop: Header=BB60_9 Depth=3
	s_mul_i32 s0, s35, s16
	v_add_u32_e32 v2, s0, v7
	v_cmp_gt_i32_e32 vcc, 0, v2
	v_cmp_le_i32_e64 s[0:1], s62, v2
	v_lshl_add_u64 v[10:11], s[50:51], 0, v[2:3]
	s_or_b64 s[54:55], vcc, s[0:1]
	v_mul_lo_u32 v2, v11, s64
	v_mul_lo_u32 v12, v10, s63
	v_mad_u64_u32 v[10:11], s[0:1], v10, s64, 0
	s_mov_b32 s75, 0
	v_add3_u32 v11, v11, v12, v2
	s_mov_b64 s[56:57], s[52:53]
	s_branch .LBB60_12
.LBB60_11:                              ;   in Loop: Header=BB60_12 Depth=4
	s_add_i32 s75, s75, 1
	s_add_u32 s56, s56, s46
	s_addc_u32 s57, s57, s47
	s_cmp_eq_u32 s75, s67
	s_cbranch_scc1 .LBB60_8
.LBB60_12:                              ;   Parent Loop BB60_3 Depth=1
                                        ;     Parent Loop BB60_6 Depth=2
                                        ;       Parent Loop BB60_9 Depth=3
                                        ; =>      This Loop Header: Depth=4
                                        ;           Child Loop BB60_15 Depth 5
	s_andn2_b64 vcc, exec, s[40:41]
	s_cbranch_vccnz .LBB60_11
; %bb.13:                               ;   in Loop: Header=BB60_12 Depth=4
	s_mul_i32 s0, s75, s17
	v_add_u32_e32 v2, s0, v16
	v_cmp_gt_i32_e32 vcc, 0, v2
	v_cmp_le_i32_e64 s[0:1], s64, v2
	v_lshl_add_u64 v[12:13], v[10:11], 0, v[2:3]
	s_or_b64 s[58:59], vcc, s[0:1]
	v_mul_lo_u32 v2, v13, s6
	v_mul_lo_u32 v18, v12, s65
	v_mad_u64_u32 v[12:13], s[0:1], v12, s6, 0
	v_add3_u32 v13, v13, v18, v2
	v_lshl_add_u64 v[12:13], v[12:13], 2, s[2:3]
	v_mov_b32_e32 v2, v17
	s_mov_b64 s[60:61], s[56:57]
	s_mov_b32 s76, s34
	s_branch .LBB60_15
.LBB60_14:                              ;   in Loop: Header=BB60_15 Depth=5
	s_or_b64 exec, exec, s[0:1]
	s_add_i32 s76, s76, -1
	s_add_u32 s60, s60, 4
	s_addc_u32 s61, s61, 0
	s_cmp_eq_u32 s76, 0
	v_add_u32_e32 v2, s18, v2
	s_cbranch_scc1 .LBB60_11
.LBB60_15:                              ;   Parent Loop BB60_3 Depth=1
                                        ;     Parent Loop BB60_6 Depth=2
                                        ;       Parent Loop BB60_9 Depth=3
                                        ;         Parent Loop BB60_12 Depth=4
                                        ; =>        This Inner Loop Header: Depth=5
	v_cmp_gt_i32_e32 vcc, 0, v2
	v_cmp_le_i32_e64 s[0:1], s6, v2
	s_or_b64 s[0:1], vcc, s[0:1]
	s_or_b64 s[0:1], s[54:55], s[0:1]
	s_or_b64 s[0:1], s[58:59], s[0:1]
	s_xor_b64 s[78:79], s[0:1], -1
	s_and_saveexec_b64 s[0:1], s[78:79]
	s_cbranch_execz .LBB60_14
; %bb.16:                               ;   in Loop: Header=BB60_15 Depth=5
	v_lshl_add_u64 v[18:19], v[2:3], 2, v[12:13]
	global_load_dword v18, v[18:19], off
	s_load_dword s77, s[60:61], 0x0
	s_waitcnt lgkmcnt(0)
	v_cvt_f64_f32_e32 v[20:21], s77
	s_waitcnt vmcnt(0)
	v_cvt_f64_f32_e32 v[18:19], v18
	v_fmac_f64_e32 v[8:9], v[18:19], v[20:21]
	s_branch .LBB60_14
.LBB60_17:                              ;   in Loop: Header=BB60_3 Depth=1
	v_mov_b64_e32 v[8:9], 0
.LBB60_18:                              ;   in Loop: Header=BB60_3 Depth=1
	v_ashrrev_i32_e32 v7, 31, v6
	v_mad_i64_i32 v[6:7], s[0:1], v5, s70, v[6:7]
	v_mul_lo_u32 v2, v7, s12
	v_mul_lo_u32 v5, v6, s68
	v_mad_u64_u32 v[6:7], s[0:1], v6, s12, 0
	v_add3_u32 v7, v7, v5, v2
	v_ashrrev_i32_e32 v5, 31, v4
	v_lshl_add_u64 v[6:7], v[6:7], 2, s[4:5]
	s_andn2_b64 vcc, exec, s[44:45]
	v_lshl_add_u64 v[4:5], v[4:5], 2, v[6:7]
	s_cbranch_vccnz .LBB60_2
; %bb.19:                               ;   in Loop: Header=BB60_3 Depth=1
	global_load_dword v2, v[4:5], off
	s_waitcnt vmcnt(0)
	v_cvt_f64_f32_e32 v[6:7], v2
	v_mul_f64 v[6:7], v[6:7], s[26:27]
	v_fmac_f64_e32 v[6:7], s[24:25], v[8:9]
	v_mov_b64_e32 v[8:9], v[6:7]
	s_branch .LBB60_2
.LBB60_20:
	s_endpgm
	.section	.rodata,"a",@progbits
	.p2align	6, 0x0
	.amdhsa_kernel naive_conv_ab_packed_fwd_ncdhw_float_double_float_0
		.amdhsa_group_segment_fixed_size 0
		.amdhsa_private_segment_fixed_size 0
		.amdhsa_kernarg_size 528
		.amdhsa_user_sgpr_count 2
		.amdhsa_user_sgpr_dispatch_ptr 0
		.amdhsa_user_sgpr_queue_ptr 0
		.amdhsa_user_sgpr_kernarg_segment_ptr 1
		.amdhsa_user_sgpr_dispatch_id 0
		.amdhsa_user_sgpr_kernarg_preload_length 0
		.amdhsa_user_sgpr_kernarg_preload_offset 0
		.amdhsa_user_sgpr_private_segment_size 0
		.amdhsa_uses_dynamic_stack 0
		.amdhsa_enable_private_segment 0
		.amdhsa_system_sgpr_workgroup_id_x 1
		.amdhsa_system_sgpr_workgroup_id_y 0
		.amdhsa_system_sgpr_workgroup_id_z 0
		.amdhsa_system_sgpr_workgroup_info 0
		.amdhsa_system_vgpr_workitem_id 0
		.amdhsa_next_free_vgpr 22
		.amdhsa_next_free_sgpr 80
		.amdhsa_accum_offset 24
		.amdhsa_reserve_vcc 1
		.amdhsa_float_round_mode_32 0
		.amdhsa_float_round_mode_16_64 0
		.amdhsa_float_denorm_mode_32 3
		.amdhsa_float_denorm_mode_16_64 3
		.amdhsa_dx10_clamp 1
		.amdhsa_ieee_mode 1
		.amdhsa_fp16_overflow 0
		.amdhsa_tg_split 0
		.amdhsa_exception_fp_ieee_invalid_op 0
		.amdhsa_exception_fp_denorm_src 0
		.amdhsa_exception_fp_ieee_div_zero 0
		.amdhsa_exception_fp_ieee_overflow 0
		.amdhsa_exception_fp_ieee_underflow 0
		.amdhsa_exception_fp_ieee_inexact 0
		.amdhsa_exception_int_div_zero 0
	.end_amdhsa_kernel
	.text
.Lfunc_end60:
	.size	naive_conv_ab_packed_fwd_ncdhw_float_double_float_0, .Lfunc_end60-naive_conv_ab_packed_fwd_ncdhw_float_double_float_0
                                        ; -- End function
	.section	.AMDGPU.csdata,"",@progbits
; Kernel info:
; codeLenInByte = 1816
; NumSgprs: 86
; NumVgprs: 22
; NumAgprs: 0
; TotalNumVgprs: 22
; ScratchSize: 0
; MemoryBound: 0
; FloatMode: 240
; IeeeMode: 1
; LDSByteSize: 0 bytes/workgroup (compile time only)
; SGPRBlocks: 10
; VGPRBlocks: 2
; NumSGPRsForWavesPerEU: 86
; NumVGPRsForWavesPerEU: 22
; AccumOffset: 24
; Occupancy: 8
; WaveLimiterHint : 1
; COMPUTE_PGM_RSRC2:SCRATCH_EN: 0
; COMPUTE_PGM_RSRC2:USER_SGPR: 2
; COMPUTE_PGM_RSRC2:TRAP_HANDLER: 0
; COMPUTE_PGM_RSRC2:TGID_X_EN: 1
; COMPUTE_PGM_RSRC2:TGID_Y_EN: 0
; COMPUTE_PGM_RSRC2:TGID_Z_EN: 0
; COMPUTE_PGM_RSRC2:TIDIG_COMP_CNT: 0
; COMPUTE_PGM_RSRC3_GFX90A:ACCUM_OFFSET: 5
; COMPUTE_PGM_RSRC3_GFX90A:TG_SPLIT: 0
	.text
	.protected	naive_conv_ab_nonpacked_fwd_ncdhw_float_double_float_0 ; -- Begin function naive_conv_ab_nonpacked_fwd_ncdhw_float_double_float_0
	.globl	naive_conv_ab_nonpacked_fwd_ncdhw_float_double_float_0
	.p2align	8
	.type	naive_conv_ab_nonpacked_fwd_ncdhw_float_double_float_0,@function
naive_conv_ab_nonpacked_fwd_ncdhw_float_double_float_0: ; @naive_conv_ab_nonpacked_fwd_ncdhw_float_double_float_0
; %bb.0:
	s_load_dwordx16 s[4:19], s[0:1], 0xb8
	s_abs_i32 s3, s2
	s_waitcnt lgkmcnt(0)
	s_abs_i32 s20, s8
	v_cvt_f32_u32_e32 v1, s20
	s_sub_i32 s21, 0, s20
	s_mul_i32 s28, s8, s7
	s_mul_i32 s68, s12, s11
	v_rcp_iflag_f32_e32 v1, v1
	s_nop 0
	v_mul_f32_e32 v1, 0x4f7ffffe, v1
	v_cvt_u32_f32_e32 v1, v1
	s_nop 0
	v_readfirstlane_b32 s22, v1
	s_mul_i32 s21, s21, s22
	s_mul_hi_u32 s21, s22, s21
	s_add_i32 s22, s22, s21
	s_mul_hi_u32 s21, s3, s22
	s_mul_i32 s22, s21, s20
	s_sub_i32 s22, s3, s22
	s_add_i32 s23, s21, 1
	s_sub_i32 s24, s22, s20
	s_cmp_ge_u32 s22, s20
	s_cselect_b32 s21, s23, s21
	s_cselect_b32 s22, s24, s22
	s_add_i32 s23, s21, 1
	s_cmp_ge_u32 s22, s20
	s_cselect_b32 s29, s23, s21
	s_abs_i32 s69, s7
	s_abs_i32 s33, s28
	v_cvt_f32_u32_e32 v1, s69
	v_cvt_f32_u32_e32 v2, s33
	s_mul_i32 s7, s68, s10
	v_cmp_gt_i32_e32 vcc, s7, v0
	v_rcp_iflag_f32_e32 v1, v1
	v_rcp_iflag_f32_e32 v2, v2
	v_mul_f32_e32 v1, 0x4f7ffffe, v1
	v_mul_f32_e32 v2, 0x4f7ffffe, v2
	v_cvt_u32_f32_e32 v1, v1
	v_cvt_u32_f32_e32 v2, v2
	v_readfirstlane_b32 s30, v1
	v_readfirstlane_b32 s10, v2
	s_and_saveexec_b64 s[20:21], vcc
	s_cbranch_execz .LBB61_20
; %bb.1:
	s_ashr_i32 s70, s2, 31
	s_ashr_i32 s31, s8, 31
	s_xor_b32 s31, s70, s31
	s_xor_b32 s29, s29, s31
	s_sub_i32 s71, s29, s31
	s_sub_i32 s29, 0, s69
	s_mul_i32 s29, s29, s30
	s_mul_hi_u32 s29, s30, s29
	s_abs_i32 s73, s71
	s_add_i32 s30, s30, s29
	s_mul_hi_u32 s74, s73, s30
	s_ashr_i32 s75, s28, 31
	s_sub_i32 s28, 0, s33
	s_ashr_i32 s72, s71, 31
	s_mul_i32 s28, s28, s10
	s_mul_i32 s71, s71, s8
	;; [unrolled: 1-line block ×3, first 2 shown]
	s_mul_hi_u32 s28, s10, s28
	s_sub_i32 s71, s2, s71
	s_sub_i32 s2, s73, s74
	s_add_i32 s10, s10, s28
	s_sub_i32 s8, s2, s69
	s_cmp_ge_u32 s2, s69
	s_cselect_b32 s2, s8, s2
	s_sub_i32 s8, s2, s69
	s_mul_hi_u32 s10, s3, s10
	s_cmp_ge_u32 s2, s69
	s_cselect_b32 s2, s8, s2
	s_mul_i32 s8, s10, s33
	s_xor_b32 s2, s2, s72
	s_sub_i32 s3, s3, s8
	s_sub_i32 s69, s2, s72
	s_xor_b32 s2, s70, s75
	s_add_i32 s8, s10, 1
	s_sub_i32 s70, s3, s33
	s_cmp_ge_u32 s3, s33
	s_cselect_b32 s8, s8, s10
	s_cselect_b32 s3, s70, s3
	s_add_i32 s10, s8, 1
	s_cmp_ge_u32 s3, s33
	s_load_dwordx8 s[20:27], s[0:1], 0x0
	s_load_dwordx2 s[34:35], s[0:1], 0x20
	s_load_dwordx16 s[36:51], s[0:1], 0x28
	s_load_dwordx16 s[52:67], s[0:1], 0x68
	s_load_dwordx4 s[28:31], s[0:1], 0xa8
	s_cselect_b32 s3, s10, s8
	s_xor_b32 s3, s3, s2
	s_sub_i32 s10, s3, s2
	s_ashr_i32 s70, s69, 31
	s_waitcnt lgkmcnt(0)
	s_mul_i32 s2, s46, s70
	s_mul_hi_u32 s3, s46, s69
	s_ashr_i32 s72, s10, 31
	s_add_i32 s2, s3, s2
	s_mul_i32 s3, s47, s69
	s_mul_i32 s8, s44, s72
	s_mul_hi_u32 s33, s44, s10
	s_add_i32 s3, s2, s3
	s_mul_i32 s2, s46, s69
	s_add_i32 s8, s33, s8
	s_mul_i32 s33, s45, s10
	s_add_i32 s45, s8, s33
	s_lshl_b64 s[2:3], s[2:3], 2
	s_mul_i32 s44, s44, s10
	s_add_u32 s8, s20, s2
	s_addc_u32 s20, s21, s3
	s_lshl_b64 s[2:3], s[44:45], 2
	s_add_u32 s8, s8, s2
	s_addc_u32 s33, s20, s3
	s_mul_i32 s20, s28, s72
	s_mul_hi_u32 s21, s28, s10
	s_ashr_i32 s73, s71, 31
	s_mul_i32 s2, s30, s70
	s_mul_hi_u32 s3, s30, s69
	s_add_i32 s20, s21, s20
	s_mul_i32 s21, s29, s10
	s_add_i32 s2, s3, s2
	s_mul_i32 s3, s31, s69
	;; [unrolled: 2-line block ×3, first 2 shown]
	s_mul_i32 s28, s66, s73
	s_mul_hi_u32 s29, s66, s71
	s_add_i32 s3, s2, s3
	s_mul_i32 s2, s30, s69
	s_add_i32 s28, s29, s28
	s_mul_i32 s29, s67, s71
	s_add_i32 s45, s28, s29
	s_lshl_b64 s[2:3], s[2:3], 2
	s_add_u32 s34, s34, s2
	s_addc_u32 s35, s35, s3
	s_lshl_b64 s[2:3], s[20:21], 2
	s_load_dwordx4 s[28:31], s[0:1], 0xf8
	s_load_dword s78, s[0:1], 0x108
	s_load_dword s69, s[0:1], 0x11c
	s_mul_i32 s44, s66, s71
	s_add_u32 s20, s34, s2
	s_addc_u32 s21, s35, s3
	s_lshl_b64 s[2:3], s[44:45], 2
	s_add_u32 s2, s20, s2
	s_addc_u32 s3, s21, s3
	s_cmp_gt_i32 s9, 0
	s_cselect_b64 s[20:21], -1, 0
	s_waitcnt lgkmcnt(0)
	s_cmp_gt_i32 s30, 0
	s_cselect_b64 s[34:35], -1, 0
	s_cmp_gt_i32 s31, 0
	s_cselect_b64 s[44:45], -1, 0
	;; [unrolled: 2-line block ×3, first 2 shown]
	s_abs_i32 s83, s12
	s_abs_i32 s84, s11
	v_cvt_f32_u32_e32 v1, s83
	v_cvt_f32_u32_e32 v3, s84
	s_abs_i32 s81, s68
	v_cvt_f32_u32_e32 v5, s81
	v_rcp_iflag_f32_e32 v1, v1
	v_rcp_iflag_f32_e32 v3, v3
	v_cmp_neq_f64_e64 s[0:1], s[24:25], 1.0
	v_cmp_neq_f64_e64 s[66:67], s[26:27], 0
	v_rcp_iflag_f32_e32 v5, v5
	s_or_b64 s[66:67], s[0:1], s[66:67]
	s_mul_i32 s0, s56, s73
	s_mul_hi_u32 s1, s56, s71
	v_mul_f32_e32 v1, 0x4f7ffffe, v1
	s_add_i32 s0, s1, s0
	s_mul_i32 s1, s57, s71
	v_cvt_u32_f32_e32 v1, v1
	v_mul_f32_e32 v3, 0x4f7ffffe, v3
	s_add_i32 s1, s0, s1
	s_mul_i32 s0, s56, s71
	s_mul_i32 s56, s58, s72
	s_mul_hi_u32 s57, s58, s10
	v_cvt_u32_f32_e32 v3, v3
	s_add_i32 s56, s57, s56
	s_mul_i32 s57, s59, s10
	v_mul_f32_e32 v5, 0x4f7ffffe, v5
	s_add_i32 s57, s56, s57
	s_mul_i32 s56, s58, s10
	s_sub_i32 s10, 0, s83
	v_cvt_u32_f32_e32 v5, v5
	s_sub_i32 s11, 0, s84
	v_mul_lo_u32 v2, s10, v1
	s_and_b32 s79, s69, 0xffff
	s_ashr_i32 s80, s68, 31
	s_lshl_b64 s[0:1], s[0:1], 2
	s_lshl_b64 s[56:57], s[56:57], 2
	s_ashr_i32 s82, s12, 31
	s_sub_i32 s58, 0, s81
	v_mul_lo_u32 v4, s11, v3
	v_mul_hi_u32 v2, v1, v2
	s_add_u32 s0, s0, s56
	v_add_u32_e32 v1, v1, v2
	v_mul_hi_u32 v2, v3, v4
	s_addc_u32 s1, s1, s57
	v_add_u32_e32 v8, v3, v2
	v_mul_lo_u32 v2, s58, v5
	v_mul_hi_u32 v2, v5, v2
	s_add_u32 s10, s22, s0
	v_add_u32_e32 v9, v5, v2
	s_addc_u32 s11, s23, s1
	s_mov_b64 s[22:23], 0
	s_lshl_b64 s[54:55], s[54:55], 2
	s_lshl_b64 s[52:53], s[52:53], 2
	;; [unrolled: 1-line block ×4, first 2 shown]
	s_branch .LBB61_3
.LBB61_2:                               ;   in Loop: Header=BB61_3 Depth=1
	v_add_u32_e32 v0, s79, v0
	v_cmp_le_i32_e32 vcc, s7, v0
	v_cvt_f32_f64_e32 v2, v[2:3]
	s_or_b64 s[22:23], vcc, s[22:23]
	global_store_dword v[4:5], v2, off
	s_andn2_b64 exec, exec, s[22:23]
	s_cbranch_execz .LBB61_20
.LBB61_3:                               ; =>This Loop Header: Depth=1
                                        ;     Child Loop BB61_6 Depth 2
                                        ;       Child Loop BB61_9 Depth 3
                                        ;         Child Loop BB61_12 Depth 4
                                        ;           Child Loop BB61_15 Depth 5
	v_sub_u32_e32 v4, 0, v0
	v_max_i32_e32 v4, v0, v4
	v_mul_hi_u32 v5, v4, v1
	v_mul_lo_u32 v6, v5, s83
	v_sub_u32_e32 v6, v4, v6
	v_add_u32_e32 v7, 1, v5
	v_cmp_le_u32_e32 vcc, s83, v6
	v_ashrrev_i32_e32 v2, 31, v0
	v_xor_b32_e32 v3, s82, v2
	v_cndmask_b32_e32 v5, v5, v7, vcc
	v_subrev_u32_e32 v7, s83, v6
	v_cndmask_b32_e32 v6, v6, v7, vcc
	v_add_u32_e32 v7, 1, v5
	v_cmp_le_u32_e32 vcc, s83, v6
	v_xor_b32_e32 v2, s80, v2
	s_nop 0
	v_cndmask_b32_e32 v5, v5, v7, vcc
	v_xor_b32_e32 v5, v5, v3
	v_sub_u32_e32 v3, v5, v3
	v_mul_lo_u32 v5, v3, s12
	v_sub_u32_e32 v6, 0, v3
	v_sub_u32_e32 v10, v0, v5
	v_ashrrev_i32_e32 v5, 31, v3
	v_max_i32_e32 v3, v3, v6
	v_mul_hi_u32 v6, v3, v8
	v_mul_lo_u32 v6, v6, s84
	v_sub_u32_e32 v3, v3, v6
	v_subrev_u32_e32 v6, s84, v3
	v_cmp_le_u32_e32 vcc, s84, v3
	s_nop 1
	v_cndmask_b32_e32 v3, v3, v6, vcc
	v_subrev_u32_e32 v6, s84, v3
	v_cmp_le_u32_e32 vcc, s84, v3
	s_nop 1
	v_cndmask_b32_e32 v3, v3, v6, vcc
	v_xor_b32_e32 v3, v3, v5
	v_sub_u32_e32 v11, v3, v5
	v_mul_hi_u32 v3, v4, v9
	v_mul_lo_u32 v5, v3, s81
	v_sub_u32_e32 v4, v4, v5
	v_add_u32_e32 v5, 1, v3
	v_cmp_le_u32_e32 vcc, s81, v4
	s_nop 1
	v_cndmask_b32_e32 v3, v3, v5, vcc
	v_subrev_u32_e32 v5, s81, v4
	v_cndmask_b32_e32 v4, v4, v5, vcc
	v_add_u32_e32 v5, 1, v3
	v_cmp_le_u32_e32 vcc, s81, v4
	s_nop 1
	v_cndmask_b32_e32 v3, v3, v5, vcc
	v_xor_b32_e32 v3, v3, v2
	s_andn2_b64 vcc, exec, s[20:21]
	v_sub_u32_e32 v12, v3, v2
	s_cbranch_vccnz .LBB61_17
; %bb.4:                                ;   in Loop: Header=BB61_3 Depth=1
	v_mul_lo_u32 v2, v12, s13
	v_subrev_u32_e32 v13, s19, v2
	v_mul_lo_u32 v2, v11, s14
	v_subrev_u32_e32 v14, s28, v2
	;; [unrolled: 2-line block ×3, first 2 shown]
	s_mov_b32 s85, 0
	v_mov_b64_e32 v[2:3], 0
	s_mov_b64 s[56:57], s[10:11]
	s_branch .LBB61_6
.LBB61_5:                               ;   in Loop: Header=BB61_6 Depth=2
	s_add_i32 s85, s85, 1
	s_add_u32 s56, s56, s54
	s_addc_u32 s57, s57, s55
	s_cmp_eq_u32 s85, s9
	s_cbranch_scc1 .LBB61_18
.LBB61_6:                               ;   Parent Loop BB61_3 Depth=1
                                        ; =>  This Loop Header: Depth=2
                                        ;       Child Loop BB61_9 Depth 3
                                        ;         Child Loop BB61_12 Depth 4
                                        ;           Child Loop BB61_15 Depth 5
	s_andn2_b64 vcc, exec, s[34:35]
	s_cbranch_vccnz .LBB61_5
; %bb.7:                                ;   in Loop: Header=BB61_6 Depth=2
	s_mul_i32 s0, s43, s85
	s_mul_hi_u32 s1, s42, s85
	s_add_i32 s1, s1, s0
	s_mul_i32 s0, s42, s85
	s_lshl_b64 s[0:1], s[0:1], 2
	s_add_u32 s58, s8, s0
	s_addc_u32 s59, s33, s1
	s_mov_b32 s86, 0
	s_mov_b64 s[68:69], s[56:57]
	s_branch .LBB61_9
.LBB61_8:                               ;   in Loop: Header=BB61_9 Depth=3
	s_add_i32 s86, s86, 1
	s_add_u32 s68, s68, s52
	s_addc_u32 s69, s69, s53
	s_cmp_eq_u32 s86, s30
	s_cbranch_scc1 .LBB61_5
.LBB61_9:                               ;   Parent Loop BB61_3 Depth=1
                                        ;     Parent Loop BB61_6 Depth=2
                                        ; =>    This Loop Header: Depth=3
                                        ;         Child Loop BB61_12 Depth 4
                                        ;           Child Loop BB61_15 Depth 5
	s_andn2_b64 vcc, exec, s[44:45]
	s_cbranch_vccnz .LBB61_8
; %bb.10:                               ;   in Loop: Header=BB61_9 Depth=3
	s_mul_i32 s0, s86, s16
	v_add_u32_e32 v7, s0, v13
	v_cmp_gt_i32_e32 vcc, 0, v7
	v_cmp_le_i32_e64 s[0:1], s4, v7
	s_or_b64 s[70:71], vcc, s[0:1]
	v_mad_u64_u32 v[4:5], s[0:1], s40, v7, 0
	v_mov_b32_e32 v6, v5
	v_mad_u64_u32 v[6:7], s[0:1], s41, v7, v[6:7]
	v_mov_b32_e32 v5, v6
	s_mov_b32 s87, 0
	v_lshl_add_u64 v[4:5], v[4:5], 2, s[58:59]
	s_mov_b64 s[72:73], s[68:69]
	s_branch .LBB61_12
.LBB61_11:                              ;   in Loop: Header=BB61_12 Depth=4
	s_add_i32 s87, s87, 1
	s_add_u32 s72, s72, s50
	s_addc_u32 s73, s73, s51
	s_cmp_eq_u32 s87, s31
	s_cbranch_scc1 .LBB61_8
.LBB61_12:                              ;   Parent Loop BB61_3 Depth=1
                                        ;     Parent Loop BB61_6 Depth=2
                                        ;       Parent Loop BB61_9 Depth=3
                                        ; =>      This Loop Header: Depth=4
                                        ;           Child Loop BB61_15 Depth 5
	s_andn2_b64 vcc, exec, s[46:47]
	s_cbranch_vccnz .LBB61_11
; %bb.13:                               ;   in Loop: Header=BB61_12 Depth=4
	s_mul_i32 s0, s87, s17
	v_add_u32_e32 v17, s0, v14
	v_cmp_gt_i32_e32 vcc, 0, v17
	v_cmp_le_i32_e64 s[0:1], s5, v17
	s_or_b64 s[74:75], vcc, s[0:1]
	v_mad_u64_u32 v[6:7], s[0:1], s38, v17, 0
	v_mov_b32_e32 v16, v7
	v_mad_u64_u32 v[16:17], s[0:1], s39, v17, v[16:17]
	v_mov_b32_e32 v7, v16
	v_lshl_add_u64 v[6:7], v[6:7], 2, v[4:5]
	v_mov_b32_e32 v16, v15
	s_mov_b64 s[76:77], s[72:73]
	s_mov_b32 s88, s78
	s_branch .LBB61_15
.LBB61_14:                              ;   in Loop: Header=BB61_15 Depth=5
	s_or_b64 exec, exec, s[0:1]
	s_add_i32 s88, s88, -1
	s_add_u32 s76, s76, s48
	s_addc_u32 s77, s77, s49
	s_cmp_eq_u32 s88, 0
	v_add_u32_e32 v16, s18, v16
	s_cbranch_scc1 .LBB61_11
.LBB61_15:                              ;   Parent Loop BB61_3 Depth=1
                                        ;     Parent Loop BB61_6 Depth=2
                                        ;       Parent Loop BB61_9 Depth=3
                                        ;         Parent Loop BB61_12 Depth=4
                                        ; =>        This Inner Loop Header: Depth=5
	v_cmp_gt_i32_e32 vcc, 0, v16
	v_cmp_le_i32_e64 s[0:1], s6, v16
	s_or_b64 s[0:1], vcc, s[0:1]
	s_or_b64 s[0:1], s[70:71], s[0:1]
	s_or_b64 s[0:1], s[74:75], s[0:1]
	s_xor_b64 s[90:91], s[0:1], -1
	s_and_saveexec_b64 s[0:1], s[90:91]
	s_cbranch_execz .LBB61_14
; %bb.16:                               ;   in Loop: Header=BB61_15 Depth=5
	v_mad_u64_u32 v[18:19], s[90:91], s36, v16, 0
	v_mov_b32_e32 v20, v19
	v_mad_u64_u32 v[20:21], s[90:91], s37, v16, v[20:21]
	v_mov_b32_e32 v19, v20
	v_lshl_add_u64 v[18:19], v[18:19], 2, v[6:7]
	global_load_dword v17, v[18:19], off
	s_load_dword s89, s[76:77], 0x0
	s_waitcnt lgkmcnt(0)
	v_cvt_f64_f32_e32 v[20:21], s89
	s_waitcnt vmcnt(0)
	v_cvt_f64_f32_e32 v[18:19], v17
	v_fmac_f64_e32 v[2:3], v[18:19], v[20:21]
	s_branch .LBB61_14
.LBB61_17:                              ;   in Loop: Header=BB61_3 Depth=1
	v_mov_b64_e32 v[2:3], 0
.LBB61_18:                              ;   in Loop: Header=BB61_3 Depth=1
	v_ashrrev_i32_e32 v4, 31, v12
	v_mul_lo_u32 v6, s65, v12
	v_mul_lo_u32 v7, s64, v4
	v_mad_u64_u32 v[4:5], s[0:1], s64, v12, 0
	v_add3_u32 v5, v5, v7, v6
	v_ashrrev_i32_e32 v6, 31, v11
	v_mul_lo_u32 v12, s63, v11
	v_mul_lo_u32 v13, s62, v6
	v_mad_u64_u32 v[6:7], s[0:1], s62, v11, 0
	v_ashrrev_i32_e32 v11, 31, v10
	v_add3_u32 v7, v7, v13, v12
	v_mul_lo_u32 v12, s61, v10
	v_mul_lo_u32 v13, s60, v11
	v_mad_u64_u32 v[10:11], s[0:1], s60, v10, 0
	v_lshl_add_u64 v[4:5], v[4:5], 2, s[2:3]
	v_add3_u32 v11, v11, v13, v12
	v_lshl_add_u64 v[4:5], v[6:7], 2, v[4:5]
	s_andn2_b64 vcc, exec, s[66:67]
	v_lshl_add_u64 v[4:5], v[10:11], 2, v[4:5]
	s_cbranch_vccnz .LBB61_2
; %bb.19:                               ;   in Loop: Header=BB61_3 Depth=1
	global_load_dword v6, v[4:5], off
	s_waitcnt vmcnt(0)
	v_cvt_f64_f32_e32 v[6:7], v6
	v_mul_f64 v[6:7], v[6:7], s[26:27]
	v_fmac_f64_e32 v[6:7], s[24:25], v[2:3]
	v_mov_b64_e32 v[2:3], v[6:7]
	s_branch .LBB61_2
.LBB61_20:
	s_endpgm
	.section	.rodata,"a",@progbits
	.p2align	6, 0x0
	.amdhsa_kernel naive_conv_ab_nonpacked_fwd_ncdhw_float_double_float_0
		.amdhsa_group_segment_fixed_size 0
		.amdhsa_private_segment_fixed_size 0
		.amdhsa_kernarg_size 528
		.amdhsa_user_sgpr_count 2
		.amdhsa_user_sgpr_dispatch_ptr 0
		.amdhsa_user_sgpr_queue_ptr 0
		.amdhsa_user_sgpr_kernarg_segment_ptr 1
		.amdhsa_user_sgpr_dispatch_id 0
		.amdhsa_user_sgpr_kernarg_preload_length 0
		.amdhsa_user_sgpr_kernarg_preload_offset 0
		.amdhsa_user_sgpr_private_segment_size 0
		.amdhsa_uses_dynamic_stack 0
		.amdhsa_enable_private_segment 0
		.amdhsa_system_sgpr_workgroup_id_x 1
		.amdhsa_system_sgpr_workgroup_id_y 0
		.amdhsa_system_sgpr_workgroup_id_z 0
		.amdhsa_system_sgpr_workgroup_info 0
		.amdhsa_system_vgpr_workitem_id 0
		.amdhsa_next_free_vgpr 22
		.amdhsa_next_free_sgpr 92
		.amdhsa_accum_offset 24
		.amdhsa_reserve_vcc 1
		.amdhsa_float_round_mode_32 0
		.amdhsa_float_round_mode_16_64 0
		.amdhsa_float_denorm_mode_32 3
		.amdhsa_float_denorm_mode_16_64 3
		.amdhsa_dx10_clamp 1
		.amdhsa_ieee_mode 1
		.amdhsa_fp16_overflow 0
		.amdhsa_tg_split 0
		.amdhsa_exception_fp_ieee_invalid_op 0
		.amdhsa_exception_fp_denorm_src 0
		.amdhsa_exception_fp_ieee_div_zero 0
		.amdhsa_exception_fp_ieee_overflow 0
		.amdhsa_exception_fp_ieee_underflow 0
		.amdhsa_exception_fp_ieee_inexact 0
		.amdhsa_exception_int_div_zero 0
	.end_amdhsa_kernel
	.text
.Lfunc_end61:
	.size	naive_conv_ab_nonpacked_fwd_ncdhw_float_double_float_0, .Lfunc_end61-naive_conv_ab_nonpacked_fwd_ncdhw_float_double_float_0
                                        ; -- End function
	.section	.AMDGPU.csdata,"",@progbits
; Kernel info:
; codeLenInByte = 1848
; NumSgprs: 98
; NumVgprs: 22
; NumAgprs: 0
; TotalNumVgprs: 22
; ScratchSize: 0
; MemoryBound: 0
; FloatMode: 240
; IeeeMode: 1
; LDSByteSize: 0 bytes/workgroup (compile time only)
; SGPRBlocks: 12
; VGPRBlocks: 2
; NumSGPRsForWavesPerEU: 98
; NumVGPRsForWavesPerEU: 22
; AccumOffset: 24
; Occupancy: 8
; WaveLimiterHint : 1
; COMPUTE_PGM_RSRC2:SCRATCH_EN: 0
; COMPUTE_PGM_RSRC2:USER_SGPR: 2
; COMPUTE_PGM_RSRC2:TRAP_HANDLER: 0
; COMPUTE_PGM_RSRC2:TGID_X_EN: 1
; COMPUTE_PGM_RSRC2:TGID_Y_EN: 0
; COMPUTE_PGM_RSRC2:TGID_Z_EN: 0
; COMPUTE_PGM_RSRC2:TIDIG_COMP_CNT: 0
; COMPUTE_PGM_RSRC3_GFX90A:ACCUM_OFFSET: 5
; COMPUTE_PGM_RSRC3_GFX90A:TG_SPLIT: 0
	.text
	.protected	naive_conv_ab_packed_fwd_ncdhw_float_double_float_1 ; -- Begin function naive_conv_ab_packed_fwd_ncdhw_float_double_float_1
	.globl	naive_conv_ab_packed_fwd_ncdhw_float_double_float_1
	.p2align	8
	.type	naive_conv_ab_packed_fwd_ncdhw_float_double_float_1,@function
naive_conv_ab_packed_fwd_ncdhw_float_double_float_1: ; @naive_conv_ab_packed_fwd_ncdhw_float_double_float_1
; %bb.0:
	s_load_dwordx16 s[4:19], s[0:1], 0xb8
	s_abs_i32 s3, s2
	s_waitcnt lgkmcnt(0)
	s_abs_i32 s20, s8
	v_cvt_f32_u32_e32 v1, s20
	s_sub_i32 s21, 0, s20
	s_mul_i32 s28, s8, s7
	s_mul_i32 s46, s12, s11
	v_rcp_iflag_f32_e32 v1, v1
	s_nop 0
	v_mul_f32_e32 v1, 0x4f7ffffe, v1
	v_cvt_u32_f32_e32 v1, v1
	s_nop 0
	v_readfirstlane_b32 s22, v1
	s_mul_i32 s21, s21, s22
	s_mul_hi_u32 s21, s22, s21
	s_add_i32 s22, s22, s21
	s_mul_hi_u32 s21, s3, s22
	s_mul_i32 s22, s21, s20
	s_sub_i32 s22, s3, s22
	s_add_i32 s23, s21, 1
	s_sub_i32 s24, s22, s20
	s_cmp_ge_u32 s22, s20
	s_cselect_b32 s21, s23, s21
	s_cselect_b32 s22, s24, s22
	s_add_i32 s23, s21, 1
	s_cmp_ge_u32 s22, s20
	s_cselect_b32 s29, s23, s21
	s_abs_i32 s38, s7
	s_abs_i32 s33, s28
	v_cvt_f32_u32_e32 v1, s38
	v_cvt_f32_u32_e32 v2, s33
	s_mul_i32 s7, s46, s10
	v_cmp_gt_i32_e32 vcc, s7, v0
	v_rcp_iflag_f32_e32 v1, v1
	v_rcp_iflag_f32_e32 v2, v2
	v_mul_f32_e32 v1, 0x4f7ffffe, v1
	v_mul_f32_e32 v2, 0x4f7ffffe, v2
	v_cvt_u32_f32_e32 v1, v1
	v_cvt_u32_f32_e32 v2, v2
	v_readfirstlane_b32 s31, v1
	v_readfirstlane_b32 s30, v2
	s_and_saveexec_b64 s[20:21], vcc
	s_cbranch_execz .LBB62_20
; %bb.1:
	s_ashr_i32 s39, s2, 31
	s_ashr_i32 s34, s8, 31
	s_xor_b32 s34, s39, s34
	s_xor_b32 s29, s29, s34
	s_sub_i32 s40, s29, s34
	s_sub_i32 s29, 0, s38
	s_mul_i32 s29, s29, s31
	s_mul_hi_u32 s29, s31, s29
	s_ashr_i32 s44, s28, 31
	s_sub_i32 s28, 0, s33
	s_abs_i32 s42, s40
	s_add_i32 s31, s31, s29
	s_mul_i32 s28, s28, s30
	s_mul_hi_u32 s43, s42, s31
	s_mul_hi_u32 s28, s30, s28
	s_add_i32 s30, s30, s28
	s_mul_i32 s43, s43, s38
	s_load_dwordx8 s[20:27], s[0:1], 0x0
	s_ashr_i32 s41, s40, 31
	s_load_dwordx2 s[34:35], s[0:1], 0x108
	s_mul_hi_u32 s45, s3, s30
	s_load_dwordx2 s[36:37], s[0:1], 0x20
	s_load_dwordx4 s[28:31], s[0:1], 0xf8
	s_load_dword s47, s[0:1], 0x11c
	s_mul_i32 s40, s40, s8
	s_sub_i32 s1, s42, s43
	s_sub_i32 s40, s2, s40
	s_sub_i32 s2, s1, s38
	s_cmp_ge_u32 s1, s38
	s_cselect_b32 s1, s2, s1
	s_sub_i32 s2, s1, s38
	s_cmp_ge_u32 s1, s38
	s_cselect_b32 s1, s2, s1
	s_mul_i32 s2, s45, s33
	s_xor_b32 s1, s1, s41
	s_sub_i32 s2, s3, s2
	s_waitcnt lgkmcnt(0)
	s_mul_i32 s48, s35, s8
	s_mul_i32 s0, s35, s9
	s_sub_i32 s38, s1, s41
	s_xor_b32 s1, s39, s44
	s_add_i32 s3, s45, 1
	s_sub_i32 s35, s2, s33
	s_cmp_ge_u32 s2, s33
	s_cselect_b32 s3, s3, s45
	s_cselect_b32 s2, s35, s2
	s_add_i32 s35, s3, 1
	s_cmp_ge_u32 s2, s33
	s_cselect_b32 s2, s35, s3
	s_xor_b32 s2, s2, s1
	s_sub_i32 s35, s2, s1
	s_mul_hi_i32 s1, s38, s0
	s_mul_i32 s0, s38, s0
	s_ashr_i32 s33, s4, 31
	s_ashr_i32 s63, s5, 31
	;; [unrolled: 1-line block ×4, first 2 shown]
	s_mul_i32 s3, s35, s9
	s_mul_hi_i32 s2, s35, s9
	s_add_u32 s0, s3, s0
	s_mul_i32 s3, s5, s4
	s_mov_b32 s62, s4
	s_mov_b32 s64, s5
	s_addc_u32 s1, s2, s1
	s_mul_hi_i32 s2, s5, s4
	s_mul_i32 s4, s3, s65
	s_mul_hi_u32 s5, s3, s6
	s_add_i32 s4, s5, s4
	s_mul_i32 s2, s2, s6
	s_mul_i32 s3, s3, s6
	s_add_i32 s2, s4, s2
	s_mul_i32 s1, s3, s1
	s_mul_hi_u32 s4, s3, s0
	s_add_i32 s1, s4, s1
	s_mul_i32 s2, s2, s0
	s_add_i32 s1, s1, s2
	s_mul_i32 s0, s3, s0
	s_lshl_b64 s[0:1], s[0:1], 2
	s_add_u32 s2, s20, s0
	s_addc_u32 s3, s21, s1
	s_mul_hi_i32 s0, s35, s8
	s_mul_i32 s1, s35, s8
	s_ashr_i32 s8, s30, 31
	s_ashr_i32 s35, s34, 31
	;; [unrolled: 1-line block ×3, first 2 shown]
	s_add_u32 s50, s1, s40
	s_addc_u32 s51, s0, s4
	s_mul_hi_i32 s0, s38, s48
	s_mul_i32 s38, s38, s48
	s_ashr_i32 s68, s12, 31
	s_mul_i32 s5, s11, s10
	s_add_u32 s4, s50, s38
	s_mul_hi_i32 s1, s11, s10
	s_mul_i32 s10, s5, s68
	s_mul_hi_u32 s20, s5, s12
	s_addc_u32 s0, s51, s0
	s_add_i32 s10, s20, s10
	s_mul_i32 s1, s1, s12
	s_mul_i32 s5, s5, s12
	s_add_i32 s1, s10, s1
	s_mul_i32 s0, s5, s0
	s_mul_hi_u32 s10, s5, s4
	s_add_i32 s0, s10, s0
	s_mul_i32 s1, s1, s4
	s_add_i32 s1, s0, s1
	s_mul_i32 s0, s5, s4
	s_lshl_b64 s[0:1], s[0:1], 2
	s_add_u32 s4, s36, s0
	s_addc_u32 s5, s37, s1
	s_cmp_gt_i32 s9, 0
	s_cselect_b64 s[20:21], -1, 0
	s_cmp_gt_i32 s30, 0
	s_cselect_b64 s[36:37], -1, 0
	;; [unrolled: 2-line block ×4, first 2 shown]
	s_abs_i32 s69, s12
	v_cvt_f32_u32_e32 v1, s69
	s_abs_i32 s71, s11
	v_cvt_f32_u32_e32 v2, s71
	s_abs_i32 s73, s46
	v_rcp_iflag_f32_e32 v1, v1
	v_cmp_neq_f64_e64 s[0:1], s[24:25], 1.0
	v_cmp_neq_f64_e64 s[44:45], s[26:27], 0
	v_cvt_f32_u32_e32 v4, s73
	v_mul_f32_e32 v1, 0x4f7ffffe, v1
	v_cvt_u32_f32_e32 v1, v1
	s_or_b64 s[44:45], s[0:1], s[44:45]
	s_sub_i32 s0, 0, s69
	v_rcp_iflag_f32_e32 v2, v2
	v_mul_lo_u32 v3, s0, v1
	v_mul_hi_u32 v3, v1, v3
	v_add_u32_e32 v1, v1, v3
	v_rcp_iflag_f32_e32 v3, v4
	v_mul_f32_e32 v2, 0x4f7ffffe, v2
	v_cvt_u32_f32_e32 v2, v2
	s_sub_i32 s0, 0, s71
	v_mul_f32_e32 v3, 0x4f7ffffe, v3
	v_cvt_u32_f32_e32 v3, v3
	v_mul_lo_u32 v4, s0, v2
	v_mul_hi_u32 v4, v2, v4
	s_sub_i32 s0, 0, s73
	v_add_u32_e32 v14, v2, v4
	v_mul_lo_u32 v2, s0, v3
	s_mul_i32 s0, s34, s31
	s_mul_i32 s10, s0, s30
	s_mov_b32 s70, s11
	s_mul_i32 s1, s10, s51
	s_mul_hi_u32 s11, s10, s50
	s_ashr_i32 s74, s46, 31
	s_add_i32 s46, s11, s1
	s_mul_hi_i32 s1, s34, s31
	s_mul_i32 s8, s0, s8
	s_mul_hi_u32 s11, s0, s30
	s_add_i32 s8, s11, s8
	s_mul_i32 s11, s1, s30
	s_add_i32 s11, s8, s11
	s_mov_b32 s67, s31
	s_mul_i32 s8, s11, s50
	s_mul_i32 s31, s10, s50
	s_and_b32 s72, s47, 0xffff
	s_add_i32 s8, s46, s8
	s_mul_i32 s46, s31, s49
	s_mul_hi_u32 s47, s31, s9
	s_add_i32 s46, s47, s46
	s_mul_i32 s8, s8, s9
	s_add_i32 s47, s46, s8
	s_mul_i32 s46, s31, s9
	s_mov_b32 s66, s9
	s_lshl_b64 s[8:9], s[46:47], 2
	v_mul_hi_u32 v2, v3, v2
	s_add_u32 s8, s22, s8
	s_mov_b64 s[42:43], 0
	v_add_u32_e32 v15, v3, v2
	s_addc_u32 s9, s23, s9
	s_lshl_b64 s[10:11], s[10:11], 2
	s_lshl_b64 s[22:23], s[0:1], 2
	;; [unrolled: 1-line block ×3, first 2 shown]
	v_mov_b32_e32 v3, 0
	s_branch .LBB62_3
.LBB62_2:                               ;   in Loop: Header=BB62_3 Depth=1
	v_add_u32_e32 v0, s72, v0
	v_cmp_le_i32_e32 vcc, s7, v0
	v_cvt_f32_f64_e32 v2, v[8:9]
	s_or_b64 s[42:43], vcc, s[42:43]
	global_store_dword v[4:5], v2, off
	s_andn2_b64 exec, exec, s[42:43]
	s_cbranch_execz .LBB62_20
.LBB62_3:                               ; =>This Loop Header: Depth=1
                                        ;     Child Loop BB62_6 Depth 2
                                        ;       Child Loop BB62_9 Depth 3
                                        ;         Child Loop BB62_12 Depth 4
                                        ;           Child Loop BB62_15 Depth 5
	v_sub_u32_e32 v5, 0, v0
	v_max_i32_e32 v5, v0, v5
	v_mul_hi_u32 v6, v5, v1
	v_mul_lo_u32 v7, v6, s69
	v_sub_u32_e32 v7, v5, v7
	v_add_u32_e32 v8, 1, v6
	v_cmp_le_u32_e32 vcc, s69, v7
	v_ashrrev_i32_e32 v2, 31, v0
	v_xor_b32_e32 v4, s68, v2
	v_cndmask_b32_e32 v6, v6, v8, vcc
	v_subrev_u32_e32 v8, s69, v7
	v_cndmask_b32_e32 v7, v7, v8, vcc
	v_add_u32_e32 v8, 1, v6
	v_cmp_le_u32_e32 vcc, s69, v7
	v_xor_b32_e32 v2, s74, v2
	s_nop 0
	v_cndmask_b32_e32 v6, v6, v8, vcc
	v_xor_b32_e32 v6, v6, v4
	v_sub_u32_e32 v6, v6, v4
	v_sub_u32_e32 v8, 0, v6
	v_mul_lo_u32 v4, v6, s12
	v_ashrrev_i32_e32 v7, 31, v6
	v_max_i32_e32 v6, v6, v8
	v_mul_hi_u32 v8, v6, v14
	v_mul_lo_u32 v8, v8, s71
	v_sub_u32_e32 v6, v6, v8
	v_subrev_u32_e32 v8, s71, v6
	v_cmp_le_u32_e32 vcc, s71, v6
	v_sub_u32_e32 v4, v0, v4
	s_nop 0
	v_cndmask_b32_e32 v6, v6, v8, vcc
	v_subrev_u32_e32 v8, s71, v6
	v_cmp_le_u32_e32 vcc, s71, v6
	s_nop 1
	v_cndmask_b32_e32 v6, v6, v8, vcc
	v_xor_b32_e32 v6, v6, v7
	v_sub_u32_e32 v6, v6, v7
	v_mul_hi_u32 v7, v5, v15
	v_mul_lo_u32 v8, v7, s73
	v_sub_u32_e32 v5, v5, v8
	v_add_u32_e32 v8, 1, v7
	v_cmp_le_u32_e32 vcc, s73, v5
	s_nop 1
	v_cndmask_b32_e32 v7, v7, v8, vcc
	v_subrev_u32_e32 v8, s73, v5
	v_cndmask_b32_e32 v5, v5, v8, vcc
	v_add_u32_e32 v8, 1, v7
	v_cmp_le_u32_e32 vcc, s73, v5
	s_nop 1
	v_cndmask_b32_e32 v5, v7, v8, vcc
	v_xor_b32_e32 v5, v5, v2
	s_andn2_b64 vcc, exec, s[20:21]
	v_sub_u32_e32 v5, v5, v2
	s_cbranch_vccnz .LBB62_17
; %bb.4:                                ;   in Loop: Header=BB62_3 Depth=1
	v_mul_lo_u32 v2, v5, s13
	v_subrev_u32_e32 v7, s19, v2
	v_mul_lo_u32 v2, v6, s14
	v_subrev_u32_e32 v16, s28, v2
	;; [unrolled: 2-line block ×3, first 2 shown]
	s_mov_b32 s31, 0
	v_mov_b64_e32 v[8:9], 0
	s_mov_b64 s[48:49], s[8:9]
	s_branch .LBB62_6
.LBB62_5:                               ;   in Loop: Header=BB62_6 Depth=2
	s_add_i32 s31, s31, 1
	s_add_u32 s48, s48, s10
	s_addc_u32 s49, s49, s11
	s_cmp_eq_u32 s31, s66
	s_cbranch_scc1 .LBB62_18
.LBB62_6:                               ;   Parent Loop BB62_3 Depth=1
                                        ; =>  This Loop Header: Depth=2
                                        ;       Child Loop BB62_9 Depth 3
                                        ;         Child Loop BB62_12 Depth 4
                                        ;           Child Loop BB62_15 Depth 5
	s_andn2_b64 vcc, exec, s[36:37]
	s_cbranch_vccnz .LBB62_5
; %bb.7:                                ;   in Loop: Header=BB62_6 Depth=2
	s_mul_i32 s0, s31, s33
	s_mul_hi_u32 s1, s31, s62
	s_add_i32 s51, s1, s0
	s_mul_i32 s50, s31, s62
	s_mov_b32 s35, 0
	s_mov_b64 s[52:53], s[48:49]
	s_branch .LBB62_9
.LBB62_8:                               ;   in Loop: Header=BB62_9 Depth=3
	s_add_i32 s35, s35, 1
	s_add_u32 s52, s52, s22
	s_addc_u32 s53, s53, s23
	s_cmp_eq_u32 s35, s30
	s_cbranch_scc1 .LBB62_5
.LBB62_9:                               ;   Parent Loop BB62_3 Depth=1
                                        ;     Parent Loop BB62_6 Depth=2
                                        ; =>    This Loop Header: Depth=3
                                        ;         Child Loop BB62_12 Depth 4
                                        ;           Child Loop BB62_15 Depth 5
	s_andn2_b64 vcc, exec, s[38:39]
	s_cbranch_vccnz .LBB62_8
; %bb.10:                               ;   in Loop: Header=BB62_9 Depth=3
	s_mul_i32 s0, s35, s16
	v_add_u32_e32 v2, s0, v7
	v_cmp_gt_i32_e32 vcc, 0, v2
	v_cmp_le_i32_e64 s[0:1], s62, v2
	v_lshl_add_u64 v[10:11], s[50:51], 0, v[2:3]
	s_or_b64 s[54:55], vcc, s[0:1]
	v_mul_lo_u32 v2, v11, s64
	v_mul_lo_u32 v12, v10, s63
	v_mad_u64_u32 v[10:11], s[0:1], v10, s64, 0
	s_mov_b32 s75, 0
	v_add3_u32 v11, v11, v12, v2
	s_mov_b64 s[56:57], s[52:53]
	s_branch .LBB62_12
.LBB62_11:                              ;   in Loop: Header=BB62_12 Depth=4
	s_add_i32 s75, s75, 1
	s_add_u32 s56, s56, s46
	s_addc_u32 s57, s57, s47
	s_cmp_eq_u32 s75, s67
	s_cbranch_scc1 .LBB62_8
.LBB62_12:                              ;   Parent Loop BB62_3 Depth=1
                                        ;     Parent Loop BB62_6 Depth=2
                                        ;       Parent Loop BB62_9 Depth=3
                                        ; =>      This Loop Header: Depth=4
                                        ;           Child Loop BB62_15 Depth 5
	s_andn2_b64 vcc, exec, s[40:41]
	s_cbranch_vccnz .LBB62_11
; %bb.13:                               ;   in Loop: Header=BB62_12 Depth=4
	s_mul_i32 s0, s75, s17
	v_add_u32_e32 v2, s0, v16
	v_cmp_gt_i32_e32 vcc, 0, v2
	v_cmp_le_i32_e64 s[0:1], s64, v2
	v_lshl_add_u64 v[12:13], v[10:11], 0, v[2:3]
	s_or_b64 s[58:59], vcc, s[0:1]
	v_mul_lo_u32 v2, v13, s6
	v_mul_lo_u32 v18, v12, s65
	v_mad_u64_u32 v[12:13], s[0:1], v12, s6, 0
	v_add3_u32 v13, v13, v18, v2
	v_lshl_add_u64 v[12:13], v[12:13], 2, s[2:3]
	v_mov_b32_e32 v2, v17
	s_mov_b64 s[60:61], s[56:57]
	s_mov_b32 s76, s34
	s_branch .LBB62_15
.LBB62_14:                              ;   in Loop: Header=BB62_15 Depth=5
	s_or_b64 exec, exec, s[0:1]
	s_add_i32 s76, s76, -1
	s_add_u32 s60, s60, 4
	s_addc_u32 s61, s61, 0
	s_cmp_eq_u32 s76, 0
	v_add_u32_e32 v2, s18, v2
	s_cbranch_scc1 .LBB62_11
.LBB62_15:                              ;   Parent Loop BB62_3 Depth=1
                                        ;     Parent Loop BB62_6 Depth=2
                                        ;       Parent Loop BB62_9 Depth=3
                                        ;         Parent Loop BB62_12 Depth=4
                                        ; =>        This Inner Loop Header: Depth=5
	v_cmp_gt_i32_e32 vcc, 0, v2
	v_cmp_le_i32_e64 s[0:1], s6, v2
	s_or_b64 s[0:1], vcc, s[0:1]
	s_or_b64 s[0:1], s[54:55], s[0:1]
	s_or_b64 s[0:1], s[58:59], s[0:1]
	s_xor_b64 s[78:79], s[0:1], -1
	s_and_saveexec_b64 s[0:1], s[78:79]
	s_cbranch_execz .LBB62_14
; %bb.16:                               ;   in Loop: Header=BB62_15 Depth=5
	v_lshl_add_u64 v[18:19], v[2:3], 2, v[12:13]
	global_load_dword v18, v[18:19], off
	s_load_dword s77, s[60:61], 0x0
	s_waitcnt lgkmcnt(0)
	s_and_b32 s77, s77, 0xffffe000
	s_waitcnt vmcnt(0)
	v_and_b32_e32 v20, 0xffffe000, v18
	v_cvt_f64_f32_e32 v[18:19], s77
	v_cvt_f64_f32_e32 v[20:21], v20
	v_fmac_f64_e32 v[8:9], v[20:21], v[18:19]
	s_branch .LBB62_14
.LBB62_17:                              ;   in Loop: Header=BB62_3 Depth=1
	v_mov_b64_e32 v[8:9], 0
.LBB62_18:                              ;   in Loop: Header=BB62_3 Depth=1
	v_ashrrev_i32_e32 v7, 31, v6
	v_mad_i64_i32 v[6:7], s[0:1], v5, s70, v[6:7]
	v_mul_lo_u32 v2, v7, s12
	v_mul_lo_u32 v5, v6, s68
	v_mad_u64_u32 v[6:7], s[0:1], v6, s12, 0
	v_add3_u32 v7, v7, v5, v2
	v_ashrrev_i32_e32 v5, 31, v4
	v_lshl_add_u64 v[6:7], v[6:7], 2, s[4:5]
	s_andn2_b64 vcc, exec, s[44:45]
	v_lshl_add_u64 v[4:5], v[4:5], 2, v[6:7]
	s_cbranch_vccnz .LBB62_2
; %bb.19:                               ;   in Loop: Header=BB62_3 Depth=1
	global_load_dword v2, v[4:5], off
	s_waitcnt vmcnt(0)
	v_cvt_f64_f32_e32 v[6:7], v2
	v_mul_f64 v[6:7], v[6:7], s[26:27]
	v_fmac_f64_e32 v[6:7], s[24:25], v[8:9]
	v_mov_b64_e32 v[8:9], v[6:7]
	s_branch .LBB62_2
.LBB62_20:
	s_endpgm
	.section	.rodata,"a",@progbits
	.p2align	6, 0x0
	.amdhsa_kernel naive_conv_ab_packed_fwd_ncdhw_float_double_float_1
		.amdhsa_group_segment_fixed_size 0
		.amdhsa_private_segment_fixed_size 0
		.amdhsa_kernarg_size 528
		.amdhsa_user_sgpr_count 2
		.amdhsa_user_sgpr_dispatch_ptr 0
		.amdhsa_user_sgpr_queue_ptr 0
		.amdhsa_user_sgpr_kernarg_segment_ptr 1
		.amdhsa_user_sgpr_dispatch_id 0
		.amdhsa_user_sgpr_kernarg_preload_length 0
		.amdhsa_user_sgpr_kernarg_preload_offset 0
		.amdhsa_user_sgpr_private_segment_size 0
		.amdhsa_uses_dynamic_stack 0
		.amdhsa_enable_private_segment 0
		.amdhsa_system_sgpr_workgroup_id_x 1
		.amdhsa_system_sgpr_workgroup_id_y 0
		.amdhsa_system_sgpr_workgroup_id_z 0
		.amdhsa_system_sgpr_workgroup_info 0
		.amdhsa_system_vgpr_workitem_id 0
		.amdhsa_next_free_vgpr 22
		.amdhsa_next_free_sgpr 80
		.amdhsa_accum_offset 24
		.amdhsa_reserve_vcc 1
		.amdhsa_float_round_mode_32 0
		.amdhsa_float_round_mode_16_64 0
		.amdhsa_float_denorm_mode_32 3
		.amdhsa_float_denorm_mode_16_64 3
		.amdhsa_dx10_clamp 1
		.amdhsa_ieee_mode 1
		.amdhsa_fp16_overflow 0
		.amdhsa_tg_split 0
		.amdhsa_exception_fp_ieee_invalid_op 0
		.amdhsa_exception_fp_denorm_src 0
		.amdhsa_exception_fp_ieee_div_zero 0
		.amdhsa_exception_fp_ieee_overflow 0
		.amdhsa_exception_fp_ieee_underflow 0
		.amdhsa_exception_fp_ieee_inexact 0
		.amdhsa_exception_int_div_zero 0
	.end_amdhsa_kernel
	.text
.Lfunc_end62:
	.size	naive_conv_ab_packed_fwd_ncdhw_float_double_float_1, .Lfunc_end62-naive_conv_ab_packed_fwd_ncdhw_float_double_float_1
                                        ; -- End function
	.section	.AMDGPU.csdata,"",@progbits
; Kernel info:
; codeLenInByte = 1832
; NumSgprs: 86
; NumVgprs: 22
; NumAgprs: 0
; TotalNumVgprs: 22
; ScratchSize: 0
; MemoryBound: 0
; FloatMode: 240
; IeeeMode: 1
; LDSByteSize: 0 bytes/workgroup (compile time only)
; SGPRBlocks: 10
; VGPRBlocks: 2
; NumSGPRsForWavesPerEU: 86
; NumVGPRsForWavesPerEU: 22
; AccumOffset: 24
; Occupancy: 8
; WaveLimiterHint : 1
; COMPUTE_PGM_RSRC2:SCRATCH_EN: 0
; COMPUTE_PGM_RSRC2:USER_SGPR: 2
; COMPUTE_PGM_RSRC2:TRAP_HANDLER: 0
; COMPUTE_PGM_RSRC2:TGID_X_EN: 1
; COMPUTE_PGM_RSRC2:TGID_Y_EN: 0
; COMPUTE_PGM_RSRC2:TGID_Z_EN: 0
; COMPUTE_PGM_RSRC2:TIDIG_COMP_CNT: 0
; COMPUTE_PGM_RSRC3_GFX90A:ACCUM_OFFSET: 5
; COMPUTE_PGM_RSRC3_GFX90A:TG_SPLIT: 0
	.text
	.protected	naive_conv_ab_nonpacked_fwd_ncdhw_float_double_float_1 ; -- Begin function naive_conv_ab_nonpacked_fwd_ncdhw_float_double_float_1
	.globl	naive_conv_ab_nonpacked_fwd_ncdhw_float_double_float_1
	.p2align	8
	.type	naive_conv_ab_nonpacked_fwd_ncdhw_float_double_float_1,@function
naive_conv_ab_nonpacked_fwd_ncdhw_float_double_float_1: ; @naive_conv_ab_nonpacked_fwd_ncdhw_float_double_float_1
; %bb.0:
	s_load_dwordx16 s[4:19], s[0:1], 0xb8
	s_abs_i32 s3, s2
	s_waitcnt lgkmcnt(0)
	s_abs_i32 s20, s8
	v_cvt_f32_u32_e32 v1, s20
	s_sub_i32 s21, 0, s20
	s_mul_i32 s28, s8, s7
	s_mul_i32 s68, s12, s11
	v_rcp_iflag_f32_e32 v1, v1
	s_nop 0
	v_mul_f32_e32 v1, 0x4f7ffffe, v1
	v_cvt_u32_f32_e32 v1, v1
	s_nop 0
	v_readfirstlane_b32 s22, v1
	s_mul_i32 s21, s21, s22
	s_mul_hi_u32 s21, s22, s21
	s_add_i32 s22, s22, s21
	s_mul_hi_u32 s21, s3, s22
	s_mul_i32 s22, s21, s20
	s_sub_i32 s22, s3, s22
	s_add_i32 s23, s21, 1
	s_sub_i32 s24, s22, s20
	s_cmp_ge_u32 s22, s20
	s_cselect_b32 s21, s23, s21
	s_cselect_b32 s22, s24, s22
	s_add_i32 s23, s21, 1
	s_cmp_ge_u32 s22, s20
	s_cselect_b32 s29, s23, s21
	s_abs_i32 s69, s7
	s_abs_i32 s33, s28
	v_cvt_f32_u32_e32 v1, s69
	v_cvt_f32_u32_e32 v2, s33
	s_mul_i32 s7, s68, s10
	v_cmp_gt_i32_e32 vcc, s7, v0
	v_rcp_iflag_f32_e32 v1, v1
	v_rcp_iflag_f32_e32 v2, v2
	v_mul_f32_e32 v1, 0x4f7ffffe, v1
	v_mul_f32_e32 v2, 0x4f7ffffe, v2
	v_cvt_u32_f32_e32 v1, v1
	v_cvt_u32_f32_e32 v2, v2
	v_readfirstlane_b32 s30, v1
	v_readfirstlane_b32 s10, v2
	s_and_saveexec_b64 s[20:21], vcc
	s_cbranch_execz .LBB63_20
; %bb.1:
	s_ashr_i32 s70, s2, 31
	s_ashr_i32 s31, s8, 31
	s_xor_b32 s31, s70, s31
	s_xor_b32 s29, s29, s31
	s_sub_i32 s71, s29, s31
	s_sub_i32 s29, 0, s69
	s_mul_i32 s29, s29, s30
	s_mul_hi_u32 s29, s30, s29
	s_abs_i32 s73, s71
	s_add_i32 s30, s30, s29
	s_mul_hi_u32 s74, s73, s30
	s_ashr_i32 s75, s28, 31
	s_sub_i32 s28, 0, s33
	s_ashr_i32 s72, s71, 31
	s_mul_i32 s28, s28, s10
	s_mul_i32 s71, s71, s8
	;; [unrolled: 1-line block ×3, first 2 shown]
	s_mul_hi_u32 s28, s10, s28
	s_sub_i32 s71, s2, s71
	s_sub_i32 s2, s73, s74
	s_add_i32 s10, s10, s28
	s_sub_i32 s8, s2, s69
	s_cmp_ge_u32 s2, s69
	s_cselect_b32 s2, s8, s2
	s_sub_i32 s8, s2, s69
	s_mul_hi_u32 s10, s3, s10
	s_cmp_ge_u32 s2, s69
	s_cselect_b32 s2, s8, s2
	s_mul_i32 s8, s10, s33
	s_xor_b32 s2, s2, s72
	s_sub_i32 s3, s3, s8
	s_sub_i32 s69, s2, s72
	s_xor_b32 s2, s70, s75
	s_add_i32 s8, s10, 1
	s_sub_i32 s70, s3, s33
	s_cmp_ge_u32 s3, s33
	s_cselect_b32 s8, s8, s10
	s_cselect_b32 s3, s70, s3
	s_add_i32 s10, s8, 1
	s_cmp_ge_u32 s3, s33
	s_load_dwordx8 s[20:27], s[0:1], 0x0
	s_load_dwordx2 s[34:35], s[0:1], 0x20
	s_load_dwordx16 s[36:51], s[0:1], 0x28
	s_load_dwordx16 s[52:67], s[0:1], 0x68
	s_load_dwordx4 s[28:31], s[0:1], 0xa8
	s_cselect_b32 s3, s10, s8
	s_xor_b32 s3, s3, s2
	s_sub_i32 s10, s3, s2
	s_ashr_i32 s70, s69, 31
	s_waitcnt lgkmcnt(0)
	s_mul_i32 s2, s46, s70
	s_mul_hi_u32 s3, s46, s69
	s_ashr_i32 s72, s10, 31
	s_add_i32 s2, s3, s2
	s_mul_i32 s3, s47, s69
	s_mul_i32 s8, s44, s72
	s_mul_hi_u32 s33, s44, s10
	s_add_i32 s3, s2, s3
	s_mul_i32 s2, s46, s69
	s_add_i32 s8, s33, s8
	s_mul_i32 s33, s45, s10
	s_add_i32 s45, s8, s33
	s_lshl_b64 s[2:3], s[2:3], 2
	s_mul_i32 s44, s44, s10
	s_add_u32 s8, s20, s2
	s_addc_u32 s20, s21, s3
	s_lshl_b64 s[2:3], s[44:45], 2
	s_add_u32 s8, s8, s2
	s_addc_u32 s33, s20, s3
	s_mul_i32 s20, s28, s72
	s_mul_hi_u32 s21, s28, s10
	s_ashr_i32 s73, s71, 31
	s_mul_i32 s2, s30, s70
	s_mul_hi_u32 s3, s30, s69
	s_add_i32 s20, s21, s20
	s_mul_i32 s21, s29, s10
	s_add_i32 s2, s3, s2
	s_mul_i32 s3, s31, s69
	;; [unrolled: 2-line block ×3, first 2 shown]
	s_mul_i32 s28, s66, s73
	s_mul_hi_u32 s29, s66, s71
	s_add_i32 s3, s2, s3
	s_mul_i32 s2, s30, s69
	s_add_i32 s28, s29, s28
	s_mul_i32 s29, s67, s71
	s_add_i32 s45, s28, s29
	s_lshl_b64 s[2:3], s[2:3], 2
	s_add_u32 s34, s34, s2
	s_addc_u32 s35, s35, s3
	s_lshl_b64 s[2:3], s[20:21], 2
	s_load_dwordx4 s[28:31], s[0:1], 0xf8
	s_load_dword s78, s[0:1], 0x108
	s_load_dword s69, s[0:1], 0x11c
	s_mul_i32 s44, s66, s71
	s_add_u32 s20, s34, s2
	s_addc_u32 s21, s35, s3
	s_lshl_b64 s[2:3], s[44:45], 2
	s_add_u32 s2, s20, s2
	s_addc_u32 s3, s21, s3
	s_cmp_gt_i32 s9, 0
	s_cselect_b64 s[20:21], -1, 0
	s_waitcnt lgkmcnt(0)
	s_cmp_gt_i32 s30, 0
	s_cselect_b64 s[34:35], -1, 0
	s_cmp_gt_i32 s31, 0
	s_cselect_b64 s[44:45], -1, 0
	;; [unrolled: 2-line block ×3, first 2 shown]
	s_abs_i32 s83, s12
	s_abs_i32 s84, s11
	v_cvt_f32_u32_e32 v1, s83
	v_cvt_f32_u32_e32 v3, s84
	s_abs_i32 s81, s68
	v_cvt_f32_u32_e32 v5, s81
	v_rcp_iflag_f32_e32 v1, v1
	v_rcp_iflag_f32_e32 v3, v3
	v_cmp_neq_f64_e64 s[0:1], s[24:25], 1.0
	v_cmp_neq_f64_e64 s[66:67], s[26:27], 0
	v_rcp_iflag_f32_e32 v5, v5
	s_or_b64 s[66:67], s[0:1], s[66:67]
	s_mul_i32 s0, s56, s73
	s_mul_hi_u32 s1, s56, s71
	v_mul_f32_e32 v1, 0x4f7ffffe, v1
	s_add_i32 s0, s1, s0
	s_mul_i32 s1, s57, s71
	v_cvt_u32_f32_e32 v1, v1
	v_mul_f32_e32 v3, 0x4f7ffffe, v3
	s_add_i32 s1, s0, s1
	s_mul_i32 s0, s56, s71
	s_mul_i32 s56, s58, s72
	s_mul_hi_u32 s57, s58, s10
	v_cvt_u32_f32_e32 v3, v3
	s_add_i32 s56, s57, s56
	s_mul_i32 s57, s59, s10
	v_mul_f32_e32 v5, 0x4f7ffffe, v5
	s_add_i32 s57, s56, s57
	s_mul_i32 s56, s58, s10
	s_sub_i32 s10, 0, s83
	v_cvt_u32_f32_e32 v5, v5
	s_sub_i32 s11, 0, s84
	v_mul_lo_u32 v2, s10, v1
	s_and_b32 s79, s69, 0xffff
	s_ashr_i32 s80, s68, 31
	s_lshl_b64 s[0:1], s[0:1], 2
	s_lshl_b64 s[56:57], s[56:57], 2
	s_ashr_i32 s82, s12, 31
	s_sub_i32 s58, 0, s81
	v_mul_lo_u32 v4, s11, v3
	v_mul_hi_u32 v2, v1, v2
	s_add_u32 s0, s0, s56
	v_add_u32_e32 v1, v1, v2
	v_mul_hi_u32 v2, v3, v4
	s_addc_u32 s1, s1, s57
	v_add_u32_e32 v8, v3, v2
	v_mul_lo_u32 v2, s58, v5
	v_mul_hi_u32 v2, v5, v2
	s_add_u32 s10, s22, s0
	v_add_u32_e32 v9, v5, v2
	s_addc_u32 s11, s23, s1
	s_mov_b64 s[22:23], 0
	s_lshl_b64 s[54:55], s[54:55], 2
	s_lshl_b64 s[52:53], s[52:53], 2
	;; [unrolled: 1-line block ×4, first 2 shown]
	s_branch .LBB63_3
.LBB63_2:                               ;   in Loop: Header=BB63_3 Depth=1
	v_add_u32_e32 v0, s79, v0
	v_cmp_le_i32_e32 vcc, s7, v0
	v_cvt_f32_f64_e32 v2, v[2:3]
	s_or_b64 s[22:23], vcc, s[22:23]
	global_store_dword v[4:5], v2, off
	s_andn2_b64 exec, exec, s[22:23]
	s_cbranch_execz .LBB63_20
.LBB63_3:                               ; =>This Loop Header: Depth=1
                                        ;     Child Loop BB63_6 Depth 2
                                        ;       Child Loop BB63_9 Depth 3
                                        ;         Child Loop BB63_12 Depth 4
                                        ;           Child Loop BB63_15 Depth 5
	v_sub_u32_e32 v4, 0, v0
	v_max_i32_e32 v4, v0, v4
	v_mul_hi_u32 v5, v4, v1
	v_mul_lo_u32 v6, v5, s83
	v_sub_u32_e32 v6, v4, v6
	v_add_u32_e32 v7, 1, v5
	v_cmp_le_u32_e32 vcc, s83, v6
	v_ashrrev_i32_e32 v2, 31, v0
	v_xor_b32_e32 v3, s82, v2
	v_cndmask_b32_e32 v5, v5, v7, vcc
	v_subrev_u32_e32 v7, s83, v6
	v_cndmask_b32_e32 v6, v6, v7, vcc
	v_add_u32_e32 v7, 1, v5
	v_cmp_le_u32_e32 vcc, s83, v6
	v_xor_b32_e32 v2, s80, v2
	s_nop 0
	v_cndmask_b32_e32 v5, v5, v7, vcc
	v_xor_b32_e32 v5, v5, v3
	v_sub_u32_e32 v3, v5, v3
	v_mul_lo_u32 v5, v3, s12
	v_sub_u32_e32 v6, 0, v3
	v_sub_u32_e32 v10, v0, v5
	v_ashrrev_i32_e32 v5, 31, v3
	v_max_i32_e32 v3, v3, v6
	v_mul_hi_u32 v6, v3, v8
	v_mul_lo_u32 v6, v6, s84
	v_sub_u32_e32 v3, v3, v6
	v_subrev_u32_e32 v6, s84, v3
	v_cmp_le_u32_e32 vcc, s84, v3
	s_nop 1
	v_cndmask_b32_e32 v3, v3, v6, vcc
	v_subrev_u32_e32 v6, s84, v3
	v_cmp_le_u32_e32 vcc, s84, v3
	s_nop 1
	v_cndmask_b32_e32 v3, v3, v6, vcc
	v_xor_b32_e32 v3, v3, v5
	v_sub_u32_e32 v11, v3, v5
	v_mul_hi_u32 v3, v4, v9
	v_mul_lo_u32 v5, v3, s81
	v_sub_u32_e32 v4, v4, v5
	v_add_u32_e32 v5, 1, v3
	v_cmp_le_u32_e32 vcc, s81, v4
	s_nop 1
	v_cndmask_b32_e32 v3, v3, v5, vcc
	v_subrev_u32_e32 v5, s81, v4
	v_cndmask_b32_e32 v4, v4, v5, vcc
	v_add_u32_e32 v5, 1, v3
	v_cmp_le_u32_e32 vcc, s81, v4
	s_nop 1
	v_cndmask_b32_e32 v3, v3, v5, vcc
	v_xor_b32_e32 v3, v3, v2
	s_andn2_b64 vcc, exec, s[20:21]
	v_sub_u32_e32 v12, v3, v2
	s_cbranch_vccnz .LBB63_17
; %bb.4:                                ;   in Loop: Header=BB63_3 Depth=1
	v_mul_lo_u32 v2, v12, s13
	v_subrev_u32_e32 v13, s19, v2
	v_mul_lo_u32 v2, v11, s14
	v_subrev_u32_e32 v14, s28, v2
	v_mul_lo_u32 v2, v10, s15
	v_subrev_u32_e32 v15, s29, v2
	s_mov_b32 s85, 0
	v_mov_b64_e32 v[2:3], 0
	s_mov_b64 s[56:57], s[10:11]
	s_branch .LBB63_6
.LBB63_5:                               ;   in Loop: Header=BB63_6 Depth=2
	s_add_i32 s85, s85, 1
	s_add_u32 s56, s56, s54
	s_addc_u32 s57, s57, s55
	s_cmp_eq_u32 s85, s9
	s_cbranch_scc1 .LBB63_18
.LBB63_6:                               ;   Parent Loop BB63_3 Depth=1
                                        ; =>  This Loop Header: Depth=2
                                        ;       Child Loop BB63_9 Depth 3
                                        ;         Child Loop BB63_12 Depth 4
                                        ;           Child Loop BB63_15 Depth 5
	s_andn2_b64 vcc, exec, s[34:35]
	s_cbranch_vccnz .LBB63_5
; %bb.7:                                ;   in Loop: Header=BB63_6 Depth=2
	s_mul_i32 s0, s43, s85
	s_mul_hi_u32 s1, s42, s85
	s_add_i32 s1, s1, s0
	s_mul_i32 s0, s42, s85
	s_lshl_b64 s[0:1], s[0:1], 2
	s_add_u32 s58, s8, s0
	s_addc_u32 s59, s33, s1
	s_mov_b32 s86, 0
	s_mov_b64 s[68:69], s[56:57]
	s_branch .LBB63_9
.LBB63_8:                               ;   in Loop: Header=BB63_9 Depth=3
	s_add_i32 s86, s86, 1
	s_add_u32 s68, s68, s52
	s_addc_u32 s69, s69, s53
	s_cmp_eq_u32 s86, s30
	s_cbranch_scc1 .LBB63_5
.LBB63_9:                               ;   Parent Loop BB63_3 Depth=1
                                        ;     Parent Loop BB63_6 Depth=2
                                        ; =>    This Loop Header: Depth=3
                                        ;         Child Loop BB63_12 Depth 4
                                        ;           Child Loop BB63_15 Depth 5
	s_andn2_b64 vcc, exec, s[44:45]
	s_cbranch_vccnz .LBB63_8
; %bb.10:                               ;   in Loop: Header=BB63_9 Depth=3
	s_mul_i32 s0, s86, s16
	v_add_u32_e32 v7, s0, v13
	v_cmp_gt_i32_e32 vcc, 0, v7
	v_cmp_le_i32_e64 s[0:1], s4, v7
	s_or_b64 s[70:71], vcc, s[0:1]
	v_mad_u64_u32 v[4:5], s[0:1], s40, v7, 0
	v_mov_b32_e32 v6, v5
	v_mad_u64_u32 v[6:7], s[0:1], s41, v7, v[6:7]
	v_mov_b32_e32 v5, v6
	s_mov_b32 s87, 0
	v_lshl_add_u64 v[4:5], v[4:5], 2, s[58:59]
	s_mov_b64 s[72:73], s[68:69]
	s_branch .LBB63_12
.LBB63_11:                              ;   in Loop: Header=BB63_12 Depth=4
	s_add_i32 s87, s87, 1
	s_add_u32 s72, s72, s50
	s_addc_u32 s73, s73, s51
	s_cmp_eq_u32 s87, s31
	s_cbranch_scc1 .LBB63_8
.LBB63_12:                              ;   Parent Loop BB63_3 Depth=1
                                        ;     Parent Loop BB63_6 Depth=2
                                        ;       Parent Loop BB63_9 Depth=3
                                        ; =>      This Loop Header: Depth=4
                                        ;           Child Loop BB63_15 Depth 5
	s_andn2_b64 vcc, exec, s[46:47]
	s_cbranch_vccnz .LBB63_11
; %bb.13:                               ;   in Loop: Header=BB63_12 Depth=4
	s_mul_i32 s0, s87, s17
	v_add_u32_e32 v17, s0, v14
	v_cmp_gt_i32_e32 vcc, 0, v17
	v_cmp_le_i32_e64 s[0:1], s5, v17
	s_or_b64 s[74:75], vcc, s[0:1]
	v_mad_u64_u32 v[6:7], s[0:1], s38, v17, 0
	v_mov_b32_e32 v16, v7
	v_mad_u64_u32 v[16:17], s[0:1], s39, v17, v[16:17]
	v_mov_b32_e32 v7, v16
	v_lshl_add_u64 v[6:7], v[6:7], 2, v[4:5]
	v_mov_b32_e32 v16, v15
	s_mov_b64 s[76:77], s[72:73]
	s_mov_b32 s88, s78
	s_branch .LBB63_15
.LBB63_14:                              ;   in Loop: Header=BB63_15 Depth=5
	s_or_b64 exec, exec, s[0:1]
	s_add_i32 s88, s88, -1
	s_add_u32 s76, s76, s48
	s_addc_u32 s77, s77, s49
	s_cmp_eq_u32 s88, 0
	v_add_u32_e32 v16, s18, v16
	s_cbranch_scc1 .LBB63_11
.LBB63_15:                              ;   Parent Loop BB63_3 Depth=1
                                        ;     Parent Loop BB63_6 Depth=2
                                        ;       Parent Loop BB63_9 Depth=3
                                        ;         Parent Loop BB63_12 Depth=4
                                        ; =>        This Inner Loop Header: Depth=5
	v_cmp_gt_i32_e32 vcc, 0, v16
	v_cmp_le_i32_e64 s[0:1], s6, v16
	s_or_b64 s[0:1], vcc, s[0:1]
	s_or_b64 s[0:1], s[70:71], s[0:1]
	s_or_b64 s[0:1], s[74:75], s[0:1]
	s_xor_b64 s[90:91], s[0:1], -1
	s_and_saveexec_b64 s[0:1], s[90:91]
	s_cbranch_execz .LBB63_14
; %bb.16:                               ;   in Loop: Header=BB63_15 Depth=5
	v_mad_u64_u32 v[18:19], s[90:91], s36, v16, 0
	v_mov_b32_e32 v20, v19
	v_mad_u64_u32 v[20:21], s[90:91], s37, v16, v[20:21]
	v_mov_b32_e32 v19, v20
	v_lshl_add_u64 v[18:19], v[18:19], 2, v[6:7]
	global_load_dword v17, v[18:19], off
	s_load_dword s89, s[76:77], 0x0
	s_waitcnt lgkmcnt(0)
	s_and_b32 s89, s89, 0xffffe000
	v_cvt_f64_f32_e32 v[20:21], s89
	s_waitcnt vmcnt(0)
	v_and_b32_e32 v17, 0xffffe000, v17
	v_cvt_f64_f32_e32 v[18:19], v17
	v_fmac_f64_e32 v[2:3], v[18:19], v[20:21]
	s_branch .LBB63_14
.LBB63_17:                              ;   in Loop: Header=BB63_3 Depth=1
	v_mov_b64_e32 v[2:3], 0
.LBB63_18:                              ;   in Loop: Header=BB63_3 Depth=1
	v_ashrrev_i32_e32 v4, 31, v12
	v_mul_lo_u32 v6, s65, v12
	v_mul_lo_u32 v7, s64, v4
	v_mad_u64_u32 v[4:5], s[0:1], s64, v12, 0
	v_add3_u32 v5, v5, v7, v6
	v_ashrrev_i32_e32 v6, 31, v11
	v_mul_lo_u32 v12, s63, v11
	v_mul_lo_u32 v13, s62, v6
	v_mad_u64_u32 v[6:7], s[0:1], s62, v11, 0
	v_ashrrev_i32_e32 v11, 31, v10
	v_add3_u32 v7, v7, v13, v12
	v_mul_lo_u32 v12, s61, v10
	v_mul_lo_u32 v13, s60, v11
	v_mad_u64_u32 v[10:11], s[0:1], s60, v10, 0
	v_lshl_add_u64 v[4:5], v[4:5], 2, s[2:3]
	v_add3_u32 v11, v11, v13, v12
	v_lshl_add_u64 v[4:5], v[6:7], 2, v[4:5]
	s_andn2_b64 vcc, exec, s[66:67]
	v_lshl_add_u64 v[4:5], v[10:11], 2, v[4:5]
	s_cbranch_vccnz .LBB63_2
; %bb.19:                               ;   in Loop: Header=BB63_3 Depth=1
	global_load_dword v6, v[4:5], off
	s_waitcnt vmcnt(0)
	v_cvt_f64_f32_e32 v[6:7], v6
	v_mul_f64 v[6:7], v[6:7], s[26:27]
	v_fmac_f64_e32 v[6:7], s[24:25], v[2:3]
	v_mov_b64_e32 v[2:3], v[6:7]
	s_branch .LBB63_2
.LBB63_20:
	s_endpgm
	.section	.rodata,"a",@progbits
	.p2align	6, 0x0
	.amdhsa_kernel naive_conv_ab_nonpacked_fwd_ncdhw_float_double_float_1
		.amdhsa_group_segment_fixed_size 0
		.amdhsa_private_segment_fixed_size 0
		.amdhsa_kernarg_size 528
		.amdhsa_user_sgpr_count 2
		.amdhsa_user_sgpr_dispatch_ptr 0
		.amdhsa_user_sgpr_queue_ptr 0
		.amdhsa_user_sgpr_kernarg_segment_ptr 1
		.amdhsa_user_sgpr_dispatch_id 0
		.amdhsa_user_sgpr_kernarg_preload_length 0
		.amdhsa_user_sgpr_kernarg_preload_offset 0
		.amdhsa_user_sgpr_private_segment_size 0
		.amdhsa_uses_dynamic_stack 0
		.amdhsa_enable_private_segment 0
		.amdhsa_system_sgpr_workgroup_id_x 1
		.amdhsa_system_sgpr_workgroup_id_y 0
		.amdhsa_system_sgpr_workgroup_id_z 0
		.amdhsa_system_sgpr_workgroup_info 0
		.amdhsa_system_vgpr_workitem_id 0
		.amdhsa_next_free_vgpr 22
		.amdhsa_next_free_sgpr 92
		.amdhsa_accum_offset 24
		.amdhsa_reserve_vcc 1
		.amdhsa_float_round_mode_32 0
		.amdhsa_float_round_mode_16_64 0
		.amdhsa_float_denorm_mode_32 3
		.amdhsa_float_denorm_mode_16_64 3
		.amdhsa_dx10_clamp 1
		.amdhsa_ieee_mode 1
		.amdhsa_fp16_overflow 0
		.amdhsa_tg_split 0
		.amdhsa_exception_fp_ieee_invalid_op 0
		.amdhsa_exception_fp_denorm_src 0
		.amdhsa_exception_fp_ieee_div_zero 0
		.amdhsa_exception_fp_ieee_overflow 0
		.amdhsa_exception_fp_ieee_underflow 0
		.amdhsa_exception_fp_ieee_inexact 0
		.amdhsa_exception_int_div_zero 0
	.end_amdhsa_kernel
	.text
.Lfunc_end63:
	.size	naive_conv_ab_nonpacked_fwd_ncdhw_float_double_float_1, .Lfunc_end63-naive_conv_ab_nonpacked_fwd_ncdhw_float_double_float_1
                                        ; -- End function
	.section	.AMDGPU.csdata,"",@progbits
; Kernel info:
; codeLenInByte = 1864
; NumSgprs: 98
; NumVgprs: 22
; NumAgprs: 0
; TotalNumVgprs: 22
; ScratchSize: 0
; MemoryBound: 0
; FloatMode: 240
; IeeeMode: 1
; LDSByteSize: 0 bytes/workgroup (compile time only)
; SGPRBlocks: 12
; VGPRBlocks: 2
; NumSGPRsForWavesPerEU: 98
; NumVGPRsForWavesPerEU: 22
; AccumOffset: 24
; Occupancy: 8
; WaveLimiterHint : 1
; COMPUTE_PGM_RSRC2:SCRATCH_EN: 0
; COMPUTE_PGM_RSRC2:USER_SGPR: 2
; COMPUTE_PGM_RSRC2:TRAP_HANDLER: 0
; COMPUTE_PGM_RSRC2:TGID_X_EN: 1
; COMPUTE_PGM_RSRC2:TGID_Y_EN: 0
; COMPUTE_PGM_RSRC2:TGID_Z_EN: 0
; COMPUTE_PGM_RSRC2:TIDIG_COMP_CNT: 0
; COMPUTE_PGM_RSRC3_GFX90A:ACCUM_OFFSET: 5
; COMPUTE_PGM_RSRC3_GFX90A:TG_SPLIT: 0
	.text
	.protected	naive_conv_ab_packed_fwd_ncdhw_half_double_half_0 ; -- Begin function naive_conv_ab_packed_fwd_ncdhw_half_double_half_0
	.globl	naive_conv_ab_packed_fwd_ncdhw_half_double_half_0
	.p2align	8
	.type	naive_conv_ab_packed_fwd_ncdhw_half_double_half_0,@function
naive_conv_ab_packed_fwd_ncdhw_half_double_half_0: ; @naive_conv_ab_packed_fwd_ncdhw_half_double_half_0
; %bb.0:
	s_load_dwordx16 s[4:19], s[0:1], 0xb8
	s_abs_i32 s3, s2
	s_waitcnt lgkmcnt(0)
	s_abs_i32 s20, s8
	v_cvt_f32_u32_e32 v1, s20
	s_sub_i32 s21, 0, s20
	s_mul_i32 s28, s8, s7
	s_mul_i32 s46, s12, s11
	v_rcp_iflag_f32_e32 v1, v1
	s_nop 0
	v_mul_f32_e32 v1, 0x4f7ffffe, v1
	v_cvt_u32_f32_e32 v1, v1
	s_nop 0
	v_readfirstlane_b32 s22, v1
	s_mul_i32 s21, s21, s22
	s_mul_hi_u32 s21, s22, s21
	s_add_i32 s22, s22, s21
	s_mul_hi_u32 s21, s3, s22
	s_mul_i32 s22, s21, s20
	s_sub_i32 s22, s3, s22
	s_add_i32 s23, s21, 1
	s_sub_i32 s24, s22, s20
	s_cmp_ge_u32 s22, s20
	s_cselect_b32 s21, s23, s21
	s_cselect_b32 s22, s24, s22
	s_add_i32 s23, s21, 1
	s_cmp_ge_u32 s22, s20
	s_cselect_b32 s29, s23, s21
	s_abs_i32 s38, s7
	s_abs_i32 s33, s28
	v_cvt_f32_u32_e32 v1, s38
	v_cvt_f32_u32_e32 v2, s33
	s_mul_i32 s7, s46, s10
	v_cmp_gt_i32_e32 vcc, s7, v0
	v_rcp_iflag_f32_e32 v1, v1
	v_rcp_iflag_f32_e32 v2, v2
	v_mul_f32_e32 v1, 0x4f7ffffe, v1
	v_mul_f32_e32 v2, 0x4f7ffffe, v2
	v_cvt_u32_f32_e32 v1, v1
	v_cvt_u32_f32_e32 v2, v2
	v_readfirstlane_b32 s31, v1
	v_readfirstlane_b32 s30, v2
	s_and_saveexec_b64 s[20:21], vcc
	s_cbranch_execz .LBB64_22
; %bb.1:
	s_ashr_i32 s39, s2, 31
	s_ashr_i32 s34, s8, 31
	s_xor_b32 s34, s39, s34
	s_xor_b32 s29, s29, s34
	s_sub_i32 s40, s29, s34
	s_sub_i32 s29, 0, s38
	s_mul_i32 s29, s29, s31
	s_mul_hi_u32 s29, s31, s29
	s_ashr_i32 s44, s28, 31
	s_sub_i32 s28, 0, s33
	s_abs_i32 s42, s40
	s_add_i32 s31, s31, s29
	s_mul_i32 s28, s28, s30
	s_mul_hi_u32 s43, s42, s31
	s_mul_hi_u32 s28, s30, s28
	s_add_i32 s30, s30, s28
	s_mul_i32 s43, s43, s38
	s_load_dwordx8 s[20:27], s[0:1], 0x0
	s_ashr_i32 s41, s40, 31
	s_load_dwordx2 s[34:35], s[0:1], 0x108
	s_mul_hi_u32 s45, s3, s30
	s_load_dwordx2 s[36:37], s[0:1], 0x20
	s_load_dwordx4 s[28:31], s[0:1], 0xf8
	s_load_dword s47, s[0:1], 0x11c
	s_mul_i32 s40, s40, s8
	s_sub_i32 s1, s42, s43
	s_sub_i32 s40, s2, s40
	;; [unrolled: 1-line block ×3, first 2 shown]
	s_cmp_ge_u32 s1, s38
	s_cselect_b32 s1, s2, s1
	s_sub_i32 s2, s1, s38
	s_cmp_ge_u32 s1, s38
	s_cselect_b32 s1, s2, s1
	s_mul_i32 s2, s45, s33
	s_xor_b32 s1, s1, s41
	s_sub_i32 s2, s3, s2
	s_waitcnt lgkmcnt(0)
	s_mul_i32 s48, s35, s8
	s_mul_i32 s0, s35, s9
	s_sub_i32 s38, s1, s41
	s_xor_b32 s1, s39, s44
	s_add_i32 s3, s45, 1
	s_sub_i32 s35, s2, s33
	s_cmp_ge_u32 s2, s33
	s_cselect_b32 s3, s3, s45
	s_cselect_b32 s2, s35, s2
	s_add_i32 s35, s3, 1
	s_cmp_ge_u32 s2, s33
	s_cselect_b32 s2, s35, s3
	s_xor_b32 s2, s2, s1
	s_sub_i32 s35, s2, s1
	s_mul_hi_i32 s1, s38, s0
	s_mul_i32 s0, s38, s0
	s_ashr_i32 s33, s4, 31
	s_ashr_i32 s63, s5, 31
	;; [unrolled: 1-line block ×4, first 2 shown]
	s_mul_i32 s3, s35, s9
	s_mul_hi_i32 s2, s35, s9
	s_add_u32 s0, s3, s0
	s_mul_i32 s3, s5, s4
	s_mov_b32 s62, s4
	s_mov_b32 s64, s5
	s_addc_u32 s1, s2, s1
	s_mul_hi_i32 s2, s5, s4
	s_mul_i32 s4, s3, s65
	s_mul_hi_u32 s5, s3, s6
	s_add_i32 s4, s5, s4
	s_mul_i32 s2, s2, s6
	s_mul_i32 s3, s3, s6
	s_add_i32 s2, s4, s2
	s_mul_i32 s1, s3, s1
	s_mul_hi_u32 s4, s3, s0
	s_add_i32 s1, s4, s1
	s_mul_i32 s2, s2, s0
	s_add_i32 s1, s1, s2
	s_mul_i32 s0, s3, s0
	s_lshl_b64 s[0:1], s[0:1], 1
	s_add_u32 s2, s20, s0
	s_addc_u32 s3, s21, s1
	s_mul_hi_i32 s0, s35, s8
	s_mul_i32 s1, s35, s8
	s_ashr_i32 s8, s30, 31
	s_ashr_i32 s35, s34, 31
	;; [unrolled: 1-line block ×3, first 2 shown]
	s_add_u32 s50, s1, s40
	s_addc_u32 s51, s0, s4
	s_mul_hi_i32 s0, s38, s48
	s_mul_i32 s38, s38, s48
	s_ashr_i32 s68, s12, 31
	s_mul_i32 s5, s11, s10
	s_add_u32 s4, s50, s38
	s_mul_hi_i32 s1, s11, s10
	s_mul_i32 s10, s5, s68
	s_mul_hi_u32 s20, s5, s12
	s_addc_u32 s0, s51, s0
	s_add_i32 s10, s20, s10
	s_mul_i32 s1, s1, s12
	s_mul_i32 s5, s5, s12
	s_add_i32 s1, s10, s1
	s_mul_i32 s0, s5, s0
	s_mul_hi_u32 s10, s5, s4
	s_add_i32 s0, s10, s0
	s_mul_i32 s1, s1, s4
	s_add_i32 s1, s0, s1
	s_mul_i32 s0, s5, s4
	s_lshl_b64 s[0:1], s[0:1], 1
	s_add_u32 s4, s36, s0
	s_addc_u32 s5, s37, s1
	s_cmp_gt_i32 s9, 0
	s_cselect_b64 s[20:21], -1, 0
	s_cmp_gt_i32 s30, 0
	s_cselect_b64 s[36:37], -1, 0
	;; [unrolled: 2-line block ×4, first 2 shown]
	s_abs_i32 s69, s12
	v_cvt_f32_u32_e32 v1, s69
	s_abs_i32 s71, s11
	v_cvt_f32_u32_e32 v2, s71
	s_abs_i32 s73, s46
	v_rcp_iflag_f32_e32 v1, v1
	v_cmp_neq_f64_e64 s[0:1], s[24:25], 1.0
	v_cmp_neq_f64_e64 s[44:45], s[26:27], 0
	v_cvt_f32_u32_e32 v4, s73
	v_mul_f32_e32 v1, 0x4f7ffffe, v1
	v_cvt_u32_f32_e32 v1, v1
	s_or_b64 s[44:45], s[0:1], s[44:45]
	s_sub_i32 s0, 0, s69
	v_rcp_iflag_f32_e32 v2, v2
	v_mul_lo_u32 v3, s0, v1
	v_mul_hi_u32 v3, v1, v3
	v_add_u32_e32 v1, v1, v3
	v_rcp_iflag_f32_e32 v3, v4
	v_mul_f32_e32 v2, 0x4f7ffffe, v2
	v_cvt_u32_f32_e32 v2, v2
	s_sub_i32 s0, 0, s71
	v_mul_f32_e32 v3, 0x4f7ffffe, v3
	v_cvt_u32_f32_e32 v3, v3
	v_mul_lo_u32 v4, s0, v2
	v_mul_hi_u32 v4, v2, v4
	s_sub_i32 s0, 0, s73
	v_add_u32_e32 v14, v2, v4
	v_mul_lo_u32 v2, s0, v3
	s_mul_i32 s0, s34, s31
	s_mul_i32 s10, s0, s30
	s_mov_b32 s70, s11
	s_mul_i32 s1, s10, s51
	s_mul_hi_u32 s11, s10, s50
	s_ashr_i32 s74, s46, 31
	s_add_i32 s46, s11, s1
	s_mul_hi_i32 s1, s34, s31
	s_mul_i32 s8, s0, s8
	s_mul_hi_u32 s11, s0, s30
	s_add_i32 s8, s11, s8
	s_mul_i32 s11, s1, s30
	s_add_i32 s11, s8, s11
	s_mov_b32 s67, s31
	s_mul_i32 s8, s11, s50
	s_mul_i32 s31, s10, s50
	s_and_b32 s72, s47, 0xffff
	s_add_i32 s8, s46, s8
	s_mul_i32 s46, s31, s49
	s_mul_hi_u32 s47, s31, s9
	s_add_i32 s46, s47, s46
	s_mul_i32 s8, s8, s9
	s_add_i32 s47, s46, s8
	s_mul_i32 s46, s31, s9
	s_mov_b32 s66, s9
	s_lshl_b64 s[8:9], s[46:47], 1
	v_mul_hi_u32 v2, v3, v2
	s_add_u32 s8, s22, s8
	s_mov_b64 s[42:43], 0
	v_add_u32_e32 v15, v3, v2
	s_addc_u32 s9, s23, s9
	s_lshl_b64 s[10:11], s[10:11], 1
	s_lshl_b64 s[22:23], s[0:1], 1
	;; [unrolled: 1-line block ×3, first 2 shown]
	v_mov_b32_e32 v3, 0
	s_branch .LBB64_3
.LBB64_2:                               ;   in Loop: Header=BB64_3 Depth=1
	v_add_u32_e32 v0, s72, v0
	v_cmp_le_i32_e32 vcc, s7, v0
	s_or_b64 s[42:43], vcc, s[42:43]
	s_andn2_b64 exec, exec, s[42:43]
	s_cbranch_execz .LBB64_22
.LBB64_3:                               ; =>This Loop Header: Depth=1
                                        ;     Child Loop BB64_6 Depth 2
                                        ;       Child Loop BB64_9 Depth 3
                                        ;         Child Loop BB64_12 Depth 4
                                        ;           Child Loop BB64_15 Depth 5
	v_sub_u32_e32 v5, 0, v0
	v_max_i32_e32 v5, v0, v5
	v_mul_hi_u32 v6, v5, v1
	v_mul_lo_u32 v7, v6, s69
	v_sub_u32_e32 v7, v5, v7
	v_add_u32_e32 v8, 1, v6
	v_cmp_le_u32_e32 vcc, s69, v7
	v_ashrrev_i32_e32 v2, 31, v0
	v_xor_b32_e32 v4, s68, v2
	v_cndmask_b32_e32 v6, v6, v8, vcc
	v_subrev_u32_e32 v8, s69, v7
	v_cndmask_b32_e32 v7, v7, v8, vcc
	v_add_u32_e32 v8, 1, v6
	v_cmp_le_u32_e32 vcc, s69, v7
	v_xor_b32_e32 v2, s74, v2
	s_nop 0
	v_cndmask_b32_e32 v6, v6, v8, vcc
	v_xor_b32_e32 v6, v6, v4
	v_sub_u32_e32 v6, v6, v4
	v_sub_u32_e32 v8, 0, v6
	v_mul_lo_u32 v4, v6, s12
	v_ashrrev_i32_e32 v7, 31, v6
	v_max_i32_e32 v6, v6, v8
	v_mul_hi_u32 v8, v6, v14
	v_mul_lo_u32 v8, v8, s71
	v_sub_u32_e32 v6, v6, v8
	v_subrev_u32_e32 v8, s71, v6
	v_cmp_le_u32_e32 vcc, s71, v6
	v_sub_u32_e32 v4, v0, v4
	s_nop 0
	v_cndmask_b32_e32 v6, v6, v8, vcc
	v_subrev_u32_e32 v8, s71, v6
	v_cmp_le_u32_e32 vcc, s71, v6
	s_nop 1
	v_cndmask_b32_e32 v6, v6, v8, vcc
	v_xor_b32_e32 v6, v6, v7
	v_sub_u32_e32 v8, v6, v7
	v_mul_hi_u32 v6, v5, v15
	v_mul_lo_u32 v7, v6, s73
	v_sub_u32_e32 v5, v5, v7
	v_add_u32_e32 v7, 1, v6
	v_cmp_le_u32_e32 vcc, s73, v5
	s_nop 1
	v_cndmask_b32_e32 v6, v6, v7, vcc
	v_subrev_u32_e32 v7, s73, v5
	v_cndmask_b32_e32 v5, v5, v7, vcc
	v_add_u32_e32 v7, 1, v6
	v_cmp_le_u32_e32 vcc, s73, v5
	s_nop 1
	v_cndmask_b32_e32 v5, v6, v7, vcc
	v_xor_b32_e32 v5, v5, v2
	s_andn2_b64 vcc, exec, s[20:21]
	v_sub_u32_e32 v5, v5, v2
	s_cbranch_vccnz .LBB64_17
; %bb.4:                                ;   in Loop: Header=BB64_3 Depth=1
	v_mul_lo_u32 v2, v5, s13
	v_subrev_u32_e32 v9, s19, v2
	v_mul_lo_u32 v2, v8, s14
	v_subrev_u32_e32 v16, s28, v2
	;; [unrolled: 2-line block ×3, first 2 shown]
	s_mov_b32 s31, 0
	v_mov_b64_e32 v[6:7], 0
	s_mov_b64 s[48:49], s[8:9]
	s_branch .LBB64_6
.LBB64_5:                               ;   in Loop: Header=BB64_6 Depth=2
	s_add_i32 s31, s31, 1
	s_add_u32 s48, s48, s10
	s_addc_u32 s49, s49, s11
	s_cmp_eq_u32 s31, s66
	s_cbranch_scc1 .LBB64_18
.LBB64_6:                               ;   Parent Loop BB64_3 Depth=1
                                        ; =>  This Loop Header: Depth=2
                                        ;       Child Loop BB64_9 Depth 3
                                        ;         Child Loop BB64_12 Depth 4
                                        ;           Child Loop BB64_15 Depth 5
	s_andn2_b64 vcc, exec, s[36:37]
	s_cbranch_vccnz .LBB64_5
; %bb.7:                                ;   in Loop: Header=BB64_6 Depth=2
	s_mul_i32 s0, s31, s33
	s_mul_hi_u32 s1, s31, s62
	s_add_i32 s51, s1, s0
	s_mul_i32 s50, s31, s62
	s_mov_b32 s35, 0
	s_mov_b64 s[52:53], s[48:49]
	s_branch .LBB64_9
.LBB64_8:                               ;   in Loop: Header=BB64_9 Depth=3
	s_add_i32 s35, s35, 1
	s_add_u32 s52, s52, s22
	s_addc_u32 s53, s53, s23
	s_cmp_eq_u32 s35, s30
	s_cbranch_scc1 .LBB64_5
.LBB64_9:                               ;   Parent Loop BB64_3 Depth=1
                                        ;     Parent Loop BB64_6 Depth=2
                                        ; =>    This Loop Header: Depth=3
                                        ;         Child Loop BB64_12 Depth 4
                                        ;           Child Loop BB64_15 Depth 5
	s_andn2_b64 vcc, exec, s[38:39]
	s_cbranch_vccnz .LBB64_8
; %bb.10:                               ;   in Loop: Header=BB64_9 Depth=3
	s_mul_i32 s0, s35, s16
	v_add_u32_e32 v2, s0, v9
	v_cmp_gt_i32_e32 vcc, 0, v2
	v_cmp_le_i32_e64 s[0:1], s62, v2
	v_lshl_add_u64 v[10:11], s[50:51], 0, v[2:3]
	s_or_b64 s[54:55], vcc, s[0:1]
	v_mul_lo_u32 v2, v11, s64
	v_mul_lo_u32 v12, v10, s63
	v_mad_u64_u32 v[10:11], s[0:1], v10, s64, 0
	s_mov_b32 s75, 0
	v_add3_u32 v11, v11, v12, v2
	s_mov_b64 s[56:57], s[52:53]
	s_branch .LBB64_12
.LBB64_11:                              ;   in Loop: Header=BB64_12 Depth=4
	s_add_i32 s75, s75, 1
	s_add_u32 s56, s56, s46
	s_addc_u32 s57, s57, s47
	s_cmp_eq_u32 s75, s67
	s_cbranch_scc1 .LBB64_8
.LBB64_12:                              ;   Parent Loop BB64_3 Depth=1
                                        ;     Parent Loop BB64_6 Depth=2
                                        ;       Parent Loop BB64_9 Depth=3
                                        ; =>      This Loop Header: Depth=4
                                        ;           Child Loop BB64_15 Depth 5
	s_andn2_b64 vcc, exec, s[40:41]
	s_cbranch_vccnz .LBB64_11
; %bb.13:                               ;   in Loop: Header=BB64_12 Depth=4
	s_mul_i32 s0, s75, s17
	v_add_u32_e32 v2, s0, v16
	v_cmp_gt_i32_e32 vcc, 0, v2
	v_cmp_le_i32_e64 s[0:1], s64, v2
	v_lshl_add_u64 v[12:13], v[10:11], 0, v[2:3]
	s_or_b64 s[58:59], vcc, s[0:1]
	v_mul_lo_u32 v2, v13, s6
	v_mul_lo_u32 v18, v12, s65
	v_mad_u64_u32 v[12:13], s[0:1], v12, s6, 0
	v_add3_u32 v13, v13, v18, v2
	v_lshl_add_u64 v[12:13], v[12:13], 1, s[2:3]
	v_mov_b32_e32 v2, v17
	s_mov_b64 s[60:61], s[56:57]
	s_mov_b32 s76, s34
	s_branch .LBB64_15
.LBB64_14:                              ;   in Loop: Header=BB64_15 Depth=5
	s_or_b64 exec, exec, s[0:1]
	s_add_i32 s76, s76, -1
	s_add_u32 s60, s60, 2
	s_addc_u32 s61, s61, 0
	s_cmp_eq_u32 s76, 0
	v_add_u32_e32 v2, s18, v2
	s_cbranch_scc1 .LBB64_11
.LBB64_15:                              ;   Parent Loop BB64_3 Depth=1
                                        ;     Parent Loop BB64_6 Depth=2
                                        ;       Parent Loop BB64_9 Depth=3
                                        ;         Parent Loop BB64_12 Depth=4
                                        ; =>        This Inner Loop Header: Depth=5
	v_cmp_gt_i32_e32 vcc, 0, v2
	v_cmp_le_i32_e64 s[0:1], s6, v2
	s_or_b64 s[0:1], vcc, s[0:1]
	s_or_b64 s[0:1], s[54:55], s[0:1]
	s_or_b64 s[0:1], s[58:59], s[0:1]
	s_xor_b64 s[78:79], s[0:1], -1
	s_and_saveexec_b64 s[0:1], s[78:79]
	s_cbranch_execz .LBB64_14
; %bb.16:                               ;   in Loop: Header=BB64_15 Depth=5
	v_lshl_add_u64 v[18:19], v[2:3], 1, v[12:13]
	global_load_ushort v18, v[18:19], off
	s_nop 0
	global_load_ushort v19, v3, s[60:61]
	s_waitcnt vmcnt(1)
	v_cvt_f32_f16_e32 v18, v18
	s_waitcnt vmcnt(0)
	v_cvt_f32_f16_e32 v20, v19
	v_cvt_f64_f32_e32 v[18:19], v18
	v_cvt_f64_f32_e32 v[20:21], v20
	v_fmac_f64_e32 v[6:7], v[18:19], v[20:21]
	s_branch .LBB64_14
.LBB64_17:                              ;   in Loop: Header=BB64_3 Depth=1
	v_mov_b64_e32 v[6:7], 0
.LBB64_18:                              ;   in Loop: Header=BB64_3 Depth=1
	v_ashrrev_i32_e32 v9, 31, v8
	v_mad_i64_i32 v[8:9], s[0:1], v5, s70, v[8:9]
	v_ashrrev_i32_e32 v5, 31, v4
	v_mad_u64_u32 v[4:5], s[0:1], v8, s12, v[4:5]
	v_mul_lo_u32 v2, v8, s68
	v_mul_lo_u32 v8, v9, s12
	v_add3_u32 v5, v8, v5, v2
	s_mov_b64 s[0:1], -1
	s_and_b64 vcc, exec, s[44:45]
	v_lshl_add_u64 v[4:5], v[4:5], 1, s[4:5]
	s_cbranch_vccz .LBB64_20
; %bb.19:                               ;   in Loop: Header=BB64_3 Depth=1
	global_load_ushort v2, v[4:5], off
	s_mov_b64 s[0:1], 0
	s_waitcnt vmcnt(0)
	v_cvt_f32_f16_e32 v2, v2
	v_cvt_f64_f32_e32 v[8:9], v2
	v_mul_f64 v[8:9], v[8:9], s[26:27]
	v_fmac_f64_e32 v[8:9], s[24:25], v[6:7]
	v_cvt_f32_f64_e32 v2, v[8:9]
	v_cvt_f16_f32_e32 v2, v2
	global_store_short v[4:5], v2, off
.LBB64_20:                              ;   in Loop: Header=BB64_3 Depth=1
	s_andn2_b64 vcc, exec, s[0:1]
	s_cbranch_vccnz .LBB64_2
; %bb.21:                               ;   in Loop: Header=BB64_3 Depth=1
	v_cvt_f32_f64_e32 v2, v[6:7]
	v_cvt_f16_f32_e32 v2, v2
	global_store_short v[4:5], v2, off
	s_branch .LBB64_2
.LBB64_22:
	s_endpgm
	.section	.rodata,"a",@progbits
	.p2align	6, 0x0
	.amdhsa_kernel naive_conv_ab_packed_fwd_ncdhw_half_double_half_0
		.amdhsa_group_segment_fixed_size 0
		.amdhsa_private_segment_fixed_size 0
		.amdhsa_kernarg_size 528
		.amdhsa_user_sgpr_count 2
		.amdhsa_user_sgpr_dispatch_ptr 0
		.amdhsa_user_sgpr_queue_ptr 0
		.amdhsa_user_sgpr_kernarg_segment_ptr 1
		.amdhsa_user_sgpr_dispatch_id 0
		.amdhsa_user_sgpr_kernarg_preload_length 0
		.amdhsa_user_sgpr_kernarg_preload_offset 0
		.amdhsa_user_sgpr_private_segment_size 0
		.amdhsa_uses_dynamic_stack 0
		.amdhsa_enable_private_segment 0
		.amdhsa_system_sgpr_workgroup_id_x 1
		.amdhsa_system_sgpr_workgroup_id_y 0
		.amdhsa_system_sgpr_workgroup_id_z 0
		.amdhsa_system_sgpr_workgroup_info 0
		.amdhsa_system_vgpr_workitem_id 0
		.amdhsa_next_free_vgpr 22
		.amdhsa_next_free_sgpr 80
		.amdhsa_accum_offset 24
		.amdhsa_reserve_vcc 1
		.amdhsa_float_round_mode_32 0
		.amdhsa_float_round_mode_16_64 0
		.amdhsa_float_denorm_mode_32 3
		.amdhsa_float_denorm_mode_16_64 3
		.amdhsa_dx10_clamp 1
		.amdhsa_ieee_mode 1
		.amdhsa_fp16_overflow 0
		.amdhsa_tg_split 0
		.amdhsa_exception_fp_ieee_invalid_op 0
		.amdhsa_exception_fp_denorm_src 0
		.amdhsa_exception_fp_ieee_div_zero 0
		.amdhsa_exception_fp_ieee_overflow 0
		.amdhsa_exception_fp_ieee_underflow 0
		.amdhsa_exception_fp_ieee_inexact 0
		.amdhsa_exception_int_div_zero 0
	.end_amdhsa_kernel
	.text
.Lfunc_end64:
	.size	naive_conv_ab_packed_fwd_ncdhw_half_double_half_0, .Lfunc_end64-naive_conv_ab_packed_fwd_ncdhw_half_double_half_0
                                        ; -- End function
	.section	.AMDGPU.csdata,"",@progbits
; Kernel info:
; codeLenInByte = 1856
; NumSgprs: 86
; NumVgprs: 22
; NumAgprs: 0
; TotalNumVgprs: 22
; ScratchSize: 0
; MemoryBound: 0
; FloatMode: 240
; IeeeMode: 1
; LDSByteSize: 0 bytes/workgroup (compile time only)
; SGPRBlocks: 10
; VGPRBlocks: 2
; NumSGPRsForWavesPerEU: 86
; NumVGPRsForWavesPerEU: 22
; AccumOffset: 24
; Occupancy: 8
; WaveLimiterHint : 1
; COMPUTE_PGM_RSRC2:SCRATCH_EN: 0
; COMPUTE_PGM_RSRC2:USER_SGPR: 2
; COMPUTE_PGM_RSRC2:TRAP_HANDLER: 0
; COMPUTE_PGM_RSRC2:TGID_X_EN: 1
; COMPUTE_PGM_RSRC2:TGID_Y_EN: 0
; COMPUTE_PGM_RSRC2:TGID_Z_EN: 0
; COMPUTE_PGM_RSRC2:TIDIG_COMP_CNT: 0
; COMPUTE_PGM_RSRC3_GFX90A:ACCUM_OFFSET: 5
; COMPUTE_PGM_RSRC3_GFX90A:TG_SPLIT: 0
	.text
	.protected	naive_conv_ab_nonpacked_fwd_ncdhw_half_double_half_0 ; -- Begin function naive_conv_ab_nonpacked_fwd_ncdhw_half_double_half_0
	.globl	naive_conv_ab_nonpacked_fwd_ncdhw_half_double_half_0
	.p2align	8
	.type	naive_conv_ab_nonpacked_fwd_ncdhw_half_double_half_0,@function
naive_conv_ab_nonpacked_fwd_ncdhw_half_double_half_0: ; @naive_conv_ab_nonpacked_fwd_ncdhw_half_double_half_0
; %bb.0:
	s_load_dwordx16 s[4:19], s[0:1], 0xb8
	s_abs_i32 s3, s2
	s_waitcnt lgkmcnt(0)
	s_abs_i32 s20, s8
	v_cvt_f32_u32_e32 v1, s20
	s_sub_i32 s21, 0, s20
	s_mul_i32 s28, s8, s7
	s_mul_i32 s68, s12, s11
	v_rcp_iflag_f32_e32 v1, v1
	s_nop 0
	v_mul_f32_e32 v1, 0x4f7ffffe, v1
	v_cvt_u32_f32_e32 v1, v1
	s_nop 0
	v_readfirstlane_b32 s22, v1
	s_mul_i32 s21, s21, s22
	s_mul_hi_u32 s21, s22, s21
	s_add_i32 s22, s22, s21
	s_mul_hi_u32 s21, s3, s22
	s_mul_i32 s22, s21, s20
	s_sub_i32 s22, s3, s22
	s_add_i32 s23, s21, 1
	s_sub_i32 s24, s22, s20
	s_cmp_ge_u32 s22, s20
	s_cselect_b32 s21, s23, s21
	s_cselect_b32 s22, s24, s22
	s_add_i32 s23, s21, 1
	s_cmp_ge_u32 s22, s20
	s_cselect_b32 s29, s23, s21
	s_abs_i32 s69, s7
	s_abs_i32 s33, s28
	v_cvt_f32_u32_e32 v1, s69
	v_cvt_f32_u32_e32 v2, s33
	s_mul_i32 s7, s68, s10
	v_cmp_gt_i32_e32 vcc, s7, v0
	v_rcp_iflag_f32_e32 v1, v1
	v_rcp_iflag_f32_e32 v2, v2
	v_mul_f32_e32 v1, 0x4f7ffffe, v1
	v_mul_f32_e32 v2, 0x4f7ffffe, v2
	v_cvt_u32_f32_e32 v1, v1
	v_cvt_u32_f32_e32 v2, v2
	v_readfirstlane_b32 s30, v1
	v_readfirstlane_b32 s10, v2
	s_and_saveexec_b64 s[20:21], vcc
	s_cbranch_execz .LBB65_22
; %bb.1:
	s_ashr_i32 s70, s2, 31
	s_ashr_i32 s31, s8, 31
	s_xor_b32 s31, s70, s31
	s_xor_b32 s29, s29, s31
	s_sub_i32 s71, s29, s31
	s_sub_i32 s29, 0, s69
	s_mul_i32 s29, s29, s30
	s_mul_hi_u32 s29, s30, s29
	s_abs_i32 s73, s71
	s_add_i32 s30, s30, s29
	s_mul_hi_u32 s74, s73, s30
	s_ashr_i32 s75, s28, 31
	s_sub_i32 s28, 0, s33
	s_ashr_i32 s72, s71, 31
	s_mul_i32 s28, s28, s10
	s_mul_i32 s71, s71, s8
	;; [unrolled: 1-line block ×3, first 2 shown]
	s_mul_hi_u32 s28, s10, s28
	s_sub_i32 s71, s2, s71
	s_sub_i32 s2, s73, s74
	s_add_i32 s10, s10, s28
	s_sub_i32 s8, s2, s69
	s_cmp_ge_u32 s2, s69
	s_cselect_b32 s2, s8, s2
	s_sub_i32 s8, s2, s69
	s_mul_hi_u32 s10, s3, s10
	s_cmp_ge_u32 s2, s69
	s_cselect_b32 s2, s8, s2
	s_mul_i32 s8, s10, s33
	s_xor_b32 s2, s2, s72
	s_sub_i32 s3, s3, s8
	s_sub_i32 s69, s2, s72
	s_xor_b32 s2, s70, s75
	s_add_i32 s8, s10, 1
	s_sub_i32 s70, s3, s33
	s_cmp_ge_u32 s3, s33
	s_cselect_b32 s8, s8, s10
	s_cselect_b32 s3, s70, s3
	s_add_i32 s10, s8, 1
	s_cmp_ge_u32 s3, s33
	s_load_dwordx8 s[20:27], s[0:1], 0x0
	s_load_dwordx2 s[34:35], s[0:1], 0x20
	s_load_dwordx16 s[36:51], s[0:1], 0x28
	s_load_dwordx16 s[52:67], s[0:1], 0x68
	s_load_dwordx4 s[28:31], s[0:1], 0xa8
	s_cselect_b32 s3, s10, s8
	s_xor_b32 s3, s3, s2
	s_sub_i32 s10, s3, s2
	s_ashr_i32 s70, s69, 31
	s_waitcnt lgkmcnt(0)
	s_mul_i32 s2, s46, s70
	s_mul_hi_u32 s3, s46, s69
	s_ashr_i32 s72, s10, 31
	s_add_i32 s2, s3, s2
	s_mul_i32 s3, s47, s69
	s_mul_i32 s8, s44, s72
	s_mul_hi_u32 s33, s44, s10
	s_add_i32 s3, s2, s3
	s_mul_i32 s2, s46, s69
	s_add_i32 s8, s33, s8
	s_mul_i32 s33, s45, s10
	s_add_i32 s45, s8, s33
	s_lshl_b64 s[2:3], s[2:3], 1
	s_mul_i32 s44, s44, s10
	s_add_u32 s8, s20, s2
	s_addc_u32 s20, s21, s3
	s_lshl_b64 s[2:3], s[44:45], 1
	s_add_u32 s8, s8, s2
	s_addc_u32 s33, s20, s3
	s_mul_i32 s20, s28, s72
	s_mul_hi_u32 s21, s28, s10
	s_ashr_i32 s73, s71, 31
	s_mul_i32 s2, s30, s70
	s_mul_hi_u32 s3, s30, s69
	s_add_i32 s20, s21, s20
	s_mul_i32 s21, s29, s10
	s_add_i32 s2, s3, s2
	s_mul_i32 s3, s31, s69
	;; [unrolled: 2-line block ×3, first 2 shown]
	s_mul_i32 s28, s66, s73
	s_mul_hi_u32 s29, s66, s71
	s_add_i32 s3, s2, s3
	s_mul_i32 s2, s30, s69
	s_add_i32 s28, s29, s28
	s_mul_i32 s29, s67, s71
	s_add_i32 s45, s28, s29
	s_lshl_b64 s[2:3], s[2:3], 1
	s_add_u32 s34, s34, s2
	s_addc_u32 s35, s35, s3
	s_lshl_b64 s[2:3], s[20:21], 1
	s_load_dwordx4 s[28:31], s[0:1], 0xf8
	s_load_dword s78, s[0:1], 0x108
	s_load_dword s69, s[0:1], 0x11c
	s_mul_i32 s44, s66, s71
	s_add_u32 s20, s34, s2
	s_addc_u32 s21, s35, s3
	s_lshl_b64 s[2:3], s[44:45], 1
	s_add_u32 s2, s20, s2
	s_addc_u32 s3, s21, s3
	s_cmp_gt_i32 s9, 0
	s_cselect_b64 s[20:21], -1, 0
	s_waitcnt lgkmcnt(0)
	s_cmp_gt_i32 s30, 0
	s_cselect_b64 s[34:35], -1, 0
	s_cmp_gt_i32 s31, 0
	s_cselect_b64 s[44:45], -1, 0
	s_cmp_gt_i32 s78, 0
	s_cselect_b64 s[46:47], -1, 0
	s_abs_i32 s83, s12
	s_abs_i32 s84, s11
	v_cvt_f32_u32_e32 v1, s83
	v_cvt_f32_u32_e32 v3, s84
	s_abs_i32 s81, s68
	v_cvt_f32_u32_e32 v5, s81
	v_rcp_iflag_f32_e32 v1, v1
	v_rcp_iflag_f32_e32 v3, v3
	v_cmp_neq_f64_e64 s[0:1], s[24:25], 1.0
	v_cmp_neq_f64_e64 s[66:67], s[26:27], 0
	v_rcp_iflag_f32_e32 v5, v5
	s_or_b64 s[66:67], s[0:1], s[66:67]
	s_mul_i32 s0, s56, s73
	s_mul_hi_u32 s1, s56, s71
	v_mul_f32_e32 v1, 0x4f7ffffe, v1
	s_add_i32 s0, s1, s0
	s_mul_i32 s1, s57, s71
	v_cvt_u32_f32_e32 v1, v1
	v_mul_f32_e32 v3, 0x4f7ffffe, v3
	s_add_i32 s1, s0, s1
	s_mul_i32 s0, s56, s71
	s_mul_i32 s56, s58, s72
	s_mul_hi_u32 s57, s58, s10
	v_cvt_u32_f32_e32 v3, v3
	s_add_i32 s56, s57, s56
	s_mul_i32 s57, s59, s10
	v_mul_f32_e32 v5, 0x4f7ffffe, v5
	s_add_i32 s57, s56, s57
	s_mul_i32 s56, s58, s10
	s_sub_i32 s10, 0, s83
	v_cvt_u32_f32_e32 v5, v5
	s_sub_i32 s11, 0, s84
	v_mul_lo_u32 v2, s10, v1
	s_and_b32 s79, s69, 0xffff
	s_ashr_i32 s80, s68, 31
	s_lshl_b64 s[0:1], s[0:1], 1
	s_lshl_b64 s[56:57], s[56:57], 1
	s_ashr_i32 s82, s12, 31
	s_sub_i32 s58, 0, s81
	v_mul_lo_u32 v4, s11, v3
	v_mul_hi_u32 v2, v1, v2
	s_add_u32 s0, s0, s56
	v_add_u32_e32 v1, v1, v2
	v_mul_hi_u32 v2, v3, v4
	s_addc_u32 s1, s1, s57
	v_add_u32_e32 v8, v3, v2
	v_mul_lo_u32 v2, s58, v5
	v_mul_hi_u32 v2, v5, v2
	s_add_u32 s10, s22, s0
	v_add_u32_e32 v9, v5, v2
	s_addc_u32 s11, s23, s1
	v_mov_b32_e32 v10, 0
	s_mov_b64 s[22:23], 0
	s_lshl_b64 s[54:55], s[54:55], 1
	s_lshl_b64 s[52:53], s[52:53], 1
	;; [unrolled: 1-line block ×4, first 2 shown]
	s_branch .LBB65_3
.LBB65_2:                               ;   in Loop: Header=BB65_3 Depth=1
	v_add_u32_e32 v0, s79, v0
	v_cmp_le_i32_e32 vcc, s7, v0
	s_or_b64 s[22:23], vcc, s[22:23]
	s_andn2_b64 exec, exec, s[22:23]
	s_cbranch_execz .LBB65_22
.LBB65_3:                               ; =>This Loop Header: Depth=1
                                        ;     Child Loop BB65_6 Depth 2
                                        ;       Child Loop BB65_9 Depth 3
                                        ;         Child Loop BB65_12 Depth 4
                                        ;           Child Loop BB65_15 Depth 5
	v_sub_u32_e32 v4, 0, v0
	v_max_i32_e32 v4, v0, v4
	v_mul_hi_u32 v5, v4, v1
	v_mul_lo_u32 v6, v5, s83
	v_sub_u32_e32 v6, v4, v6
	v_add_u32_e32 v7, 1, v5
	v_cmp_le_u32_e32 vcc, s83, v6
	v_ashrrev_i32_e32 v2, 31, v0
	v_xor_b32_e32 v3, s82, v2
	v_cndmask_b32_e32 v5, v5, v7, vcc
	v_subrev_u32_e32 v7, s83, v6
	v_cndmask_b32_e32 v6, v6, v7, vcc
	v_add_u32_e32 v7, 1, v5
	v_cmp_le_u32_e32 vcc, s83, v6
	v_xor_b32_e32 v2, s80, v2
	s_nop 0
	v_cndmask_b32_e32 v5, v5, v7, vcc
	v_xor_b32_e32 v5, v5, v3
	v_sub_u32_e32 v3, v5, v3
	v_mul_lo_u32 v5, v3, s12
	v_sub_u32_e32 v6, 0, v3
	v_sub_u32_e32 v11, v0, v5
	v_ashrrev_i32_e32 v5, 31, v3
	v_max_i32_e32 v3, v3, v6
	v_mul_hi_u32 v6, v3, v8
	v_mul_lo_u32 v6, v6, s84
	v_sub_u32_e32 v3, v3, v6
	v_subrev_u32_e32 v6, s84, v3
	v_cmp_le_u32_e32 vcc, s84, v3
	s_nop 1
	v_cndmask_b32_e32 v3, v3, v6, vcc
	v_subrev_u32_e32 v6, s84, v3
	v_cmp_le_u32_e32 vcc, s84, v3
	s_nop 1
	v_cndmask_b32_e32 v3, v3, v6, vcc
	v_xor_b32_e32 v3, v3, v5
	v_sub_u32_e32 v12, v3, v5
	v_mul_hi_u32 v3, v4, v9
	v_mul_lo_u32 v5, v3, s81
	v_sub_u32_e32 v4, v4, v5
	v_add_u32_e32 v5, 1, v3
	v_cmp_le_u32_e32 vcc, s81, v4
	s_nop 1
	v_cndmask_b32_e32 v3, v3, v5, vcc
	v_subrev_u32_e32 v5, s81, v4
	v_cndmask_b32_e32 v4, v4, v5, vcc
	v_add_u32_e32 v5, 1, v3
	v_cmp_le_u32_e32 vcc, s81, v4
	s_nop 1
	v_cndmask_b32_e32 v3, v3, v5, vcc
	v_xor_b32_e32 v3, v3, v2
	s_andn2_b64 vcc, exec, s[20:21]
	v_sub_u32_e32 v13, v3, v2
	s_cbranch_vccnz .LBB65_17
; %bb.4:                                ;   in Loop: Header=BB65_3 Depth=1
	v_mul_lo_u32 v2, v13, s13
	v_subrev_u32_e32 v14, s19, v2
	v_mul_lo_u32 v2, v12, s14
	v_subrev_u32_e32 v15, s28, v2
	;; [unrolled: 2-line block ×3, first 2 shown]
	s_mov_b32 s85, 0
	v_mov_b64_e32 v[2:3], 0
	s_mov_b64 s[56:57], s[10:11]
	s_branch .LBB65_6
.LBB65_5:                               ;   in Loop: Header=BB65_6 Depth=2
	s_add_i32 s85, s85, 1
	s_add_u32 s56, s56, s54
	s_addc_u32 s57, s57, s55
	s_cmp_eq_u32 s85, s9
	s_cbranch_scc1 .LBB65_18
.LBB65_6:                               ;   Parent Loop BB65_3 Depth=1
                                        ; =>  This Loop Header: Depth=2
                                        ;       Child Loop BB65_9 Depth 3
                                        ;         Child Loop BB65_12 Depth 4
                                        ;           Child Loop BB65_15 Depth 5
	s_andn2_b64 vcc, exec, s[34:35]
	s_cbranch_vccnz .LBB65_5
; %bb.7:                                ;   in Loop: Header=BB65_6 Depth=2
	s_mul_i32 s0, s43, s85
	s_mul_hi_u32 s1, s42, s85
	s_add_i32 s1, s1, s0
	s_mul_i32 s0, s42, s85
	s_lshl_b64 s[0:1], s[0:1], 1
	s_add_u32 s58, s8, s0
	s_addc_u32 s59, s33, s1
	s_mov_b32 s86, 0
	s_mov_b64 s[68:69], s[56:57]
	s_branch .LBB65_9
.LBB65_8:                               ;   in Loop: Header=BB65_9 Depth=3
	s_add_i32 s86, s86, 1
	s_add_u32 s68, s68, s52
	s_addc_u32 s69, s69, s53
	s_cmp_eq_u32 s86, s30
	s_cbranch_scc1 .LBB65_5
.LBB65_9:                               ;   Parent Loop BB65_3 Depth=1
                                        ;     Parent Loop BB65_6 Depth=2
                                        ; =>    This Loop Header: Depth=3
                                        ;         Child Loop BB65_12 Depth 4
                                        ;           Child Loop BB65_15 Depth 5
	s_andn2_b64 vcc, exec, s[44:45]
	s_cbranch_vccnz .LBB65_8
; %bb.10:                               ;   in Loop: Header=BB65_9 Depth=3
	s_mul_i32 s0, s86, s16
	v_add_u32_e32 v7, s0, v14
	v_cmp_gt_i32_e32 vcc, 0, v7
	v_cmp_le_i32_e64 s[0:1], s4, v7
	s_or_b64 s[70:71], vcc, s[0:1]
	v_mad_u64_u32 v[4:5], s[0:1], s40, v7, 0
	v_mov_b32_e32 v6, v5
	v_mad_u64_u32 v[6:7], s[0:1], s41, v7, v[6:7]
	v_mov_b32_e32 v5, v6
	s_mov_b32 s87, 0
	v_lshl_add_u64 v[4:5], v[4:5], 1, s[58:59]
	s_mov_b64 s[72:73], s[68:69]
	s_branch .LBB65_12
.LBB65_11:                              ;   in Loop: Header=BB65_12 Depth=4
	s_add_i32 s87, s87, 1
	s_add_u32 s72, s72, s50
	s_addc_u32 s73, s73, s51
	s_cmp_eq_u32 s87, s31
	s_cbranch_scc1 .LBB65_8
.LBB65_12:                              ;   Parent Loop BB65_3 Depth=1
                                        ;     Parent Loop BB65_6 Depth=2
                                        ;       Parent Loop BB65_9 Depth=3
                                        ; =>      This Loop Header: Depth=4
                                        ;           Child Loop BB65_15 Depth 5
	s_andn2_b64 vcc, exec, s[46:47]
	s_cbranch_vccnz .LBB65_11
; %bb.13:                               ;   in Loop: Header=BB65_12 Depth=4
	s_mul_i32 s0, s87, s17
	v_add_u32_e32 v17, s0, v15
	v_cmp_gt_i32_e32 vcc, 0, v17
	v_cmp_le_i32_e64 s[0:1], s5, v17
	s_or_b64 s[74:75], vcc, s[0:1]
	v_mad_u64_u32 v[6:7], s[0:1], s38, v17, 0
	v_mov_b32_e32 v18, v7
	v_mad_u64_u32 v[18:19], s[0:1], s39, v17, v[18:19]
	v_mov_b32_e32 v7, v18
	v_lshl_add_u64 v[6:7], v[6:7], 1, v[4:5]
	v_mov_b32_e32 v17, v16
	s_mov_b64 s[76:77], s[72:73]
	s_mov_b32 s88, s78
	s_branch .LBB65_15
.LBB65_14:                              ;   in Loop: Header=BB65_15 Depth=5
	s_or_b64 exec, exec, s[0:1]
	s_add_i32 s88, s88, -1
	s_add_u32 s76, s76, s48
	s_addc_u32 s77, s77, s49
	s_cmp_eq_u32 s88, 0
	v_add_u32_e32 v17, s18, v17
	s_cbranch_scc1 .LBB65_11
.LBB65_15:                              ;   Parent Loop BB65_3 Depth=1
                                        ;     Parent Loop BB65_6 Depth=2
                                        ;       Parent Loop BB65_9 Depth=3
                                        ;         Parent Loop BB65_12 Depth=4
                                        ; =>        This Inner Loop Header: Depth=5
	v_cmp_gt_i32_e32 vcc, 0, v17
	v_cmp_le_i32_e64 s[0:1], s6, v17
	s_or_b64 s[0:1], vcc, s[0:1]
	s_or_b64 s[0:1], s[70:71], s[0:1]
	s_or_b64 s[0:1], s[74:75], s[0:1]
	s_xor_b64 s[90:91], s[0:1], -1
	s_and_saveexec_b64 s[0:1], s[90:91]
	s_cbranch_execz .LBB65_14
; %bb.16:                               ;   in Loop: Header=BB65_15 Depth=5
	v_mad_u64_u32 v[18:19], s[90:91], s36, v17, 0
	v_mov_b32_e32 v20, v19
	v_mad_u64_u32 v[20:21], s[90:91], s37, v17, v[20:21]
	v_mov_b32_e32 v19, v20
	v_lshl_add_u64 v[18:19], v[18:19], 1, v[6:7]
	global_load_ushort v18, v[18:19], off
	s_nop 0
	global_load_ushort v19, v10, s[76:77]
	s_waitcnt vmcnt(1)
	v_cvt_f32_f16_e32 v18, v18
	s_waitcnt vmcnt(0)
	v_cvt_f32_f16_e32 v20, v19
	v_cvt_f64_f32_e32 v[18:19], v18
	v_cvt_f64_f32_e32 v[20:21], v20
	v_fmac_f64_e32 v[2:3], v[18:19], v[20:21]
	s_branch .LBB65_14
.LBB65_17:                              ;   in Loop: Header=BB65_3 Depth=1
	v_mov_b64_e32 v[2:3], 0
.LBB65_18:                              ;   in Loop: Header=BB65_3 Depth=1
	v_ashrrev_i32_e32 v4, 31, v11
	v_mul_lo_u32 v14, s61, v11
	v_mul_lo_u32 v15, s60, v4
	v_mad_u64_u32 v[4:5], s[0:1], s60, v11, 0
	v_ashrrev_i32_e32 v7, 31, v12
	v_add3_u32 v5, v5, v15, v14
	v_mad_u64_u32 v[4:5], s[0:1], s62, v12, v[4:5]
	v_mul_lo_u32 v11, s63, v12
	v_mul_lo_u32 v7, s62, v7
	v_ashrrev_i32_e32 v6, 31, v13
	v_add3_u32 v5, v11, v5, v7
	v_mad_u64_u32 v[4:5], s[0:1], s64, v13, v[4:5]
	v_mul_lo_u32 v7, s65, v13
	v_mul_lo_u32 v6, s64, v6
	v_add3_u32 v5, v7, v5, v6
	s_mov_b64 s[0:1], -1
	s_and_b64 vcc, exec, s[66:67]
	v_lshl_add_u64 v[4:5], v[4:5], 1, s[2:3]
	s_cbranch_vccz .LBB65_20
; %bb.19:                               ;   in Loop: Header=BB65_3 Depth=1
	global_load_ushort v6, v[4:5], off
	s_mov_b64 s[0:1], 0
	s_waitcnt vmcnt(0)
	v_cvt_f32_f16_e32 v6, v6
	v_cvt_f64_f32_e32 v[6:7], v6
	v_mul_f64 v[6:7], v[6:7], s[26:27]
	v_fmac_f64_e32 v[6:7], s[24:25], v[2:3]
	v_cvt_f32_f64_e32 v6, v[6:7]
	v_cvt_f16_f32_e32 v6, v6
	global_store_short v[4:5], v6, off
.LBB65_20:                              ;   in Loop: Header=BB65_3 Depth=1
	s_andn2_b64 vcc, exec, s[0:1]
	s_cbranch_vccnz .LBB65_2
; %bb.21:                               ;   in Loop: Header=BB65_3 Depth=1
	v_cvt_f32_f64_e32 v2, v[2:3]
	v_cvt_f16_f32_e32 v2, v2
	global_store_short v[4:5], v2, off
	s_branch .LBB65_2
.LBB65_22:
	s_endpgm
	.section	.rodata,"a",@progbits
	.p2align	6, 0x0
	.amdhsa_kernel naive_conv_ab_nonpacked_fwd_ncdhw_half_double_half_0
		.amdhsa_group_segment_fixed_size 0
		.amdhsa_private_segment_fixed_size 0
		.amdhsa_kernarg_size 528
		.amdhsa_user_sgpr_count 2
		.amdhsa_user_sgpr_dispatch_ptr 0
		.amdhsa_user_sgpr_queue_ptr 0
		.amdhsa_user_sgpr_kernarg_segment_ptr 1
		.amdhsa_user_sgpr_dispatch_id 0
		.amdhsa_user_sgpr_kernarg_preload_length 0
		.amdhsa_user_sgpr_kernarg_preload_offset 0
		.amdhsa_user_sgpr_private_segment_size 0
		.amdhsa_uses_dynamic_stack 0
		.amdhsa_enable_private_segment 0
		.amdhsa_system_sgpr_workgroup_id_x 1
		.amdhsa_system_sgpr_workgroup_id_y 0
		.amdhsa_system_sgpr_workgroup_id_z 0
		.amdhsa_system_sgpr_workgroup_info 0
		.amdhsa_system_vgpr_workitem_id 0
		.amdhsa_next_free_vgpr 22
		.amdhsa_next_free_sgpr 92
		.amdhsa_accum_offset 24
		.amdhsa_reserve_vcc 1
		.amdhsa_float_round_mode_32 0
		.amdhsa_float_round_mode_16_64 0
		.amdhsa_float_denorm_mode_32 3
		.amdhsa_float_denorm_mode_16_64 3
		.amdhsa_dx10_clamp 1
		.amdhsa_ieee_mode 1
		.amdhsa_fp16_overflow 0
		.amdhsa_tg_split 0
		.amdhsa_exception_fp_ieee_invalid_op 0
		.amdhsa_exception_fp_denorm_src 0
		.amdhsa_exception_fp_ieee_div_zero 0
		.amdhsa_exception_fp_ieee_overflow 0
		.amdhsa_exception_fp_ieee_underflow 0
		.amdhsa_exception_fp_ieee_inexact 0
		.amdhsa_exception_int_div_zero 0
	.end_amdhsa_kernel
	.text
.Lfunc_end65:
	.size	naive_conv_ab_nonpacked_fwd_ncdhw_half_double_half_0, .Lfunc_end65-naive_conv_ab_nonpacked_fwd_ncdhw_half_double_half_0
                                        ; -- End function
	.section	.AMDGPU.csdata,"",@progbits
; Kernel info:
; codeLenInByte = 1884
; NumSgprs: 98
; NumVgprs: 22
; NumAgprs: 0
; TotalNumVgprs: 22
; ScratchSize: 0
; MemoryBound: 0
; FloatMode: 240
; IeeeMode: 1
; LDSByteSize: 0 bytes/workgroup (compile time only)
; SGPRBlocks: 12
; VGPRBlocks: 2
; NumSGPRsForWavesPerEU: 98
; NumVGPRsForWavesPerEU: 22
; AccumOffset: 24
; Occupancy: 8
; WaveLimiterHint : 1
; COMPUTE_PGM_RSRC2:SCRATCH_EN: 0
; COMPUTE_PGM_RSRC2:USER_SGPR: 2
; COMPUTE_PGM_RSRC2:TRAP_HANDLER: 0
; COMPUTE_PGM_RSRC2:TGID_X_EN: 1
; COMPUTE_PGM_RSRC2:TGID_Y_EN: 0
; COMPUTE_PGM_RSRC2:TGID_Z_EN: 0
; COMPUTE_PGM_RSRC2:TIDIG_COMP_CNT: 0
; COMPUTE_PGM_RSRC3_GFX90A:ACCUM_OFFSET: 5
; COMPUTE_PGM_RSRC3_GFX90A:TG_SPLIT: 0
	.text
	.protected	naive_conv_ab_packed_fwd_ncdhw_ushort_double_ushort_0 ; -- Begin function naive_conv_ab_packed_fwd_ncdhw_ushort_double_ushort_0
	.globl	naive_conv_ab_packed_fwd_ncdhw_ushort_double_ushort_0
	.p2align	8
	.type	naive_conv_ab_packed_fwd_ncdhw_ushort_double_ushort_0,@function
naive_conv_ab_packed_fwd_ncdhw_ushort_double_ushort_0: ; @naive_conv_ab_packed_fwd_ncdhw_ushort_double_ushort_0
; %bb.0:
	s_load_dwordx16 s[4:19], s[0:1], 0xb8
	s_abs_i32 s3, s2
	s_waitcnt lgkmcnt(0)
	s_abs_i32 s20, s8
	v_cvt_f32_u32_e32 v1, s20
	s_sub_i32 s21, 0, s20
	s_mul_i32 s28, s8, s7
	s_mul_i32 s46, s12, s11
	v_rcp_iflag_f32_e32 v1, v1
	s_nop 0
	v_mul_f32_e32 v1, 0x4f7ffffe, v1
	v_cvt_u32_f32_e32 v1, v1
	s_nop 0
	v_readfirstlane_b32 s22, v1
	s_mul_i32 s21, s21, s22
	s_mul_hi_u32 s21, s22, s21
	s_add_i32 s22, s22, s21
	s_mul_hi_u32 s21, s3, s22
	s_mul_i32 s22, s21, s20
	s_sub_i32 s22, s3, s22
	s_add_i32 s23, s21, 1
	s_sub_i32 s24, s22, s20
	s_cmp_ge_u32 s22, s20
	s_cselect_b32 s21, s23, s21
	s_cselect_b32 s22, s24, s22
	s_add_i32 s23, s21, 1
	s_cmp_ge_u32 s22, s20
	s_cselect_b32 s29, s23, s21
	s_abs_i32 s38, s7
	s_abs_i32 s33, s28
	v_cvt_f32_u32_e32 v1, s38
	v_cvt_f32_u32_e32 v2, s33
	s_mul_i32 s7, s46, s10
	v_cmp_gt_i32_e32 vcc, s7, v0
	v_rcp_iflag_f32_e32 v1, v1
	v_rcp_iflag_f32_e32 v2, v2
	v_mul_f32_e32 v1, 0x4f7ffffe, v1
	v_mul_f32_e32 v2, 0x4f7ffffe, v2
	v_cvt_u32_f32_e32 v1, v1
	v_cvt_u32_f32_e32 v2, v2
	v_readfirstlane_b32 s31, v1
	v_readfirstlane_b32 s30, v2
	s_and_saveexec_b64 s[20:21], vcc
	s_cbranch_execz .LBB66_22
; %bb.1:
	s_ashr_i32 s39, s2, 31
	s_ashr_i32 s34, s8, 31
	s_xor_b32 s34, s39, s34
	s_xor_b32 s29, s29, s34
	s_sub_i32 s40, s29, s34
	s_sub_i32 s29, 0, s38
	s_mul_i32 s29, s29, s31
	s_mul_hi_u32 s29, s31, s29
	s_ashr_i32 s44, s28, 31
	s_sub_i32 s28, 0, s33
	s_abs_i32 s42, s40
	s_add_i32 s31, s31, s29
	s_mul_i32 s28, s28, s30
	s_mul_hi_u32 s43, s42, s31
	s_mul_hi_u32 s28, s30, s28
	s_add_i32 s30, s30, s28
	s_mul_i32 s43, s43, s38
	s_load_dwordx8 s[20:27], s[0:1], 0x0
	s_ashr_i32 s41, s40, 31
	s_load_dwordx2 s[34:35], s[0:1], 0x108
	s_mul_hi_u32 s45, s3, s30
	s_load_dwordx2 s[36:37], s[0:1], 0x20
	s_load_dwordx4 s[28:31], s[0:1], 0xf8
	s_load_dword s47, s[0:1], 0x11c
	s_mul_i32 s40, s40, s8
	s_sub_i32 s1, s42, s43
	s_sub_i32 s40, s2, s40
	;; [unrolled: 1-line block ×3, first 2 shown]
	s_cmp_ge_u32 s1, s38
	s_cselect_b32 s1, s2, s1
	s_sub_i32 s2, s1, s38
	s_cmp_ge_u32 s1, s38
	s_cselect_b32 s1, s2, s1
	s_mul_i32 s2, s45, s33
	s_xor_b32 s1, s1, s41
	s_sub_i32 s2, s3, s2
	s_waitcnt lgkmcnt(0)
	s_mul_i32 s48, s35, s8
	s_mul_i32 s0, s35, s9
	s_sub_i32 s38, s1, s41
	s_xor_b32 s1, s39, s44
	s_add_i32 s3, s45, 1
	s_sub_i32 s35, s2, s33
	s_cmp_ge_u32 s2, s33
	s_cselect_b32 s3, s3, s45
	s_cselect_b32 s2, s35, s2
	s_add_i32 s35, s3, 1
	s_cmp_ge_u32 s2, s33
	s_cselect_b32 s2, s35, s3
	s_xor_b32 s2, s2, s1
	s_sub_i32 s35, s2, s1
	s_mul_hi_i32 s1, s38, s0
	s_mul_i32 s0, s38, s0
	s_ashr_i32 s33, s4, 31
	s_ashr_i32 s63, s5, 31
	;; [unrolled: 1-line block ×4, first 2 shown]
	s_mul_i32 s3, s35, s9
	s_mul_hi_i32 s2, s35, s9
	s_add_u32 s0, s3, s0
	s_mul_i32 s3, s5, s4
	s_mov_b32 s62, s4
	s_mov_b32 s64, s5
	s_addc_u32 s1, s2, s1
	s_mul_hi_i32 s2, s5, s4
	s_mul_i32 s4, s3, s65
	s_mul_hi_u32 s5, s3, s6
	s_add_i32 s4, s5, s4
	s_mul_i32 s2, s2, s6
	s_mul_i32 s3, s3, s6
	s_add_i32 s2, s4, s2
	s_mul_i32 s1, s3, s1
	s_mul_hi_u32 s4, s3, s0
	s_add_i32 s1, s4, s1
	s_mul_i32 s2, s2, s0
	s_add_i32 s1, s1, s2
	s_mul_i32 s0, s3, s0
	s_lshl_b64 s[0:1], s[0:1], 1
	s_add_u32 s2, s20, s0
	s_addc_u32 s3, s21, s1
	s_mul_hi_i32 s0, s35, s8
	s_mul_i32 s1, s35, s8
	s_ashr_i32 s8, s30, 31
	s_ashr_i32 s35, s34, 31
	;; [unrolled: 1-line block ×3, first 2 shown]
	s_add_u32 s50, s1, s40
	s_addc_u32 s51, s0, s4
	s_mul_hi_i32 s0, s38, s48
	s_mul_i32 s38, s38, s48
	s_ashr_i32 s68, s12, 31
	s_mul_i32 s5, s11, s10
	s_add_u32 s4, s50, s38
	s_mul_hi_i32 s1, s11, s10
	s_mul_i32 s10, s5, s68
	s_mul_hi_u32 s20, s5, s12
	s_addc_u32 s0, s51, s0
	s_add_i32 s10, s20, s10
	s_mul_i32 s1, s1, s12
	s_mul_i32 s5, s5, s12
	s_add_i32 s1, s10, s1
	s_mul_i32 s0, s5, s0
	s_mul_hi_u32 s10, s5, s4
	s_add_i32 s0, s10, s0
	s_mul_i32 s1, s1, s4
	s_add_i32 s1, s0, s1
	s_mul_i32 s0, s5, s4
	s_lshl_b64 s[0:1], s[0:1], 1
	s_add_u32 s4, s36, s0
	s_addc_u32 s5, s37, s1
	s_cmp_gt_i32 s9, 0
	s_cselect_b64 s[20:21], -1, 0
	s_cmp_gt_i32 s30, 0
	s_cselect_b64 s[36:37], -1, 0
	;; [unrolled: 2-line block ×4, first 2 shown]
	s_abs_i32 s69, s12
	v_cvt_f32_u32_e32 v1, s69
	s_abs_i32 s71, s11
	v_cvt_f32_u32_e32 v2, s71
	s_abs_i32 s73, s46
	v_rcp_iflag_f32_e32 v1, v1
	v_cmp_neq_f64_e64 s[0:1], s[24:25], 1.0
	v_cmp_neq_f64_e64 s[44:45], s[26:27], 0
	v_cvt_f32_u32_e32 v4, s73
	v_mul_f32_e32 v1, 0x4f7ffffe, v1
	v_cvt_u32_f32_e32 v1, v1
	s_or_b64 s[44:45], s[0:1], s[44:45]
	s_sub_i32 s0, 0, s69
	v_rcp_iflag_f32_e32 v2, v2
	v_mul_lo_u32 v3, s0, v1
	v_mul_hi_u32 v3, v1, v3
	v_add_u32_e32 v1, v1, v3
	v_rcp_iflag_f32_e32 v3, v4
	v_mul_f32_e32 v2, 0x4f7ffffe, v2
	v_cvt_u32_f32_e32 v2, v2
	s_sub_i32 s0, 0, s71
	v_mul_f32_e32 v3, 0x4f7ffffe, v3
	v_cvt_u32_f32_e32 v3, v3
	v_mul_lo_u32 v4, s0, v2
	v_mul_hi_u32 v4, v2, v4
	s_sub_i32 s0, 0, s73
	v_add_u32_e32 v14, v2, v4
	v_mul_lo_u32 v2, s0, v3
	s_mul_i32 s0, s34, s31
	s_mul_i32 s10, s0, s30
	s_mov_b32 s70, s11
	s_mul_i32 s1, s10, s51
	s_mul_hi_u32 s11, s10, s50
	s_ashr_i32 s74, s46, 31
	s_add_i32 s46, s11, s1
	s_mul_hi_i32 s1, s34, s31
	s_mul_i32 s8, s0, s8
	s_mul_hi_u32 s11, s0, s30
	s_add_i32 s8, s11, s8
	s_mul_i32 s11, s1, s30
	s_add_i32 s11, s8, s11
	s_mov_b32 s67, s31
	s_mul_i32 s8, s11, s50
	s_mul_i32 s31, s10, s50
	s_and_b32 s72, s47, 0xffff
	s_add_i32 s8, s46, s8
	s_mul_i32 s46, s31, s49
	s_mul_hi_u32 s47, s31, s9
	s_add_i32 s46, s47, s46
	s_mul_i32 s8, s8, s9
	s_add_i32 s47, s46, s8
	s_mul_i32 s46, s31, s9
	s_mov_b32 s66, s9
	s_lshl_b64 s[8:9], s[46:47], 1
	v_mul_hi_u32 v2, v3, v2
	s_add_u32 s8, s22, s8
	s_mov_b64 s[42:43], 0
	v_add_u32_e32 v15, v3, v2
	s_addc_u32 s9, s23, s9
	s_lshl_b64 s[10:11], s[10:11], 1
	s_lshl_b64 s[22:23], s[0:1], 1
	;; [unrolled: 1-line block ×3, first 2 shown]
	v_mov_b32_e32 v3, 0
	s_mov_b32 s31, 0x7f800000
	s_branch .LBB66_3
.LBB66_2:                               ;   in Loop: Header=BB66_3 Depth=1
	v_add_u32_e32 v0, s72, v0
	v_cmp_le_i32_e32 vcc, s7, v0
	s_or_b64 s[42:43], vcc, s[42:43]
	s_andn2_b64 exec, exec, s[42:43]
	s_cbranch_execz .LBB66_22
.LBB66_3:                               ; =>This Loop Header: Depth=1
                                        ;     Child Loop BB66_6 Depth 2
                                        ;       Child Loop BB66_9 Depth 3
                                        ;         Child Loop BB66_12 Depth 4
                                        ;           Child Loop BB66_15 Depth 5
	v_sub_u32_e32 v5, 0, v0
	v_max_i32_e32 v5, v0, v5
	v_mul_hi_u32 v6, v5, v1
	v_mul_lo_u32 v7, v6, s69
	v_sub_u32_e32 v7, v5, v7
	v_add_u32_e32 v8, 1, v6
	v_cmp_le_u32_e32 vcc, s69, v7
	v_ashrrev_i32_e32 v2, 31, v0
	v_xor_b32_e32 v4, s68, v2
	v_cndmask_b32_e32 v6, v6, v8, vcc
	v_subrev_u32_e32 v8, s69, v7
	v_cndmask_b32_e32 v7, v7, v8, vcc
	v_add_u32_e32 v8, 1, v6
	v_cmp_le_u32_e32 vcc, s69, v7
	v_xor_b32_e32 v2, s74, v2
	s_nop 0
	v_cndmask_b32_e32 v6, v6, v8, vcc
	v_xor_b32_e32 v6, v6, v4
	v_sub_u32_e32 v6, v6, v4
	v_sub_u32_e32 v8, 0, v6
	v_mul_lo_u32 v4, v6, s12
	v_ashrrev_i32_e32 v7, 31, v6
	v_max_i32_e32 v6, v6, v8
	v_mul_hi_u32 v8, v6, v14
	v_mul_lo_u32 v8, v8, s71
	v_sub_u32_e32 v6, v6, v8
	v_subrev_u32_e32 v8, s71, v6
	v_cmp_le_u32_e32 vcc, s71, v6
	v_sub_u32_e32 v4, v0, v4
	s_nop 0
	v_cndmask_b32_e32 v6, v6, v8, vcc
	v_subrev_u32_e32 v8, s71, v6
	v_cmp_le_u32_e32 vcc, s71, v6
	s_nop 1
	v_cndmask_b32_e32 v6, v6, v8, vcc
	v_xor_b32_e32 v6, v6, v7
	v_sub_u32_e32 v8, v6, v7
	v_mul_hi_u32 v6, v5, v15
	v_mul_lo_u32 v7, v6, s73
	v_sub_u32_e32 v5, v5, v7
	v_add_u32_e32 v7, 1, v6
	v_cmp_le_u32_e32 vcc, s73, v5
	s_nop 1
	v_cndmask_b32_e32 v6, v6, v7, vcc
	v_subrev_u32_e32 v7, s73, v5
	v_cndmask_b32_e32 v5, v5, v7, vcc
	v_add_u32_e32 v7, 1, v6
	v_cmp_le_u32_e32 vcc, s73, v5
	s_nop 1
	v_cndmask_b32_e32 v5, v6, v7, vcc
	v_xor_b32_e32 v5, v5, v2
	s_andn2_b64 vcc, exec, s[20:21]
	v_sub_u32_e32 v5, v5, v2
	s_cbranch_vccnz .LBB66_17
; %bb.4:                                ;   in Loop: Header=BB66_3 Depth=1
	v_mul_lo_u32 v2, v5, s13
	v_subrev_u32_e32 v9, s19, v2
	v_mul_lo_u32 v2, v8, s14
	v_subrev_u32_e32 v16, s28, v2
	;; [unrolled: 2-line block ×3, first 2 shown]
	s_mov_b32 s35, 0
	v_mov_b64_e32 v[6:7], 0
	s_mov_b64 s[48:49], s[8:9]
	s_branch .LBB66_6
.LBB66_5:                               ;   in Loop: Header=BB66_6 Depth=2
	s_add_i32 s35, s35, 1
	s_add_u32 s48, s48, s10
	s_addc_u32 s49, s49, s11
	s_cmp_eq_u32 s35, s66
	s_cbranch_scc1 .LBB66_18
.LBB66_6:                               ;   Parent Loop BB66_3 Depth=1
                                        ; =>  This Loop Header: Depth=2
                                        ;       Child Loop BB66_9 Depth 3
                                        ;         Child Loop BB66_12 Depth 4
                                        ;           Child Loop BB66_15 Depth 5
	s_andn2_b64 vcc, exec, s[36:37]
	s_cbranch_vccnz .LBB66_5
; %bb.7:                                ;   in Loop: Header=BB66_6 Depth=2
	s_mul_i32 s0, s35, s33
	s_mul_hi_u32 s1, s35, s62
	s_add_i32 s51, s1, s0
	s_mul_i32 s50, s35, s62
	s_mov_b32 s75, 0
	s_mov_b64 s[52:53], s[48:49]
	s_branch .LBB66_9
.LBB66_8:                               ;   in Loop: Header=BB66_9 Depth=3
	s_add_i32 s75, s75, 1
	s_add_u32 s52, s52, s22
	s_addc_u32 s53, s53, s23
	s_cmp_eq_u32 s75, s30
	s_cbranch_scc1 .LBB66_5
.LBB66_9:                               ;   Parent Loop BB66_3 Depth=1
                                        ;     Parent Loop BB66_6 Depth=2
                                        ; =>    This Loop Header: Depth=3
                                        ;         Child Loop BB66_12 Depth 4
                                        ;           Child Loop BB66_15 Depth 5
	s_andn2_b64 vcc, exec, s[38:39]
	s_cbranch_vccnz .LBB66_8
; %bb.10:                               ;   in Loop: Header=BB66_9 Depth=3
	s_mul_i32 s0, s75, s16
	v_add_u32_e32 v2, s0, v9
	v_cmp_gt_i32_e32 vcc, 0, v2
	v_cmp_le_i32_e64 s[0:1], s62, v2
	v_lshl_add_u64 v[10:11], s[50:51], 0, v[2:3]
	s_or_b64 s[54:55], vcc, s[0:1]
	v_mul_lo_u32 v2, v11, s64
	v_mul_lo_u32 v12, v10, s63
	v_mad_u64_u32 v[10:11], s[0:1], v10, s64, 0
	s_mov_b32 s76, 0
	v_add3_u32 v11, v11, v12, v2
	s_mov_b64 s[56:57], s[52:53]
	s_branch .LBB66_12
.LBB66_11:                              ;   in Loop: Header=BB66_12 Depth=4
	s_add_i32 s76, s76, 1
	s_add_u32 s56, s56, s46
	s_addc_u32 s57, s57, s47
	s_cmp_eq_u32 s76, s67
	s_cbranch_scc1 .LBB66_8
.LBB66_12:                              ;   Parent Loop BB66_3 Depth=1
                                        ;     Parent Loop BB66_6 Depth=2
                                        ;       Parent Loop BB66_9 Depth=3
                                        ; =>      This Loop Header: Depth=4
                                        ;           Child Loop BB66_15 Depth 5
	s_andn2_b64 vcc, exec, s[40:41]
	s_cbranch_vccnz .LBB66_11
; %bb.13:                               ;   in Loop: Header=BB66_12 Depth=4
	s_mul_i32 s0, s76, s17
	v_add_u32_e32 v2, s0, v16
	v_cmp_gt_i32_e32 vcc, 0, v2
	v_cmp_le_i32_e64 s[0:1], s64, v2
	v_lshl_add_u64 v[12:13], v[10:11], 0, v[2:3]
	s_or_b64 s[58:59], vcc, s[0:1]
	v_mul_lo_u32 v2, v13, s6
	v_mul_lo_u32 v18, v12, s65
	v_mad_u64_u32 v[12:13], s[0:1], v12, s6, 0
	v_add3_u32 v13, v13, v18, v2
	v_lshl_add_u64 v[12:13], v[12:13], 1, s[2:3]
	v_mov_b32_e32 v2, v17
	s_mov_b64 s[60:61], s[56:57]
	s_mov_b32 s77, s34
	s_branch .LBB66_15
.LBB66_14:                              ;   in Loop: Header=BB66_15 Depth=5
	s_or_b64 exec, exec, s[0:1]
	s_add_i32 s77, s77, -1
	s_add_u32 s60, s60, 2
	s_addc_u32 s61, s61, 0
	s_cmp_eq_u32 s77, 0
	v_add_u32_e32 v2, s18, v2
	s_cbranch_scc1 .LBB66_11
.LBB66_15:                              ;   Parent Loop BB66_3 Depth=1
                                        ;     Parent Loop BB66_6 Depth=2
                                        ;       Parent Loop BB66_9 Depth=3
                                        ;         Parent Loop BB66_12 Depth=4
                                        ; =>        This Inner Loop Header: Depth=5
	v_cmp_gt_i32_e32 vcc, 0, v2
	v_cmp_le_i32_e64 s[0:1], s6, v2
	s_or_b64 s[0:1], vcc, s[0:1]
	s_or_b64 s[0:1], s[54:55], s[0:1]
	s_or_b64 s[0:1], s[58:59], s[0:1]
	s_xor_b64 s[78:79], s[0:1], -1
	s_and_saveexec_b64 s[0:1], s[78:79]
	s_cbranch_execz .LBB66_14
; %bb.16:                               ;   in Loop: Header=BB66_15 Depth=5
	v_lshl_add_u64 v[18:19], v[2:3], 1, v[12:13]
	global_load_ushort v20, v3, s[60:61]
	s_nop 0
	global_load_ushort v18, v[18:19], off
	s_waitcnt vmcnt(1)
	v_lshlrev_b32_e32 v20, 16, v20
	s_waitcnt vmcnt(0)
	v_lshlrev_b32_e32 v18, 16, v18
	v_cvt_f64_f32_e32 v[18:19], v18
	v_cvt_f64_f32_e32 v[20:21], v20
	v_fmac_f64_e32 v[6:7], v[18:19], v[20:21]
	s_branch .LBB66_14
.LBB66_17:                              ;   in Loop: Header=BB66_3 Depth=1
	v_mov_b64_e32 v[6:7], 0
.LBB66_18:                              ;   in Loop: Header=BB66_3 Depth=1
	v_ashrrev_i32_e32 v9, 31, v8
	v_mad_i64_i32 v[8:9], s[0:1], v5, s70, v[8:9]
	v_ashrrev_i32_e32 v5, 31, v4
	v_mad_u64_u32 v[4:5], s[0:1], v8, s12, v[4:5]
	v_mul_lo_u32 v2, v8, s68
	v_mul_lo_u32 v8, v9, s12
	v_add3_u32 v5, v8, v5, v2
	s_mov_b64 s[0:1], -1
	s_and_b64 vcc, exec, s[44:45]
	v_lshl_add_u64 v[4:5], v[4:5], 1, s[4:5]
	s_cbranch_vccz .LBB66_20
; %bb.19:                               ;   in Loop: Header=BB66_3 Depth=1
	global_load_ushort v2, v[4:5], off
	s_waitcnt vmcnt(0)
	v_lshlrev_b32_e32 v2, 16, v2
	v_cvt_f64_f32_e32 v[8:9], v2
	v_mul_f64 v[8:9], v[8:9], s[26:27]
	v_fmac_f64_e32 v[8:9], s[24:25], v[6:7]
	v_cvt_f32_f64_e32 v2, v[8:9]
	v_and_b32_e32 v8, 0x7f800000, v2
	v_cmp_ne_u32_sdwa s[0:1], v2, v3 src0_sel:WORD_0 src1_sel:DWORD
	v_cmp_eq_u32_e32 vcc, s31, v8
	s_and_b64 s[0:1], vcc, s[0:1]
	v_cndmask_b32_e64 v8, 0, 1, s[0:1]
	v_or_b32_sdwa v2, v2, v8 dst_sel:DWORD dst_unused:UNUSED_PAD src0_sel:WORD_1 src1_sel:DWORD
	global_store_short v[4:5], v2, off
	s_mov_b64 s[0:1], 0
.LBB66_20:                              ;   in Loop: Header=BB66_3 Depth=1
	s_andn2_b64 vcc, exec, s[0:1]
	s_cbranch_vccnz .LBB66_2
; %bb.21:                               ;   in Loop: Header=BB66_3 Depth=1
	v_cvt_f32_f64_e32 v2, v[6:7]
	v_and_b32_e32 v6, 0x7f800000, v2
	v_cmp_eq_u32_e32 vcc, s31, v6
	v_cmp_ne_u32_sdwa s[0:1], v2, v3 src0_sel:WORD_0 src1_sel:DWORD
	s_and_b64 s[0:1], vcc, s[0:1]
	s_nop 0
	v_cndmask_b32_e64 v6, 0, 1, s[0:1]
	v_or_b32_sdwa v2, v2, v6 dst_sel:DWORD dst_unused:UNUSED_PAD src0_sel:WORD_1 src1_sel:DWORD
	global_store_short v[4:5], v2, off
	s_branch .LBB66_2
.LBB66_22:
	s_endpgm
	.section	.rodata,"a",@progbits
	.p2align	6, 0x0
	.amdhsa_kernel naive_conv_ab_packed_fwd_ncdhw_ushort_double_ushort_0
		.amdhsa_group_segment_fixed_size 0
		.amdhsa_private_segment_fixed_size 0
		.amdhsa_kernarg_size 528
		.amdhsa_user_sgpr_count 2
		.amdhsa_user_sgpr_dispatch_ptr 0
		.amdhsa_user_sgpr_queue_ptr 0
		.amdhsa_user_sgpr_kernarg_segment_ptr 1
		.amdhsa_user_sgpr_dispatch_id 0
		.amdhsa_user_sgpr_kernarg_preload_length 0
		.amdhsa_user_sgpr_kernarg_preload_offset 0
		.amdhsa_user_sgpr_private_segment_size 0
		.amdhsa_uses_dynamic_stack 0
		.amdhsa_enable_private_segment 0
		.amdhsa_system_sgpr_workgroup_id_x 1
		.amdhsa_system_sgpr_workgroup_id_y 0
		.amdhsa_system_sgpr_workgroup_id_z 0
		.amdhsa_system_sgpr_workgroup_info 0
		.amdhsa_system_vgpr_workitem_id 0
		.amdhsa_next_free_vgpr 22
		.amdhsa_next_free_sgpr 80
		.amdhsa_accum_offset 24
		.amdhsa_reserve_vcc 1
		.amdhsa_float_round_mode_32 0
		.amdhsa_float_round_mode_16_64 0
		.amdhsa_float_denorm_mode_32 3
		.amdhsa_float_denorm_mode_16_64 3
		.amdhsa_dx10_clamp 1
		.amdhsa_ieee_mode 1
		.amdhsa_fp16_overflow 0
		.amdhsa_tg_split 0
		.amdhsa_exception_fp_ieee_invalid_op 0
		.amdhsa_exception_fp_denorm_src 0
		.amdhsa_exception_fp_ieee_div_zero 0
		.amdhsa_exception_fp_ieee_overflow 0
		.amdhsa_exception_fp_ieee_underflow 0
		.amdhsa_exception_fp_ieee_inexact 0
		.amdhsa_exception_int_div_zero 0
	.end_amdhsa_kernel
	.text
.Lfunc_end66:
	.size	naive_conv_ab_packed_fwd_ncdhw_ushort_double_ushort_0, .Lfunc_end66-naive_conv_ab_packed_fwd_ncdhw_ushort_double_ushort_0
                                        ; -- End function
	.section	.AMDGPU.csdata,"",@progbits
; Kernel info:
; codeLenInByte = 1940
; NumSgprs: 86
; NumVgprs: 22
; NumAgprs: 0
; TotalNumVgprs: 22
; ScratchSize: 0
; MemoryBound: 0
; FloatMode: 240
; IeeeMode: 1
; LDSByteSize: 0 bytes/workgroup (compile time only)
; SGPRBlocks: 10
; VGPRBlocks: 2
; NumSGPRsForWavesPerEU: 86
; NumVGPRsForWavesPerEU: 22
; AccumOffset: 24
; Occupancy: 8
; WaveLimiterHint : 1
; COMPUTE_PGM_RSRC2:SCRATCH_EN: 0
; COMPUTE_PGM_RSRC2:USER_SGPR: 2
; COMPUTE_PGM_RSRC2:TRAP_HANDLER: 0
; COMPUTE_PGM_RSRC2:TGID_X_EN: 1
; COMPUTE_PGM_RSRC2:TGID_Y_EN: 0
; COMPUTE_PGM_RSRC2:TGID_Z_EN: 0
; COMPUTE_PGM_RSRC2:TIDIG_COMP_CNT: 0
; COMPUTE_PGM_RSRC3_GFX90A:ACCUM_OFFSET: 5
; COMPUTE_PGM_RSRC3_GFX90A:TG_SPLIT: 0
	.text
	.protected	naive_conv_ab_nonpacked_fwd_ncdhw_ushort_double_ushort_0 ; -- Begin function naive_conv_ab_nonpacked_fwd_ncdhw_ushort_double_ushort_0
	.globl	naive_conv_ab_nonpacked_fwd_ncdhw_ushort_double_ushort_0
	.p2align	8
	.type	naive_conv_ab_nonpacked_fwd_ncdhw_ushort_double_ushort_0,@function
naive_conv_ab_nonpacked_fwd_ncdhw_ushort_double_ushort_0: ; @naive_conv_ab_nonpacked_fwd_ncdhw_ushort_double_ushort_0
; %bb.0:
	s_load_dwordx16 s[4:19], s[0:1], 0xb8
	s_abs_i32 s3, s2
	s_waitcnt lgkmcnt(0)
	s_abs_i32 s20, s8
	v_cvt_f32_u32_e32 v1, s20
	s_sub_i32 s21, 0, s20
	s_mul_i32 s28, s8, s7
	s_mul_i32 s68, s12, s11
	v_rcp_iflag_f32_e32 v1, v1
	s_nop 0
	v_mul_f32_e32 v1, 0x4f7ffffe, v1
	v_cvt_u32_f32_e32 v1, v1
	s_nop 0
	v_readfirstlane_b32 s22, v1
	s_mul_i32 s21, s21, s22
	s_mul_hi_u32 s21, s22, s21
	s_add_i32 s22, s22, s21
	s_mul_hi_u32 s21, s3, s22
	s_mul_i32 s22, s21, s20
	s_sub_i32 s22, s3, s22
	s_add_i32 s23, s21, 1
	s_sub_i32 s24, s22, s20
	s_cmp_ge_u32 s22, s20
	s_cselect_b32 s21, s23, s21
	s_cselect_b32 s22, s24, s22
	s_add_i32 s23, s21, 1
	s_cmp_ge_u32 s22, s20
	s_cselect_b32 s29, s23, s21
	s_abs_i32 s69, s7
	s_abs_i32 s33, s28
	v_cvt_f32_u32_e32 v1, s69
	v_cvt_f32_u32_e32 v2, s33
	s_mul_i32 s7, s68, s10
	v_cmp_gt_i32_e32 vcc, s7, v0
	v_rcp_iflag_f32_e32 v1, v1
	v_rcp_iflag_f32_e32 v2, v2
	v_mul_f32_e32 v1, 0x4f7ffffe, v1
	v_mul_f32_e32 v2, 0x4f7ffffe, v2
	v_cvt_u32_f32_e32 v1, v1
	v_cvt_u32_f32_e32 v2, v2
	v_readfirstlane_b32 s30, v1
	v_readfirstlane_b32 s10, v2
	s_and_saveexec_b64 s[20:21], vcc
	s_cbranch_execz .LBB67_22
; %bb.1:
	s_ashr_i32 s70, s2, 31
	s_ashr_i32 s31, s8, 31
	s_xor_b32 s31, s70, s31
	s_xor_b32 s29, s29, s31
	s_sub_i32 s71, s29, s31
	s_sub_i32 s29, 0, s69
	s_mul_i32 s29, s29, s30
	s_mul_hi_u32 s29, s30, s29
	s_abs_i32 s73, s71
	s_add_i32 s30, s30, s29
	s_mul_hi_u32 s74, s73, s30
	s_ashr_i32 s75, s28, 31
	s_sub_i32 s28, 0, s33
	s_ashr_i32 s72, s71, 31
	s_mul_i32 s28, s28, s10
	s_mul_i32 s71, s71, s8
	;; [unrolled: 1-line block ×3, first 2 shown]
	s_mul_hi_u32 s28, s10, s28
	s_sub_i32 s71, s2, s71
	s_sub_i32 s2, s73, s74
	s_add_i32 s10, s10, s28
	s_sub_i32 s8, s2, s69
	s_cmp_ge_u32 s2, s69
	s_cselect_b32 s2, s8, s2
	s_sub_i32 s8, s2, s69
	s_mul_hi_u32 s10, s3, s10
	s_cmp_ge_u32 s2, s69
	s_cselect_b32 s2, s8, s2
	s_mul_i32 s8, s10, s33
	s_xor_b32 s2, s2, s72
	s_sub_i32 s3, s3, s8
	s_sub_i32 s69, s2, s72
	s_xor_b32 s2, s70, s75
	s_add_i32 s8, s10, 1
	s_sub_i32 s70, s3, s33
	s_cmp_ge_u32 s3, s33
	s_cselect_b32 s8, s8, s10
	s_cselect_b32 s3, s70, s3
	s_add_i32 s10, s8, 1
	s_cmp_ge_u32 s3, s33
	s_load_dwordx8 s[20:27], s[0:1], 0x0
	s_load_dwordx2 s[34:35], s[0:1], 0x20
	s_load_dwordx16 s[36:51], s[0:1], 0x28
	s_load_dwordx16 s[52:67], s[0:1], 0x68
	s_load_dwordx4 s[28:31], s[0:1], 0xa8
	s_cselect_b32 s3, s10, s8
	s_xor_b32 s3, s3, s2
	s_sub_i32 s10, s3, s2
	s_ashr_i32 s70, s69, 31
	s_waitcnt lgkmcnt(0)
	s_mul_i32 s2, s46, s70
	s_mul_hi_u32 s3, s46, s69
	s_ashr_i32 s72, s10, 31
	s_add_i32 s2, s3, s2
	s_mul_i32 s3, s47, s69
	s_mul_i32 s8, s44, s72
	s_mul_hi_u32 s33, s44, s10
	s_add_i32 s3, s2, s3
	s_mul_i32 s2, s46, s69
	s_add_i32 s8, s33, s8
	s_mul_i32 s33, s45, s10
	s_add_i32 s45, s8, s33
	s_lshl_b64 s[2:3], s[2:3], 1
	s_mul_i32 s44, s44, s10
	s_add_u32 s8, s20, s2
	s_addc_u32 s20, s21, s3
	s_lshl_b64 s[2:3], s[44:45], 1
	s_add_u32 s8, s8, s2
	s_addc_u32 s33, s20, s3
	s_mul_i32 s20, s28, s72
	s_mul_hi_u32 s21, s28, s10
	s_ashr_i32 s73, s71, 31
	s_mul_i32 s2, s30, s70
	s_mul_hi_u32 s3, s30, s69
	s_add_i32 s20, s21, s20
	s_mul_i32 s21, s29, s10
	s_add_i32 s2, s3, s2
	s_mul_i32 s3, s31, s69
	;; [unrolled: 2-line block ×3, first 2 shown]
	s_mul_i32 s28, s66, s73
	s_mul_hi_u32 s29, s66, s71
	s_add_i32 s3, s2, s3
	s_mul_i32 s2, s30, s69
	s_add_i32 s28, s29, s28
	s_mul_i32 s29, s67, s71
	s_add_i32 s45, s28, s29
	s_lshl_b64 s[2:3], s[2:3], 1
	s_add_u32 s34, s34, s2
	s_addc_u32 s35, s35, s3
	s_lshl_b64 s[2:3], s[20:21], 1
	s_load_dwordx4 s[28:31], s[0:1], 0xf8
	s_load_dword s78, s[0:1], 0x108
	s_load_dword s69, s[0:1], 0x11c
	s_mul_i32 s44, s66, s71
	s_add_u32 s20, s34, s2
	s_addc_u32 s21, s35, s3
	s_lshl_b64 s[2:3], s[44:45], 1
	s_add_u32 s2, s20, s2
	s_addc_u32 s3, s21, s3
	s_cmp_gt_i32 s9, 0
	s_cselect_b64 s[20:21], -1, 0
	s_waitcnt lgkmcnt(0)
	s_cmp_gt_i32 s30, 0
	s_cselect_b64 s[34:35], -1, 0
	s_cmp_gt_i32 s31, 0
	s_cselect_b64 s[44:45], -1, 0
	;; [unrolled: 2-line block ×3, first 2 shown]
	s_abs_i32 s83, s12
	s_abs_i32 s84, s11
	v_cvt_f32_u32_e32 v1, s83
	v_cvt_f32_u32_e32 v3, s84
	s_abs_i32 s81, s68
	v_cvt_f32_u32_e32 v5, s81
	v_rcp_iflag_f32_e32 v1, v1
	v_rcp_iflag_f32_e32 v3, v3
	v_cmp_neq_f64_e64 s[0:1], s[24:25], 1.0
	v_cmp_neq_f64_e64 s[66:67], s[26:27], 0
	v_rcp_iflag_f32_e32 v5, v5
	s_or_b64 s[66:67], s[0:1], s[66:67]
	s_mul_i32 s0, s56, s73
	s_mul_hi_u32 s1, s56, s71
	v_mul_f32_e32 v1, 0x4f7ffffe, v1
	s_add_i32 s0, s1, s0
	s_mul_i32 s1, s57, s71
	v_cvt_u32_f32_e32 v1, v1
	v_mul_f32_e32 v3, 0x4f7ffffe, v3
	s_add_i32 s1, s0, s1
	s_mul_i32 s0, s56, s71
	s_mul_i32 s56, s58, s72
	s_mul_hi_u32 s57, s58, s10
	v_cvt_u32_f32_e32 v3, v3
	s_add_i32 s56, s57, s56
	s_mul_i32 s57, s59, s10
	v_mul_f32_e32 v5, 0x4f7ffffe, v5
	s_add_i32 s57, s56, s57
	s_mul_i32 s56, s58, s10
	s_sub_i32 s10, 0, s83
	v_cvt_u32_f32_e32 v5, v5
	s_sub_i32 s11, 0, s84
	v_mul_lo_u32 v2, s10, v1
	s_and_b32 s79, s69, 0xffff
	s_ashr_i32 s80, s68, 31
	s_lshl_b64 s[0:1], s[0:1], 1
	s_lshl_b64 s[56:57], s[56:57], 1
	s_ashr_i32 s82, s12, 31
	s_sub_i32 s58, 0, s81
	v_mul_lo_u32 v4, s11, v3
	v_mul_hi_u32 v2, v1, v2
	s_add_u32 s0, s0, s56
	v_add_u32_e32 v1, v1, v2
	v_mul_hi_u32 v2, v3, v4
	s_addc_u32 s1, s1, s57
	v_add_u32_e32 v8, v3, v2
	v_mul_lo_u32 v2, s58, v5
	v_mul_hi_u32 v2, v5, v2
	s_add_u32 s10, s22, s0
	v_add_u32_e32 v9, v5, v2
	s_addc_u32 s11, s23, s1
	v_mov_b32_e32 v10, 0
	s_mov_b32 s85, 0x7f800000
	s_mov_b64 s[22:23], 0
	s_lshl_b64 s[54:55], s[54:55], 1
	s_lshl_b64 s[52:53], s[52:53], 1
	;; [unrolled: 1-line block ×4, first 2 shown]
	s_branch .LBB67_3
.LBB67_2:                               ;   in Loop: Header=BB67_3 Depth=1
	v_add_u32_e32 v0, s79, v0
	v_cmp_le_i32_e32 vcc, s7, v0
	s_or_b64 s[22:23], vcc, s[22:23]
	s_andn2_b64 exec, exec, s[22:23]
	s_cbranch_execz .LBB67_22
.LBB67_3:                               ; =>This Loop Header: Depth=1
                                        ;     Child Loop BB67_6 Depth 2
                                        ;       Child Loop BB67_9 Depth 3
                                        ;         Child Loop BB67_12 Depth 4
                                        ;           Child Loop BB67_15 Depth 5
	v_sub_u32_e32 v4, 0, v0
	v_max_i32_e32 v4, v0, v4
	v_mul_hi_u32 v5, v4, v1
	v_mul_lo_u32 v6, v5, s83
	v_sub_u32_e32 v6, v4, v6
	v_add_u32_e32 v7, 1, v5
	v_cmp_le_u32_e32 vcc, s83, v6
	v_ashrrev_i32_e32 v2, 31, v0
	v_xor_b32_e32 v3, s82, v2
	v_cndmask_b32_e32 v5, v5, v7, vcc
	v_subrev_u32_e32 v7, s83, v6
	v_cndmask_b32_e32 v6, v6, v7, vcc
	v_add_u32_e32 v7, 1, v5
	v_cmp_le_u32_e32 vcc, s83, v6
	v_xor_b32_e32 v2, s80, v2
	s_nop 0
	v_cndmask_b32_e32 v5, v5, v7, vcc
	v_xor_b32_e32 v5, v5, v3
	v_sub_u32_e32 v3, v5, v3
	v_mul_lo_u32 v5, v3, s12
	v_sub_u32_e32 v6, 0, v3
	v_sub_u32_e32 v11, v0, v5
	v_ashrrev_i32_e32 v5, 31, v3
	v_max_i32_e32 v3, v3, v6
	v_mul_hi_u32 v6, v3, v8
	v_mul_lo_u32 v6, v6, s84
	v_sub_u32_e32 v3, v3, v6
	v_subrev_u32_e32 v6, s84, v3
	v_cmp_le_u32_e32 vcc, s84, v3
	s_nop 1
	v_cndmask_b32_e32 v3, v3, v6, vcc
	v_subrev_u32_e32 v6, s84, v3
	v_cmp_le_u32_e32 vcc, s84, v3
	s_nop 1
	v_cndmask_b32_e32 v3, v3, v6, vcc
	v_xor_b32_e32 v3, v3, v5
	v_sub_u32_e32 v12, v3, v5
	v_mul_hi_u32 v3, v4, v9
	v_mul_lo_u32 v5, v3, s81
	v_sub_u32_e32 v4, v4, v5
	v_add_u32_e32 v5, 1, v3
	v_cmp_le_u32_e32 vcc, s81, v4
	s_nop 1
	v_cndmask_b32_e32 v3, v3, v5, vcc
	v_subrev_u32_e32 v5, s81, v4
	v_cndmask_b32_e32 v4, v4, v5, vcc
	v_add_u32_e32 v5, 1, v3
	v_cmp_le_u32_e32 vcc, s81, v4
	s_nop 1
	v_cndmask_b32_e32 v3, v3, v5, vcc
	v_xor_b32_e32 v3, v3, v2
	s_andn2_b64 vcc, exec, s[20:21]
	v_sub_u32_e32 v13, v3, v2
	s_cbranch_vccnz .LBB67_17
; %bb.4:                                ;   in Loop: Header=BB67_3 Depth=1
	v_mul_lo_u32 v2, v13, s13
	v_subrev_u32_e32 v14, s19, v2
	v_mul_lo_u32 v2, v12, s14
	v_subrev_u32_e32 v15, s28, v2
	;; [unrolled: 2-line block ×3, first 2 shown]
	s_mov_b32 s86, 0
	v_mov_b64_e32 v[2:3], 0
	s_mov_b64 s[56:57], s[10:11]
	s_branch .LBB67_6
.LBB67_5:                               ;   in Loop: Header=BB67_6 Depth=2
	s_add_i32 s86, s86, 1
	s_add_u32 s56, s56, s54
	s_addc_u32 s57, s57, s55
	s_cmp_eq_u32 s86, s9
	s_cbranch_scc1 .LBB67_18
.LBB67_6:                               ;   Parent Loop BB67_3 Depth=1
                                        ; =>  This Loop Header: Depth=2
                                        ;       Child Loop BB67_9 Depth 3
                                        ;         Child Loop BB67_12 Depth 4
                                        ;           Child Loop BB67_15 Depth 5
	s_andn2_b64 vcc, exec, s[34:35]
	s_cbranch_vccnz .LBB67_5
; %bb.7:                                ;   in Loop: Header=BB67_6 Depth=2
	s_mul_i32 s0, s43, s86
	s_mul_hi_u32 s1, s42, s86
	s_add_i32 s1, s1, s0
	s_mul_i32 s0, s42, s86
	s_lshl_b64 s[0:1], s[0:1], 1
	s_add_u32 s58, s8, s0
	s_addc_u32 s59, s33, s1
	s_mov_b32 s87, 0
	s_mov_b64 s[68:69], s[56:57]
	s_branch .LBB67_9
.LBB67_8:                               ;   in Loop: Header=BB67_9 Depth=3
	s_add_i32 s87, s87, 1
	s_add_u32 s68, s68, s52
	s_addc_u32 s69, s69, s53
	s_cmp_eq_u32 s87, s30
	s_cbranch_scc1 .LBB67_5
.LBB67_9:                               ;   Parent Loop BB67_3 Depth=1
                                        ;     Parent Loop BB67_6 Depth=2
                                        ; =>    This Loop Header: Depth=3
                                        ;         Child Loop BB67_12 Depth 4
                                        ;           Child Loop BB67_15 Depth 5
	s_andn2_b64 vcc, exec, s[44:45]
	s_cbranch_vccnz .LBB67_8
; %bb.10:                               ;   in Loop: Header=BB67_9 Depth=3
	s_mul_i32 s0, s87, s16
	v_add_u32_e32 v7, s0, v14
	v_cmp_gt_i32_e32 vcc, 0, v7
	v_cmp_le_i32_e64 s[0:1], s4, v7
	s_or_b64 s[70:71], vcc, s[0:1]
	v_mad_u64_u32 v[4:5], s[0:1], s40, v7, 0
	v_mov_b32_e32 v6, v5
	v_mad_u64_u32 v[6:7], s[0:1], s41, v7, v[6:7]
	v_mov_b32_e32 v5, v6
	s_mov_b32 s88, 0
	v_lshl_add_u64 v[4:5], v[4:5], 1, s[58:59]
	s_mov_b64 s[72:73], s[68:69]
	s_branch .LBB67_12
.LBB67_11:                              ;   in Loop: Header=BB67_12 Depth=4
	s_add_i32 s88, s88, 1
	s_add_u32 s72, s72, s50
	s_addc_u32 s73, s73, s51
	s_cmp_eq_u32 s88, s31
	s_cbranch_scc1 .LBB67_8
.LBB67_12:                              ;   Parent Loop BB67_3 Depth=1
                                        ;     Parent Loop BB67_6 Depth=2
                                        ;       Parent Loop BB67_9 Depth=3
                                        ; =>      This Loop Header: Depth=4
                                        ;           Child Loop BB67_15 Depth 5
	s_andn2_b64 vcc, exec, s[46:47]
	s_cbranch_vccnz .LBB67_11
; %bb.13:                               ;   in Loop: Header=BB67_12 Depth=4
	s_mul_i32 s0, s88, s17
	v_add_u32_e32 v17, s0, v15
	v_cmp_gt_i32_e32 vcc, 0, v17
	v_cmp_le_i32_e64 s[0:1], s5, v17
	s_or_b64 s[74:75], vcc, s[0:1]
	v_mad_u64_u32 v[6:7], s[0:1], s38, v17, 0
	v_mov_b32_e32 v18, v7
	v_mad_u64_u32 v[18:19], s[0:1], s39, v17, v[18:19]
	v_mov_b32_e32 v7, v18
	v_lshl_add_u64 v[6:7], v[6:7], 1, v[4:5]
	v_mov_b32_e32 v17, v16
	s_mov_b64 s[76:77], s[72:73]
	s_mov_b32 s89, s78
	s_branch .LBB67_15
.LBB67_14:                              ;   in Loop: Header=BB67_15 Depth=5
	s_or_b64 exec, exec, s[0:1]
	s_add_i32 s89, s89, -1
	s_add_u32 s76, s76, s48
	s_addc_u32 s77, s77, s49
	s_cmp_eq_u32 s89, 0
	v_add_u32_e32 v17, s18, v17
	s_cbranch_scc1 .LBB67_11
.LBB67_15:                              ;   Parent Loop BB67_3 Depth=1
                                        ;     Parent Loop BB67_6 Depth=2
                                        ;       Parent Loop BB67_9 Depth=3
                                        ;         Parent Loop BB67_12 Depth=4
                                        ; =>        This Inner Loop Header: Depth=5
	v_cmp_gt_i32_e32 vcc, 0, v17
	v_cmp_le_i32_e64 s[0:1], s6, v17
	s_or_b64 s[0:1], vcc, s[0:1]
	s_or_b64 s[0:1], s[70:71], s[0:1]
	s_or_b64 s[0:1], s[74:75], s[0:1]
	s_xor_b64 s[90:91], s[0:1], -1
	s_and_saveexec_b64 s[0:1], s[90:91]
	s_cbranch_execz .LBB67_14
; %bb.16:                               ;   in Loop: Header=BB67_15 Depth=5
	v_mad_u64_u32 v[18:19], s[90:91], s36, v17, 0
	v_mov_b32_e32 v20, v19
	v_mad_u64_u32 v[20:21], s[90:91], s37, v17, v[20:21]
	v_mov_b32_e32 v19, v20
	v_lshl_add_u64 v[18:19], v[18:19], 1, v[6:7]
	global_load_ushort v20, v10, s[76:77]
	s_nop 0
	global_load_ushort v18, v[18:19], off
	s_waitcnt vmcnt(1)
	v_lshlrev_b32_e32 v20, 16, v20
	s_waitcnt vmcnt(0)
	v_lshlrev_b32_e32 v18, 16, v18
	v_cvt_f64_f32_e32 v[18:19], v18
	v_cvt_f64_f32_e32 v[20:21], v20
	v_fmac_f64_e32 v[2:3], v[18:19], v[20:21]
	s_branch .LBB67_14
.LBB67_17:                              ;   in Loop: Header=BB67_3 Depth=1
	v_mov_b64_e32 v[2:3], 0
.LBB67_18:                              ;   in Loop: Header=BB67_3 Depth=1
	v_ashrrev_i32_e32 v4, 31, v11
	v_mul_lo_u32 v14, s61, v11
	v_mul_lo_u32 v15, s60, v4
	v_mad_u64_u32 v[4:5], s[0:1], s60, v11, 0
	v_ashrrev_i32_e32 v7, 31, v12
	v_add3_u32 v5, v5, v15, v14
	v_mad_u64_u32 v[4:5], s[0:1], s62, v12, v[4:5]
	v_mul_lo_u32 v11, s63, v12
	v_mul_lo_u32 v7, s62, v7
	v_ashrrev_i32_e32 v6, 31, v13
	v_add3_u32 v5, v11, v5, v7
	v_mad_u64_u32 v[4:5], s[0:1], s64, v13, v[4:5]
	v_mul_lo_u32 v7, s65, v13
	v_mul_lo_u32 v6, s64, v6
	v_add3_u32 v5, v7, v5, v6
	s_mov_b64 s[0:1], -1
	s_and_b64 vcc, exec, s[66:67]
	v_lshl_add_u64 v[4:5], v[4:5], 1, s[2:3]
	s_cbranch_vccz .LBB67_20
; %bb.19:                               ;   in Loop: Header=BB67_3 Depth=1
	global_load_ushort v6, v[4:5], off
	s_waitcnt vmcnt(0)
	v_lshlrev_b32_e32 v6, 16, v6
	v_cvt_f64_f32_e32 v[6:7], v6
	v_mul_f64 v[6:7], v[6:7], s[26:27]
	v_fmac_f64_e32 v[6:7], s[24:25], v[2:3]
	v_cvt_f32_f64_e32 v6, v[6:7]
	v_and_b32_e32 v7, 0x7f800000, v6
	v_cmp_ne_u32_sdwa s[0:1], v6, v10 src0_sel:WORD_0 src1_sel:DWORD
	v_cmp_eq_u32_e32 vcc, s85, v7
	s_and_b64 s[0:1], vcc, s[0:1]
	v_cndmask_b32_e64 v7, 0, 1, s[0:1]
	v_or_b32_sdwa v6, v6, v7 dst_sel:DWORD dst_unused:UNUSED_PAD src0_sel:WORD_1 src1_sel:DWORD
	global_store_short v[4:5], v6, off
	s_mov_b64 s[0:1], 0
.LBB67_20:                              ;   in Loop: Header=BB67_3 Depth=1
	s_andn2_b64 vcc, exec, s[0:1]
	s_cbranch_vccnz .LBB67_2
; %bb.21:                               ;   in Loop: Header=BB67_3 Depth=1
	v_cvt_f32_f64_e32 v2, v[2:3]
	v_and_b32_e32 v3, 0x7f800000, v2
	v_cmp_eq_u32_e32 vcc, s85, v3
	v_cmp_ne_u32_sdwa s[0:1], v2, v10 src0_sel:WORD_0 src1_sel:DWORD
	s_and_b64 s[0:1], vcc, s[0:1]
	s_nop 0
	v_cndmask_b32_e64 v3, 0, 1, s[0:1]
	v_or_b32_sdwa v2, v2, v3 dst_sel:DWORD dst_unused:UNUSED_PAD src0_sel:WORD_1 src1_sel:DWORD
	global_store_short v[4:5], v2, off
	s_branch .LBB67_2
.LBB67_22:
	s_endpgm
	.section	.rodata,"a",@progbits
	.p2align	6, 0x0
	.amdhsa_kernel naive_conv_ab_nonpacked_fwd_ncdhw_ushort_double_ushort_0
		.amdhsa_group_segment_fixed_size 0
		.amdhsa_private_segment_fixed_size 0
		.amdhsa_kernarg_size 528
		.amdhsa_user_sgpr_count 2
		.amdhsa_user_sgpr_dispatch_ptr 0
		.amdhsa_user_sgpr_queue_ptr 0
		.amdhsa_user_sgpr_kernarg_segment_ptr 1
		.amdhsa_user_sgpr_dispatch_id 0
		.amdhsa_user_sgpr_kernarg_preload_length 0
		.amdhsa_user_sgpr_kernarg_preload_offset 0
		.amdhsa_user_sgpr_private_segment_size 0
		.amdhsa_uses_dynamic_stack 0
		.amdhsa_enable_private_segment 0
		.amdhsa_system_sgpr_workgroup_id_x 1
		.amdhsa_system_sgpr_workgroup_id_y 0
		.amdhsa_system_sgpr_workgroup_id_z 0
		.amdhsa_system_sgpr_workgroup_info 0
		.amdhsa_system_vgpr_workitem_id 0
		.amdhsa_next_free_vgpr 22
		.amdhsa_next_free_sgpr 92
		.amdhsa_accum_offset 24
		.amdhsa_reserve_vcc 1
		.amdhsa_float_round_mode_32 0
		.amdhsa_float_round_mode_16_64 0
		.amdhsa_float_denorm_mode_32 3
		.amdhsa_float_denorm_mode_16_64 3
		.amdhsa_dx10_clamp 1
		.amdhsa_ieee_mode 1
		.amdhsa_fp16_overflow 0
		.amdhsa_tg_split 0
		.amdhsa_exception_fp_ieee_invalid_op 0
		.amdhsa_exception_fp_denorm_src 0
		.amdhsa_exception_fp_ieee_div_zero 0
		.amdhsa_exception_fp_ieee_overflow 0
		.amdhsa_exception_fp_ieee_underflow 0
		.amdhsa_exception_fp_ieee_inexact 0
		.amdhsa_exception_int_div_zero 0
	.end_amdhsa_kernel
	.text
.Lfunc_end67:
	.size	naive_conv_ab_nonpacked_fwd_ncdhw_ushort_double_ushort_0, .Lfunc_end67-naive_conv_ab_nonpacked_fwd_ncdhw_ushort_double_ushort_0
                                        ; -- End function
	.section	.AMDGPU.csdata,"",@progbits
; Kernel info:
; codeLenInByte = 1968
; NumSgprs: 98
; NumVgprs: 22
; NumAgprs: 0
; TotalNumVgprs: 22
; ScratchSize: 0
; MemoryBound: 0
; FloatMode: 240
; IeeeMode: 1
; LDSByteSize: 0 bytes/workgroup (compile time only)
; SGPRBlocks: 12
; VGPRBlocks: 2
; NumSGPRsForWavesPerEU: 98
; NumVGPRsForWavesPerEU: 22
; AccumOffset: 24
; Occupancy: 8
; WaveLimiterHint : 1
; COMPUTE_PGM_RSRC2:SCRATCH_EN: 0
; COMPUTE_PGM_RSRC2:USER_SGPR: 2
; COMPUTE_PGM_RSRC2:TRAP_HANDLER: 0
; COMPUTE_PGM_RSRC2:TGID_X_EN: 1
; COMPUTE_PGM_RSRC2:TGID_Y_EN: 0
; COMPUTE_PGM_RSRC2:TGID_Z_EN: 0
; COMPUTE_PGM_RSRC2:TIDIG_COMP_CNT: 0
; COMPUTE_PGM_RSRC3_GFX90A:ACCUM_OFFSET: 5
; COMPUTE_PGM_RSRC3_GFX90A:TG_SPLIT: 0
	.text
	.protected	naive_conv_ab_packed_fwd_ncdhw_int8_t_int32_t_int32_t_0 ; -- Begin function naive_conv_ab_packed_fwd_ncdhw_int8_t_int32_t_int32_t_0
	.globl	naive_conv_ab_packed_fwd_ncdhw_int8_t_int32_t_int32_t_0
	.p2align	8
	.type	naive_conv_ab_packed_fwd_ncdhw_int8_t_int32_t_int32_t_0,@function
naive_conv_ab_packed_fwd_ncdhw_int8_t_int32_t_int32_t_0: ; @naive_conv_ab_packed_fwd_ncdhw_int8_t_int32_t_int32_t_0
; %bb.0:
	s_load_dwordx16 s[4:19], s[0:1], 0xb8
	s_abs_i32 s3, s2
	s_waitcnt lgkmcnt(0)
	s_abs_i32 s20, s8
	v_cvt_f32_u32_e32 v1, s20
	s_sub_i32 s21, 0, s20
	s_mul_i32 s28, s8, s7
	s_mul_i32 s46, s12, s11
	v_rcp_iflag_f32_e32 v1, v1
	s_nop 0
	v_mul_f32_e32 v1, 0x4f7ffffe, v1
	v_cvt_u32_f32_e32 v1, v1
	s_nop 0
	v_readfirstlane_b32 s22, v1
	s_mul_i32 s21, s21, s22
	s_mul_hi_u32 s21, s22, s21
	s_add_i32 s22, s22, s21
	s_mul_hi_u32 s21, s3, s22
	s_mul_i32 s22, s21, s20
	s_sub_i32 s22, s3, s22
	s_add_i32 s23, s21, 1
	s_sub_i32 s24, s22, s20
	s_cmp_ge_u32 s22, s20
	s_cselect_b32 s21, s23, s21
	s_cselect_b32 s22, s24, s22
	s_add_i32 s23, s21, 1
	s_cmp_ge_u32 s22, s20
	s_cselect_b32 s29, s23, s21
	s_abs_i32 s38, s7
	s_abs_i32 s33, s28
	v_cvt_f32_u32_e32 v1, s38
	v_cvt_f32_u32_e32 v2, s33
	s_mul_i32 s7, s46, s10
	v_cmp_gt_i32_e32 vcc, s7, v0
	v_rcp_iflag_f32_e32 v1, v1
	v_rcp_iflag_f32_e32 v2, v2
	v_mul_f32_e32 v1, 0x4f7ffffe, v1
	v_mul_f32_e32 v2, 0x4f7ffffe, v2
	v_cvt_u32_f32_e32 v1, v1
	v_cvt_u32_f32_e32 v2, v2
	v_readfirstlane_b32 s31, v1
	v_readfirstlane_b32 s30, v2
	s_and_saveexec_b64 s[20:21], vcc
	s_cbranch_execz .LBB68_21
; %bb.1:
	s_ashr_i32 s39, s2, 31
	s_ashr_i32 s34, s8, 31
	s_xor_b32 s34, s39, s34
	s_xor_b32 s29, s29, s34
	s_sub_i32 s40, s29, s34
	s_sub_i32 s29, 0, s38
	s_mul_i32 s29, s29, s31
	s_mul_hi_u32 s29, s31, s29
	s_load_dwordx2 s[34:35], s[0:1], 0x108
	s_abs_i32 s42, s40
	s_add_i32 s31, s31, s29
	s_ashr_i32 s44, s28, 31
	s_sub_i32 s28, 0, s33
	s_mul_hi_u32 s43, s42, s31
	s_mul_i32 s28, s28, s30
	s_ashr_i32 s41, s40, 31
	s_mul_hi_u32 s28, s30, s28
	s_mul_i32 s40, s40, s8
	s_mul_i32 s43, s43, s38
	s_add_i32 s30, s30, s28
	s_sub_i32 s40, s2, s40
	s_sub_i32 s2, s42, s43
	s_load_dwordx8 s[20:27], s[0:1], 0x0
	s_mul_hi_u32 s45, s3, s30
	s_load_dwordx2 s[36:37], s[0:1], 0x20
	s_load_dwordx4 s[28:31], s[0:1], 0xf8
	s_load_dword s47, s[0:1], 0x11c
	s_waitcnt lgkmcnt(0)
	s_mul_i32 s0, s35, s8
	s_mul_i32 s1, s35, s9
	s_sub_i32 s35, s2, s38
	s_cmp_ge_u32 s2, s38
	s_cselect_b32 s2, s35, s2
	s_sub_i32 s35, s2, s38
	s_cmp_ge_u32 s2, s38
	s_cselect_b32 s2, s35, s2
	s_mul_i32 s35, s45, s33
	s_xor_b32 s2, s2, s41
	s_sub_i32 s3, s3, s35
	s_sub_i32 s38, s2, s41
	s_xor_b32 s2, s39, s44
	s_add_i32 s35, s45, 1
	s_sub_i32 s39, s3, s33
	s_cmp_ge_u32 s3, s33
	s_cselect_b32 s35, s35, s45
	s_cselect_b32 s3, s39, s3
	s_add_i32 s39, s35, 1
	s_cmp_ge_u32 s3, s33
	s_cselect_b32 s3, s39, s35
	s_xor_b32 s3, s3, s2
	s_sub_i32 s39, s3, s2
	s_mul_hi_i32 s2, s38, s1
	s_mul_i32 s1, s38, s1
	s_ashr_i32 s33, s4, 31
	s_ashr_i32 s52, s5, 31
	s_ashr_i32 s54, s6, 31
	s_ashr_i32 s48, s9, 31
	s_mul_i32 s41, s39, s9
	s_mul_hi_i32 s3, s39, s9
	s_add_u32 s1, s41, s1
	s_mov_b32 s35, s4
	s_addc_u32 s2, s3, s2
	s_mul_hi_i32 s3, s5, s4
	s_mul_i32 s4, s5, s4
	s_mov_b32 s53, s5
	s_mul_i32 s5, s4, s54
	s_mul_hi_u32 s41, s4, s6
	s_add_i32 s5, s41, s5
	s_mul_i32 s3, s3, s6
	s_mul_i32 s4, s4, s6
	s_add_i32 s3, s5, s3
	s_mul_i32 s2, s4, s2
	s_mul_hi_u32 s5, s4, s1
	s_add_i32 s2, s5, s2
	s_mul_i32 s3, s3, s1
	s_add_i32 s3, s2, s3
	s_mul_i32 s4, s4, s1
	s_add_u32 s2, s20, s4
	s_addc_u32 s3, s21, s3
	s_mul_hi_i32 s1, s39, s8
	s_mul_i32 s39, s39, s8
	s_ashr_i32 s8, s30, 31
	s_ashr_i32 s57, s34, 31
	;; [unrolled: 1-line block ×3, first 2 shown]
	s_add_u32 s49, s39, s40
	s_addc_u32 s50, s1, s4
	s_mul_hi_i32 s1, s38, s0
	s_mul_i32 s38, s38, s0
	s_ashr_i32 s59, s12, 31
	s_mul_i32 s5, s11, s10
	s_add_u32 s0, s49, s38
	s_mul_hi_i32 s4, s11, s10
	s_mul_i32 s10, s5, s59
	s_mul_hi_u32 s20, s5, s12
	s_addc_u32 s1, s50, s1
	s_add_i32 s10, s20, s10
	s_mul_i32 s4, s4, s12
	s_mul_i32 s5, s5, s12
	s_add_i32 s4, s10, s4
	s_mul_i32 s1, s5, s1
	s_mul_hi_u32 s10, s5, s0
	s_add_i32 s1, s10, s1
	s_mul_i32 s4, s4, s0
	s_add_i32 s1, s1, s4
	s_mul_i32 s0, s5, s0
	s_lshl_b64 s[0:1], s[0:1], 2
	s_add_u32 s4, s36, s0
	s_addc_u32 s5, s37, s1
	s_cmp_gt_i32 s9, 0
	s_cselect_b64 s[20:21], -1, 0
	s_cmp_gt_i32 s30, 0
	s_cselect_b64 s[36:37], -1, 0
	;; [unrolled: 2-line block ×3, first 2 shown]
	s_cmp_gt_i32 s34, 0
	s_mov_b32 s60, s12
	s_cselect_b64 s[40:41], -1, 0
	s_abs_i32 s12, s12
	v_cvt_f32_u32_e32 v1, s12
	s_abs_i32 s61, s11
	v_cvt_f32_u32_e32 v3, s61
	s_abs_i32 s63, s46
	v_rcp_iflag_f32_e32 v2, v1
	v_cmp_neq_f64_e64 s[0:1], s[24:25], 1.0
	v_cmp_neq_f64_e64 s[44:45], s[26:27], 0
	v_cvt_f32_u32_e32 v5, s63
	v_mul_f32_e32 v2, 0x4f7ffffe, v2
	v_cvt_u32_f32_e32 v2, v2
	s_or_b64 s[44:45], s[0:1], s[44:45]
	s_sub_i32 s0, 0, s12
	v_rcp_iflag_f32_e32 v3, v3
	v_mul_lo_u32 v4, s0, v2
	v_mul_hi_u32 v4, v2, v4
	v_add_u32_e32 v13, v2, v4
	v_rcp_iflag_f32_e32 v2, v5
	v_mul_f32_e32 v3, 0x4f7ffffe, v3
	v_cvt_u32_f32_e32 v3, v3
	s_sub_i32 s0, 0, s61
	v_mul_f32_e32 v2, 0x4f7ffffe, v2
	v_cvt_u32_f32_e32 v2, v2
	v_mul_lo_u32 v4, s0, v3
	s_mul_i32 s65, s34, s31
	v_mul_hi_u32 v4, v3, v4
	s_sub_i32 s0, 0, s63
	s_mul_i32 s66, s65, s30
	v_add_u32_e32 v14, v3, v4
	v_mul_lo_u32 v3, s0, v2
	s_mul_i32 s0, s66, s50
	s_mul_hi_u32 s1, s66, s49
	s_mov_b32 s56, s31
	s_add_i32 s0, s1, s0
	s_mul_hi_i32 s31, s34, s31
	s_mul_i32 s1, s65, s8
	s_mul_hi_u32 s8, s65, s30
	s_add_i32 s1, s8, s1
	s_mul_i32 s8, s31, s30
	s_add_i32 s67, s1, s8
	s_mul_i32 s1, s67, s49
	;; [unrolled: 2-line block ×3, first 2 shown]
	s_mul_i32 s8, s1, s48
	s_mul_hi_u32 s10, s1, s9
	s_add_i32 s8, s10, s8
	s_mul_i32 s0, s0, s9
	s_and_b32 s62, s47, 0xffff
	s_ashr_i32 s64, s46, 31
	s_add_i32 s0, s8, s0
	s_mul_i32 s1, s1, s9
	v_mul_hi_u32 v3, v2, v3
	s_add_u32 s8, s22, s1
	s_mov_b32 s55, s9
	s_mov_b32 s58, s11
	s_mov_b64 s[42:43], 0
	v_cvt_i32_f64_e32 v1, s[24:25]
	v_cvt_i32_f64_e32 v12, s[26:27]
	v_add_u32_e32 v15, v2, v3
	s_addc_u32 s9, s23, s0
	v_mov_b32_e32 v3, 0
	s_branch .LBB68_3
.LBB68_2:                               ;   in Loop: Header=BB68_3 Depth=1
	v_add_u32_e32 v0, s62, v0
	v_cmp_le_i32_e32 vcc, s7, v0
	s_or_b64 s[42:43], vcc, s[42:43]
	s_andn2_b64 exec, exec, s[42:43]
	s_cbranch_execz .LBB68_21
.LBB68_3:                               ; =>This Loop Header: Depth=1
                                        ;     Child Loop BB68_6 Depth 2
                                        ;       Child Loop BB68_9 Depth 3
                                        ;         Child Loop BB68_12 Depth 4
                                        ;           Child Loop BB68_15 Depth 5
	v_sub_u32_e32 v5, 0, v0
	v_max_i32_e32 v5, v0, v5
	v_mul_hi_u32 v6, v5, v13
	v_mul_lo_u32 v7, v6, s12
	v_sub_u32_e32 v7, v5, v7
	v_add_u32_e32 v8, 1, v6
	v_cmp_le_u32_e32 vcc, s12, v7
	v_ashrrev_i32_e32 v2, 31, v0
	v_xor_b32_e32 v4, s59, v2
	v_cndmask_b32_e32 v6, v6, v8, vcc
	v_subrev_u32_e32 v8, s12, v7
	v_cndmask_b32_e32 v7, v7, v8, vcc
	v_add_u32_e32 v8, 1, v6
	v_cmp_le_u32_e32 vcc, s12, v7
	v_xor_b32_e32 v2, s64, v2
	v_mov_b32_e32 v16, v3
	v_cndmask_b32_e32 v6, v6, v8, vcc
	v_xor_b32_e32 v6, v6, v4
	v_sub_u32_e32 v6, v6, v4
	v_sub_u32_e32 v8, 0, v6
	v_mul_lo_u32 v4, v6, s60
	v_ashrrev_i32_e32 v7, 31, v6
	v_max_i32_e32 v6, v6, v8
	v_mul_hi_u32 v8, v6, v14
	v_mul_lo_u32 v8, v8, s61
	v_sub_u32_e32 v6, v6, v8
	v_subrev_u32_e32 v8, s61, v6
	v_cmp_le_u32_e32 vcc, s61, v6
	v_sub_u32_e32 v4, v0, v4
	s_nop 0
	v_cndmask_b32_e32 v6, v6, v8, vcc
	v_subrev_u32_e32 v8, s61, v6
	v_cmp_le_u32_e32 vcc, s61, v6
	s_nop 1
	v_cndmask_b32_e32 v6, v6, v8, vcc
	v_xor_b32_e32 v6, v6, v7
	v_sub_u32_e32 v6, v6, v7
	v_mul_hi_u32 v7, v5, v15
	v_mul_lo_u32 v8, v7, s63
	v_sub_u32_e32 v5, v5, v8
	v_add_u32_e32 v8, 1, v7
	v_cmp_le_u32_e32 vcc, s63, v5
	s_nop 1
	v_cndmask_b32_e32 v7, v7, v8, vcc
	v_subrev_u32_e32 v8, s63, v5
	v_cndmask_b32_e32 v5, v5, v8, vcc
	v_add_u32_e32 v8, 1, v7
	v_cmp_le_u32_e32 vcc, s63, v5
	s_nop 1
	v_cndmask_b32_e32 v5, v7, v8, vcc
	v_xor_b32_e32 v5, v5, v2
	v_sub_u32_e32 v5, v5, v2
	s_andn2_b64 vcc, exec, s[20:21]
	s_cbranch_vccnz .LBB68_17
; %bb.4:                                ;   in Loop: Header=BB68_3 Depth=1
	v_mul_lo_u32 v2, v5, s13
	v_subrev_u32_e32 v7, s19, v2
	v_mul_lo_u32 v2, v6, s14
	v_subrev_u32_e32 v17, s28, v2
	;; [unrolled: 2-line block ×3, first 2 shown]
	s_mov_b32 s68, 0
	v_mov_b32_e32 v16, 0
	s_mov_b64 s[10:11], s[8:9]
	s_branch .LBB68_6
.LBB68_5:                               ;   in Loop: Header=BB68_6 Depth=2
	s_add_i32 s68, s68, 1
	s_add_u32 s10, s10, s66
	s_addc_u32 s11, s11, s67
	s_cmp_eq_u32 s68, s55
	s_cbranch_scc1 .LBB68_17
.LBB68_6:                               ;   Parent Loop BB68_3 Depth=1
                                        ; =>  This Loop Header: Depth=2
                                        ;       Child Loop BB68_9 Depth 3
                                        ;         Child Loop BB68_12 Depth 4
                                        ;           Child Loop BB68_15 Depth 5
	s_andn2_b64 vcc, exec, s[36:37]
	s_cbranch_vccnz .LBB68_5
; %bb.7:                                ;   in Loop: Header=BB68_6 Depth=2
	s_mul_i32 s0, s68, s33
	s_mul_hi_u32 s1, s68, s35
	s_add_i32 s23, s1, s0
	s_mul_i32 s22, s68, s35
	s_mov_b32 s69, 0
	s_mov_b64 s[24:25], s[10:11]
	s_branch .LBB68_9
.LBB68_8:                               ;   in Loop: Header=BB68_9 Depth=3
	s_add_i32 s69, s69, 1
	s_add_u32 s24, s24, s65
	s_addc_u32 s25, s25, s31
	s_cmp_eq_u32 s69, s30
	s_cbranch_scc1 .LBB68_5
.LBB68_9:                               ;   Parent Loop BB68_3 Depth=1
                                        ;     Parent Loop BB68_6 Depth=2
                                        ; =>    This Loop Header: Depth=3
                                        ;         Child Loop BB68_12 Depth 4
                                        ;           Child Loop BB68_15 Depth 5
	s_andn2_b64 vcc, exec, s[38:39]
	s_cbranch_vccnz .LBB68_8
; %bb.10:                               ;   in Loop: Header=BB68_9 Depth=3
	s_mul_i32 s0, s69, s16
	v_add_u32_e32 v2, s0, v7
	v_cmp_gt_i32_e32 vcc, 0, v2
	v_cmp_le_i32_e64 s[0:1], s35, v2
	v_lshl_add_u64 v[8:9], s[22:23], 0, v[2:3]
	s_or_b64 s[26:27], vcc, s[0:1]
	v_mul_lo_u32 v2, v9, s53
	v_mul_lo_u32 v10, v8, s52
	v_mad_u64_u32 v[8:9], s[0:1], v8, s53, 0
	s_mov_b32 s70, 0
	v_add3_u32 v9, v9, v10, v2
	s_mov_b64 s[46:47], s[24:25]
	s_branch .LBB68_12
.LBB68_11:                              ;   in Loop: Header=BB68_12 Depth=4
	s_add_i32 s70, s70, 1
	s_add_u32 s46, s46, s34
	s_addc_u32 s47, s47, s57
	s_cmp_eq_u32 s70, s56
	s_cbranch_scc1 .LBB68_8
.LBB68_12:                              ;   Parent Loop BB68_3 Depth=1
                                        ;     Parent Loop BB68_6 Depth=2
                                        ;       Parent Loop BB68_9 Depth=3
                                        ; =>      This Loop Header: Depth=4
                                        ;           Child Loop BB68_15 Depth 5
	s_andn2_b64 vcc, exec, s[40:41]
	s_cbranch_vccnz .LBB68_11
; %bb.13:                               ;   in Loop: Header=BB68_12 Depth=4
	s_mul_i32 s0, s70, s17
	v_add_u32_e32 v2, s0, v17
	v_cmp_gt_i32_e32 vcc, 0, v2
	v_cmp_le_i32_e64 s[0:1], s53, v2
	v_lshl_add_u64 v[10:11], v[8:9], 0, v[2:3]
	v_mov_b64_e32 v[20:21], s[2:3]
	s_or_b64 s[48:49], vcc, s[0:1]
	v_mul_lo_u32 v2, v10, s54
	v_mul_lo_u32 v19, v11, s6
	v_mad_u64_u32 v[10:11], s[0:1], v10, s6, v[20:21]
	v_add3_u32 v11, v19, v11, v2
	v_mov_b32_e32 v2, v18
	s_mov_b64 s[50:51], s[46:47]
	s_mov_b32 s71, s34
	s_branch .LBB68_15
.LBB68_14:                              ;   in Loop: Header=BB68_15 Depth=5
	s_or_b64 exec, exec, s[0:1]
	s_add_i32 s71, s71, -1
	s_add_u32 s50, s50, 1
	s_addc_u32 s51, s51, 0
	s_cmp_eq_u32 s71, 0
	v_add_u32_e32 v2, s18, v2
	s_cbranch_scc1 .LBB68_11
.LBB68_15:                              ;   Parent Loop BB68_3 Depth=1
                                        ;     Parent Loop BB68_6 Depth=2
                                        ;       Parent Loop BB68_9 Depth=3
                                        ;         Parent Loop BB68_12 Depth=4
                                        ; =>        This Inner Loop Header: Depth=5
	v_cmp_gt_i32_e32 vcc, 0, v2
	v_cmp_le_i32_e64 s[0:1], s6, v2
	s_or_b64 s[0:1], vcc, s[0:1]
	s_or_b64 s[0:1], s[26:27], s[0:1]
	s_or_b64 s[0:1], s[48:49], s[0:1]
	s_xor_b64 s[72:73], s[0:1], -1
	s_and_saveexec_b64 s[0:1], s[72:73]
	s_cbranch_execz .LBB68_14
; %bb.16:                               ;   in Loop: Header=BB68_15 Depth=5
	v_lshl_add_u64 v[20:21], v[10:11], 0, v[2:3]
	global_load_sbyte v19, v[20:21], off
	s_nop 0
	global_load_sbyte v20, v3, s[50:51]
	s_waitcnt vmcnt(0)
	v_mad_i32_i24 v16, v20, v19, v16
	s_branch .LBB68_14
.LBB68_17:                              ;   in Loop: Header=BB68_3 Depth=1
	v_ashrrev_i32_e32 v7, 31, v6
	v_mad_i64_i32 v[6:7], s[0:1], v5, s58, v[6:7]
	v_ashrrev_i32_e32 v5, 31, v4
	v_mad_u64_u32 v[4:5], s[0:1], v6, s60, v[4:5]
	v_mul_lo_u32 v2, v6, s59
	v_mul_lo_u32 v6, v7, s60
	v_add3_u32 v5, v6, v5, v2
	s_mov_b64 s[0:1], -1
	s_and_b64 vcc, exec, s[44:45]
	v_lshl_add_u64 v[4:5], v[4:5], 2, s[4:5]
	s_cbranch_vccz .LBB68_19
; %bb.18:                               ;   in Loop: Header=BB68_3 Depth=1
	global_load_dword v6, v[4:5], off
	v_mul_lo_u32 v2, v16, v1
	s_waitcnt vmcnt(0)
	v_mad_u64_u32 v[6:7], s[0:1], v6, v12, v[2:3]
	global_store_dword v[4:5], v6, off
	s_mov_b64 s[0:1], 0
.LBB68_19:                              ;   in Loop: Header=BB68_3 Depth=1
	s_andn2_b64 vcc, exec, s[0:1]
	s_cbranch_vccnz .LBB68_2
; %bb.20:                               ;   in Loop: Header=BB68_3 Depth=1
	global_store_dword v[4:5], v16, off
	s_branch .LBB68_2
.LBB68_21:
	s_endpgm
	.section	.rodata,"a",@progbits
	.p2align	6, 0x0
	.amdhsa_kernel naive_conv_ab_packed_fwd_ncdhw_int8_t_int32_t_int32_t_0
		.amdhsa_group_segment_fixed_size 0
		.amdhsa_private_segment_fixed_size 0
		.amdhsa_kernarg_size 528
		.amdhsa_user_sgpr_count 2
		.amdhsa_user_sgpr_dispatch_ptr 0
		.amdhsa_user_sgpr_queue_ptr 0
		.amdhsa_user_sgpr_kernarg_segment_ptr 1
		.amdhsa_user_sgpr_dispatch_id 0
		.amdhsa_user_sgpr_kernarg_preload_length 0
		.amdhsa_user_sgpr_kernarg_preload_offset 0
		.amdhsa_user_sgpr_private_segment_size 0
		.amdhsa_uses_dynamic_stack 0
		.amdhsa_enable_private_segment 0
		.amdhsa_system_sgpr_workgroup_id_x 1
		.amdhsa_system_sgpr_workgroup_id_y 0
		.amdhsa_system_sgpr_workgroup_id_z 0
		.amdhsa_system_sgpr_workgroup_info 0
		.amdhsa_system_vgpr_workitem_id 0
		.amdhsa_next_free_vgpr 22
		.amdhsa_next_free_sgpr 74
		.amdhsa_accum_offset 24
		.amdhsa_reserve_vcc 1
		.amdhsa_float_round_mode_32 0
		.amdhsa_float_round_mode_16_64 0
		.amdhsa_float_denorm_mode_32 3
		.amdhsa_float_denorm_mode_16_64 3
		.amdhsa_dx10_clamp 1
		.amdhsa_ieee_mode 1
		.amdhsa_fp16_overflow 0
		.amdhsa_tg_split 0
		.amdhsa_exception_fp_ieee_invalid_op 0
		.amdhsa_exception_fp_denorm_src 0
		.amdhsa_exception_fp_ieee_div_zero 0
		.amdhsa_exception_fp_ieee_overflow 0
		.amdhsa_exception_fp_ieee_underflow 0
		.amdhsa_exception_fp_ieee_inexact 0
		.amdhsa_exception_int_div_zero 0
	.end_amdhsa_kernel
	.text
.Lfunc_end68:
	.size	naive_conv_ab_packed_fwd_ncdhw_int8_t_int32_t_int32_t_0, .Lfunc_end68-naive_conv_ab_packed_fwd_ncdhw_int8_t_int32_t_int32_t_0
                                        ; -- End function
	.section	.AMDGPU.csdata,"",@progbits
; Kernel info:
; codeLenInByte = 1804
; NumSgprs: 80
; NumVgprs: 22
; NumAgprs: 0
; TotalNumVgprs: 22
; ScratchSize: 0
; MemoryBound: 0
; FloatMode: 240
; IeeeMode: 1
; LDSByteSize: 0 bytes/workgroup (compile time only)
; SGPRBlocks: 9
; VGPRBlocks: 2
; NumSGPRsForWavesPerEU: 80
; NumVGPRsForWavesPerEU: 22
; AccumOffset: 24
; Occupancy: 8
; WaveLimiterHint : 1
; COMPUTE_PGM_RSRC2:SCRATCH_EN: 0
; COMPUTE_PGM_RSRC2:USER_SGPR: 2
; COMPUTE_PGM_RSRC2:TRAP_HANDLER: 0
; COMPUTE_PGM_RSRC2:TGID_X_EN: 1
; COMPUTE_PGM_RSRC2:TGID_Y_EN: 0
; COMPUTE_PGM_RSRC2:TGID_Z_EN: 0
; COMPUTE_PGM_RSRC2:TIDIG_COMP_CNT: 0
; COMPUTE_PGM_RSRC3_GFX90A:ACCUM_OFFSET: 5
; COMPUTE_PGM_RSRC3_GFX90A:TG_SPLIT: 0
	.text
	.protected	naive_conv_ab_nonpacked_fwd_ncdhw_int8_t_int32_t_int32_t_0 ; -- Begin function naive_conv_ab_nonpacked_fwd_ncdhw_int8_t_int32_t_int32_t_0
	.globl	naive_conv_ab_nonpacked_fwd_ncdhw_int8_t_int32_t_int32_t_0
	.p2align	8
	.type	naive_conv_ab_nonpacked_fwd_ncdhw_int8_t_int32_t_int32_t_0,@function
naive_conv_ab_nonpacked_fwd_ncdhw_int8_t_int32_t_int32_t_0: ; @naive_conv_ab_nonpacked_fwd_ncdhw_int8_t_int32_t_int32_t_0
; %bb.0:
	s_load_dwordx16 s[4:19], s[0:1], 0xb8
	s_abs_i32 s3, s2
	s_waitcnt lgkmcnt(0)
	s_abs_i32 s20, s8
	v_cvt_f32_u32_e32 v1, s20
	s_sub_i32 s21, 0, s20
	s_mul_i32 s28, s8, s7
	s_mul_i32 s68, s12, s11
	v_rcp_iflag_f32_e32 v1, v1
	s_nop 0
	v_mul_f32_e32 v1, 0x4f7ffffe, v1
	v_cvt_u32_f32_e32 v1, v1
	s_nop 0
	v_readfirstlane_b32 s22, v1
	s_mul_i32 s21, s21, s22
	s_mul_hi_u32 s21, s22, s21
	s_add_i32 s22, s22, s21
	s_mul_hi_u32 s21, s3, s22
	s_mul_i32 s22, s21, s20
	s_sub_i32 s22, s3, s22
	s_add_i32 s23, s21, 1
	s_sub_i32 s24, s22, s20
	s_cmp_ge_u32 s22, s20
	s_cselect_b32 s21, s23, s21
	s_cselect_b32 s22, s24, s22
	s_add_i32 s23, s21, 1
	s_cmp_ge_u32 s22, s20
	s_cselect_b32 s29, s23, s21
	s_abs_i32 s69, s7
	s_abs_i32 s33, s28
	v_cvt_f32_u32_e32 v1, s69
	v_cvt_f32_u32_e32 v2, s33
	s_mul_i32 s7, s68, s10
	v_cmp_gt_i32_e32 vcc, s7, v0
	v_rcp_iflag_f32_e32 v1, v1
	v_rcp_iflag_f32_e32 v2, v2
	v_mul_f32_e32 v1, 0x4f7ffffe, v1
	v_mul_f32_e32 v2, 0x4f7ffffe, v2
	v_cvt_u32_f32_e32 v1, v1
	v_cvt_u32_f32_e32 v2, v2
	v_readfirstlane_b32 s30, v1
	v_readfirstlane_b32 s10, v2
	s_and_saveexec_b64 s[20:21], vcc
	s_cbranch_execz .LBB69_21
; %bb.1:
	s_ashr_i32 s70, s2, 31
	s_ashr_i32 s31, s8, 31
	s_xor_b32 s31, s70, s31
	s_xor_b32 s29, s29, s31
	s_sub_i32 s71, s29, s31
	s_sub_i32 s29, 0, s69
	s_mul_i32 s29, s29, s30
	s_mul_hi_u32 s29, s30, s29
	s_abs_i32 s73, s71
	s_add_i32 s30, s30, s29
	s_mul_hi_u32 s74, s73, s30
	s_ashr_i32 s75, s28, 31
	s_sub_i32 s28, 0, s33
	s_ashr_i32 s72, s71, 31
	s_mul_i32 s28, s28, s10
	s_mul_i32 s71, s71, s8
	;; [unrolled: 1-line block ×3, first 2 shown]
	s_mul_hi_u32 s28, s10, s28
	s_sub_i32 s71, s2, s71
	s_sub_i32 s2, s73, s74
	s_add_i32 s10, s10, s28
	s_sub_i32 s8, s2, s69
	s_cmp_ge_u32 s2, s69
	s_cselect_b32 s2, s8, s2
	s_sub_i32 s8, s2, s69
	s_mul_hi_u32 s10, s3, s10
	s_cmp_ge_u32 s2, s69
	s_cselect_b32 s2, s8, s2
	s_mul_i32 s69, s10, s33
	s_xor_b32 s2, s2, s72
	s_sub_i32 s3, s3, s69
	s_sub_i32 s2, s2, s72
	s_xor_b32 s8, s70, s75
	s_add_i32 s69, s10, 1
	s_sub_i32 s70, s3, s33
	s_cmp_ge_u32 s3, s33
	s_cselect_b32 s10, s69, s10
	s_cselect_b32 s3, s70, s3
	s_add_i32 s69, s10, 1
	s_cmp_ge_u32 s3, s33
	s_load_dwordx8 s[20:27], s[0:1], 0x0
	s_load_dwordx2 s[34:35], s[0:1], 0x20
	s_load_dwordx16 s[36:51], s[0:1], 0x28
	s_load_dwordx16 s[52:67], s[0:1], 0x68
	s_load_dwordx4 s[28:31], s[0:1], 0xa8
	s_cselect_b32 s3, s69, s10
	s_xor_b32 s3, s3, s8
	s_sub_i32 s10, s3, s8
	s_ashr_i32 s3, s2, 31
	s_waitcnt lgkmcnt(0)
	s_mul_i32 s8, s46, s3
	s_mul_hi_u32 s33, s46, s2
	s_add_i32 s8, s33, s8
	s_mul_i32 s33, s47, s2
	s_add_i32 s8, s8, s33
	s_mul_i32 s33, s46, s2
	s_ashr_i32 s46, s10, 31
	s_mul_i32 s47, s44, s46
	s_mul_hi_u32 s69, s44, s10
	s_add_i32 s47, s69, s47
	s_mul_i32 s45, s45, s10
	s_add_i32 s47, s47, s45
	s_add_u32 s20, s20, s33
	s_mul_i32 s44, s44, s10
	s_addc_u32 s21, s21, s8
	s_add_u32 s8, s20, s44
	s_addc_u32 s33, s21, s47
	s_mul_i32 s20, s58, s46
	s_mul_hi_u32 s21, s58, s10
	s_add_i32 s20, s21, s20
	s_mul_i32 s21, s59, s10
	s_ashr_i32 s44, s71, 31
	s_add_i32 s59, s20, s21
	s_mul_i32 s20, s56, s44
	s_mul_hi_u32 s21, s56, s71
	s_add_i32 s20, s21, s20
	s_mul_i32 s21, s57, s71
	s_add_i32 s57, s20, s21
	s_mul_i32 s3, s30, s3
	s_mul_hi_u32 s20, s30, s2
	s_add_i32 s3, s20, s3
	s_mul_i32 s20, s31, s2
	;; [unrolled: 5-line block ×3, first 2 shown]
	s_add_i32 s21, s20, s21
	s_mul_i32 s20, s28, s10
	s_mul_i32 s28, s66, s44
	s_mul_hi_u32 s29, s66, s71
	s_mul_i32 s2, s30, s2
	s_add_i32 s28, s29, s28
	s_mul_i32 s29, s67, s71
	s_add_i32 s45, s28, s29
	s_lshl_b64 s[2:3], s[2:3], 2
	s_add_u32 s34, s34, s2
	s_addc_u32 s35, s35, s3
	s_lshl_b64 s[2:3], s[20:21], 2
	s_load_dwordx4 s[28:31], s[0:1], 0xf8
	s_load_dword s74, s[0:1], 0x108
	s_load_dword s69, s[0:1], 0x11c
	s_mul_i32 s44, s66, s71
	s_add_u32 s20, s34, s2
	s_addc_u32 s21, s35, s3
	s_lshl_b64 s[2:3], s[44:45], 2
	s_add_u32 s2, s20, s2
	s_addc_u32 s3, s21, s3
	s_cmp_gt_i32 s9, 0
	s_cselect_b64 s[20:21], -1, 0
	s_waitcnt lgkmcnt(0)
	s_cmp_gt_i32 s30, 0
	s_cselect_b64 s[34:35], -1, 0
	s_cmp_gt_i32 s31, 0
	s_cselect_b64 s[44:45], -1, 0
	;; [unrolled: 2-line block ×3, first 2 shown]
	s_abs_i32 s79, s12
	s_abs_i32 s80, s11
	v_cvt_f32_u32_e32 v2, s79
	v_cvt_f32_u32_e32 v4, s80
	s_abs_i32 s77, s68
	v_cvt_f32_u32_e32 v7, s77
	v_rcp_iflag_f32_e32 v2, v2
	v_rcp_iflag_f32_e32 v4, v4
	v_cmp_neq_f64_e64 s[0:1], s[24:25], 1.0
	v_rcp_iflag_f32_e32 v7, v7
	v_mul_f32_e32 v2, 0x4f7ffffe, v2
	v_cvt_u32_f32_e32 v2, v2
	v_mul_f32_e32 v4, 0x4f7ffffe, v4
	v_cvt_u32_f32_e32 v4, v4
	v_cmp_neq_f64_e64 s[66:67], s[26:27], 0
	v_mul_f32_e32 v7, 0x4f7ffffe, v7
	s_or_b64 s[66:67], s[0:1], s[66:67]
	s_mul_i32 s1, s56, s71
	s_sub_i32 s56, 0, s79
	v_cvt_u32_f32_e32 v9, v7
	s_mul_i32 s0, s58, s10
	s_sub_i32 s58, 0, s80
	v_mul_lo_u32 v3, s56, v2
	s_and_b32 s75, s69, 0xffff
	s_ashr_i32 s76, s68, 31
	s_ashr_i32 s78, s12, 31
	s_sub_i32 s68, 0, s77
	v_mul_lo_u32 v5, s58, v4
	v_mul_hi_u32 v3, v2, v3
	s_add_u32 s0, s1, s0
	v_add_u32_e32 v7, v2, v3
	v_mul_hi_u32 v2, v4, v5
	s_addc_u32 s1, s57, s59
	v_add_u32_e32 v8, v4, v2
	v_mul_lo_u32 v2, s68, v9
	s_add_u32 s10, s22, s0
	v_mul_hi_u32 v2, v9, v2
	s_addc_u32 s11, s23, s1
	v_cvt_i32_f64_e32 v1, s[24:25]
	v_cvt_i32_f64_e32 v6, s[26:27]
	s_mov_b64 s[22:23], 0
	v_add_u32_e32 v9, v9, v2
	v_mov_b32_e32 v10, 0
	s_branch .LBB69_3
.LBB69_2:                               ;   in Loop: Header=BB69_3 Depth=1
	v_add_u32_e32 v0, s75, v0
	v_cmp_le_i32_e32 vcc, s7, v0
	s_or_b64 s[22:23], vcc, s[22:23]
	s_andn2_b64 exec, exec, s[22:23]
	s_cbranch_execz .LBB69_21
.LBB69_3:                               ; =>This Loop Header: Depth=1
                                        ;     Child Loop BB69_6 Depth 2
                                        ;       Child Loop BB69_9 Depth 3
                                        ;         Child Loop BB69_12 Depth 4
                                        ;           Child Loop BB69_15 Depth 5
	v_sub_u32_e32 v4, 0, v0
	v_max_i32_e32 v4, v0, v4
	v_mul_hi_u32 v5, v4, v7
	v_mul_lo_u32 v11, v5, s79
	v_sub_u32_e32 v11, v4, v11
	v_add_u32_e32 v12, 1, v5
	v_cmp_le_u32_e32 vcc, s79, v11
	v_ashrrev_i32_e32 v2, 31, v0
	v_xor_b32_e32 v3, s78, v2
	v_cndmask_b32_e32 v5, v5, v12, vcc
	v_subrev_u32_e32 v12, s79, v11
	v_cndmask_b32_e32 v11, v11, v12, vcc
	v_add_u32_e32 v12, 1, v5
	v_cmp_le_u32_e32 vcc, s79, v11
	v_xor_b32_e32 v2, s76, v2
	s_nop 0
	v_cndmask_b32_e32 v5, v5, v12, vcc
	v_xor_b32_e32 v5, v5, v3
	v_sub_u32_e32 v3, v5, v3
	v_mul_lo_u32 v5, v3, s12
	v_sub_u32_e32 v12, 0, v3
	v_sub_u32_e32 v11, v0, v5
	v_ashrrev_i32_e32 v5, 31, v3
	v_max_i32_e32 v3, v3, v12
	v_mul_hi_u32 v12, v3, v8
	v_mul_lo_u32 v12, v12, s80
	v_sub_u32_e32 v3, v3, v12
	v_subrev_u32_e32 v12, s80, v3
	v_cmp_le_u32_e32 vcc, s80, v3
	s_nop 1
	v_cndmask_b32_e32 v3, v3, v12, vcc
	v_subrev_u32_e32 v12, s80, v3
	v_cmp_le_u32_e32 vcc, s80, v3
	s_nop 1
	v_cndmask_b32_e32 v3, v3, v12, vcc
	v_xor_b32_e32 v3, v3, v5
	v_sub_u32_e32 v13, v3, v5
	v_mul_hi_u32 v3, v4, v9
	v_mul_lo_u32 v5, v3, s77
	v_sub_u32_e32 v4, v4, v5
	v_add_u32_e32 v5, 1, v3
	v_cmp_le_u32_e32 vcc, s77, v4
	v_mov_b32_e32 v12, 0
	s_nop 0
	v_cndmask_b32_e32 v3, v3, v5, vcc
	v_subrev_u32_e32 v5, s77, v4
	v_cndmask_b32_e32 v4, v4, v5, vcc
	v_add_u32_e32 v5, 1, v3
	v_cmp_le_u32_e32 vcc, s77, v4
	s_nop 1
	v_cndmask_b32_e32 v3, v3, v5, vcc
	v_xor_b32_e32 v3, v3, v2
	v_sub_u32_e32 v14, v3, v2
	s_andn2_b64 vcc, exec, s[20:21]
	s_cbranch_vccnz .LBB69_17
; %bb.4:                                ;   in Loop: Header=BB69_3 Depth=1
	v_mul_lo_u32 v2, v14, s13
	v_subrev_u32_e32 v15, s19, v2
	v_mul_lo_u32 v2, v13, s14
	v_subrev_u32_e32 v16, s28, v2
	;; [unrolled: 2-line block ×3, first 2 shown]
	s_mov_b32 s81, 0
	v_mov_b32_e32 v12, 0
	s_mov_b64 s[24:25], s[10:11]
	s_branch .LBB69_6
.LBB69_5:                               ;   in Loop: Header=BB69_6 Depth=2
	s_add_i32 s81, s81, 1
	s_add_u32 s24, s24, s54
	s_addc_u32 s25, s25, s55
	s_cmp_eq_u32 s81, s9
	s_cbranch_scc1 .LBB69_17
.LBB69_6:                               ;   Parent Loop BB69_3 Depth=1
                                        ; =>  This Loop Header: Depth=2
                                        ;       Child Loop BB69_9 Depth 3
                                        ;         Child Loop BB69_12 Depth 4
                                        ;           Child Loop BB69_15 Depth 5
	s_andn2_b64 vcc, exec, s[34:35]
	s_cbranch_vccnz .LBB69_5
; %bb.7:                                ;   in Loop: Header=BB69_6 Depth=2
	s_mul_i32 s0, s43, s81
	s_mul_hi_u32 s1, s42, s81
	s_add_i32 s1, s1, s0
	s_mul_i32 s0, s42, s81
	s_add_u32 s26, s8, s0
	s_addc_u32 s27, s33, s1
	s_mov_b32 s82, 0
	s_mov_b64 s[56:57], s[24:25]
	s_branch .LBB69_9
.LBB69_8:                               ;   in Loop: Header=BB69_9 Depth=3
	s_add_i32 s82, s82, 1
	s_add_u32 s56, s56, s52
	s_addc_u32 s57, s57, s53
	s_cmp_eq_u32 s82, s30
	s_cbranch_scc1 .LBB69_5
.LBB69_9:                               ;   Parent Loop BB69_3 Depth=1
                                        ;     Parent Loop BB69_6 Depth=2
                                        ; =>    This Loop Header: Depth=3
                                        ;         Child Loop BB69_12 Depth 4
                                        ;           Child Loop BB69_15 Depth 5
	s_andn2_b64 vcc, exec, s[44:45]
	s_cbranch_vccnz .LBB69_8
; %bb.10:                               ;   in Loop: Header=BB69_9 Depth=3
	s_mul_i32 s0, s82, s16
	v_add_u32_e32 v5, s0, v15
	v_cmp_gt_i32_e32 vcc, 0, v5
	v_cmp_le_i32_e64 s[0:1], s4, v5
	v_mov_b64_e32 v[2:3], s[26:27]
	s_or_b64 s[58:59], vcc, s[0:1]
	v_mad_u64_u32 v[2:3], s[0:1], s40, v5, v[2:3]
	v_mov_b32_e32 v4, v3
	v_mad_u64_u32 v[4:5], s[0:1], s41, v5, v[4:5]
	s_mov_b32 s83, 0
	v_mov_b32_e32 v3, v4
	s_mov_b64 s[68:69], s[56:57]
	s_branch .LBB69_12
.LBB69_11:                              ;   in Loop: Header=BB69_12 Depth=4
	s_add_i32 s83, s83, 1
	s_add_u32 s68, s68, s50
	s_addc_u32 s69, s69, s51
	s_cmp_eq_u32 s83, s31
	s_cbranch_scc1 .LBB69_8
.LBB69_12:                              ;   Parent Loop BB69_3 Depth=1
                                        ;     Parent Loop BB69_6 Depth=2
                                        ;       Parent Loop BB69_9 Depth=3
                                        ; =>      This Loop Header: Depth=4
                                        ;           Child Loop BB69_15 Depth 5
	s_andn2_b64 vcc, exec, s[46:47]
	s_cbranch_vccnz .LBB69_11
; %bb.13:                               ;   in Loop: Header=BB69_12 Depth=4
	s_mul_i32 s0, s83, s17
	v_add_u32_e32 v19, s0, v16
	v_cmp_gt_i32_e32 vcc, 0, v19
	v_cmp_le_i32_e64 s[0:1], s5, v19
	s_or_b64 s[70:71], vcc, s[0:1]
	v_mad_u64_u32 v[4:5], s[0:1], s38, v19, v[2:3]
	v_mov_b32_e32 v18, v5
	v_mad_u64_u32 v[18:19], s[0:1], s39, v19, v[18:19]
	v_mov_b32_e32 v5, v18
	v_mov_b32_e32 v18, v17
	s_mov_b64 s[72:73], s[68:69]
	s_mov_b32 s84, s74
	s_branch .LBB69_15
.LBB69_14:                              ;   in Loop: Header=BB69_15 Depth=5
	s_or_b64 exec, exec, s[0:1]
	s_add_i32 s84, s84, -1
	s_add_u32 s72, s72, s48
	s_addc_u32 s73, s73, s49
	s_cmp_eq_u32 s84, 0
	v_add_u32_e32 v18, s18, v18
	s_cbranch_scc1 .LBB69_11
.LBB69_15:                              ;   Parent Loop BB69_3 Depth=1
                                        ;     Parent Loop BB69_6 Depth=2
                                        ;       Parent Loop BB69_9 Depth=3
                                        ;         Parent Loop BB69_12 Depth=4
                                        ; =>        This Inner Loop Header: Depth=5
	v_cmp_gt_i32_e32 vcc, 0, v18
	v_cmp_le_i32_e64 s[0:1], s6, v18
	s_or_b64 s[0:1], vcc, s[0:1]
	s_or_b64 s[0:1], s[58:59], s[0:1]
	s_or_b64 s[0:1], s[70:71], s[0:1]
	s_xor_b64 s[86:87], s[0:1], -1
	s_and_saveexec_b64 s[0:1], s[86:87]
	s_cbranch_execz .LBB69_14
; %bb.16:                               ;   in Loop: Header=BB69_15 Depth=5
	v_mad_u64_u32 v[20:21], s[86:87], s36, v18, v[4:5]
	v_mov_b32_e32 v22, v21
	v_mad_u64_u32 v[22:23], s[86:87], s37, v18, v[22:23]
	v_mov_b32_e32 v21, v22
	global_load_sbyte v19, v[20:21], off
	s_nop 0
	global_load_sbyte v20, v10, s[72:73]
	s_waitcnt vmcnt(0)
	v_mad_i32_i24 v12, v20, v19, v12
	s_branch .LBB69_14
.LBB69_17:                              ;   in Loop: Header=BB69_3 Depth=1
	v_ashrrev_i32_e32 v2, 31, v11
	v_mul_lo_u32 v15, s61, v11
	v_mul_lo_u32 v16, s60, v2
	v_mad_u64_u32 v[2:3], s[0:1], s60, v11, 0
	v_ashrrev_i32_e32 v5, 31, v13
	v_add3_u32 v3, v3, v16, v15
	v_mad_u64_u32 v[2:3], s[0:1], s62, v13, v[2:3]
	v_mul_lo_u32 v11, s63, v13
	v_mul_lo_u32 v5, s62, v5
	v_ashrrev_i32_e32 v4, 31, v14
	v_add3_u32 v3, v11, v3, v5
	v_mad_u64_u32 v[2:3], s[0:1], s64, v14, v[2:3]
	v_mul_lo_u32 v5, s65, v14
	v_mul_lo_u32 v4, s64, v4
	v_add3_u32 v3, v5, v3, v4
	s_mov_b64 s[0:1], -1
	s_and_b64 vcc, exec, s[66:67]
	v_lshl_add_u64 v[2:3], v[2:3], 2, s[2:3]
	s_cbranch_vccz .LBB69_19
; %bb.18:                               ;   in Loop: Header=BB69_3 Depth=1
	global_load_dword v5, v[2:3], off
	v_mul_lo_u32 v4, v12, v1
	s_waitcnt vmcnt(0)
	v_mad_u64_u32 v[4:5], s[0:1], v5, v6, v[4:5]
	global_store_dword v[2:3], v4, off
	s_mov_b64 s[0:1], 0
.LBB69_19:                              ;   in Loop: Header=BB69_3 Depth=1
	s_andn2_b64 vcc, exec, s[0:1]
	s_cbranch_vccnz .LBB69_2
; %bb.20:                               ;   in Loop: Header=BB69_3 Depth=1
	global_store_dword v[2:3], v12, off
	s_branch .LBB69_2
.LBB69_21:
	s_endpgm
	.section	.rodata,"a",@progbits
	.p2align	6, 0x0
	.amdhsa_kernel naive_conv_ab_nonpacked_fwd_ncdhw_int8_t_int32_t_int32_t_0
		.amdhsa_group_segment_fixed_size 0
		.amdhsa_private_segment_fixed_size 0
		.amdhsa_kernarg_size 528
		.amdhsa_user_sgpr_count 2
		.amdhsa_user_sgpr_dispatch_ptr 0
		.amdhsa_user_sgpr_queue_ptr 0
		.amdhsa_user_sgpr_kernarg_segment_ptr 1
		.amdhsa_user_sgpr_dispatch_id 0
		.amdhsa_user_sgpr_kernarg_preload_length 0
		.amdhsa_user_sgpr_kernarg_preload_offset 0
		.amdhsa_user_sgpr_private_segment_size 0
		.amdhsa_uses_dynamic_stack 0
		.amdhsa_enable_private_segment 0
		.amdhsa_system_sgpr_workgroup_id_x 1
		.amdhsa_system_sgpr_workgroup_id_y 0
		.amdhsa_system_sgpr_workgroup_id_z 0
		.amdhsa_system_sgpr_workgroup_info 0
		.amdhsa_system_vgpr_workitem_id 0
		.amdhsa_next_free_vgpr 24
		.amdhsa_next_free_sgpr 88
		.amdhsa_accum_offset 24
		.amdhsa_reserve_vcc 1
		.amdhsa_float_round_mode_32 0
		.amdhsa_float_round_mode_16_64 0
		.amdhsa_float_denorm_mode_32 3
		.amdhsa_float_denorm_mode_16_64 3
		.amdhsa_dx10_clamp 1
		.amdhsa_ieee_mode 1
		.amdhsa_fp16_overflow 0
		.amdhsa_tg_split 0
		.amdhsa_exception_fp_ieee_invalid_op 0
		.amdhsa_exception_fp_denorm_src 0
		.amdhsa_exception_fp_ieee_div_zero 0
		.amdhsa_exception_fp_ieee_overflow 0
		.amdhsa_exception_fp_ieee_underflow 0
		.amdhsa_exception_fp_ieee_inexact 0
		.amdhsa_exception_int_div_zero 0
	.end_amdhsa_kernel
	.text
.Lfunc_end69:
	.size	naive_conv_ab_nonpacked_fwd_ncdhw_int8_t_int32_t_int32_t_0, .Lfunc_end69-naive_conv_ab_nonpacked_fwd_ncdhw_int8_t_int32_t_int32_t_0
                                        ; -- End function
	.section	.AMDGPU.csdata,"",@progbits
; Kernel info:
; codeLenInByte = 1800
; NumSgprs: 94
; NumVgprs: 24
; NumAgprs: 0
; TotalNumVgprs: 24
; ScratchSize: 0
; MemoryBound: 0
; FloatMode: 240
; IeeeMode: 1
; LDSByteSize: 0 bytes/workgroup (compile time only)
; SGPRBlocks: 11
; VGPRBlocks: 2
; NumSGPRsForWavesPerEU: 94
; NumVGPRsForWavesPerEU: 24
; AccumOffset: 24
; Occupancy: 8
; WaveLimiterHint : 1
; COMPUTE_PGM_RSRC2:SCRATCH_EN: 0
; COMPUTE_PGM_RSRC2:USER_SGPR: 2
; COMPUTE_PGM_RSRC2:TRAP_HANDLER: 0
; COMPUTE_PGM_RSRC2:TGID_X_EN: 1
; COMPUTE_PGM_RSRC2:TGID_Y_EN: 0
; COMPUTE_PGM_RSRC2:TGID_Z_EN: 0
; COMPUTE_PGM_RSRC2:TIDIG_COMP_CNT: 0
; COMPUTE_PGM_RSRC3_GFX90A:ACCUM_OFFSET: 5
; COMPUTE_PGM_RSRC3_GFX90A:TG_SPLIT: 0
	.text
	.protected	naive_conv_ab_packed_fwd_ncdhw_int8_t_int32_t_float_0 ; -- Begin function naive_conv_ab_packed_fwd_ncdhw_int8_t_int32_t_float_0
	.globl	naive_conv_ab_packed_fwd_ncdhw_int8_t_int32_t_float_0
	.p2align	8
	.type	naive_conv_ab_packed_fwd_ncdhw_int8_t_int32_t_float_0,@function
naive_conv_ab_packed_fwd_ncdhw_int8_t_int32_t_float_0: ; @naive_conv_ab_packed_fwd_ncdhw_int8_t_int32_t_float_0
; %bb.0:
	s_load_dwordx16 s[4:19], s[0:1], 0xb8
	s_abs_i32 s3, s2
	s_waitcnt lgkmcnt(0)
	s_abs_i32 s20, s8
	v_cvt_f32_u32_e32 v1, s20
	s_sub_i32 s21, 0, s20
	s_mul_i32 s28, s8, s7
	s_mul_i32 s46, s12, s11
	v_rcp_iflag_f32_e32 v1, v1
	s_nop 0
	v_mul_f32_e32 v1, 0x4f7ffffe, v1
	v_cvt_u32_f32_e32 v1, v1
	s_nop 0
	v_readfirstlane_b32 s22, v1
	s_mul_i32 s21, s21, s22
	s_mul_hi_u32 s21, s22, s21
	s_add_i32 s22, s22, s21
	s_mul_hi_u32 s21, s3, s22
	s_mul_i32 s22, s21, s20
	s_sub_i32 s22, s3, s22
	s_add_i32 s23, s21, 1
	s_sub_i32 s24, s22, s20
	s_cmp_ge_u32 s22, s20
	s_cselect_b32 s21, s23, s21
	s_cselect_b32 s22, s24, s22
	s_add_i32 s23, s21, 1
	s_cmp_ge_u32 s22, s20
	s_cselect_b32 s29, s23, s21
	s_abs_i32 s38, s7
	s_abs_i32 s33, s28
	v_cvt_f32_u32_e32 v1, s38
	v_cvt_f32_u32_e32 v2, s33
	s_mul_i32 s7, s46, s10
	v_cmp_gt_i32_e32 vcc, s7, v0
	v_rcp_iflag_f32_e32 v1, v1
	v_rcp_iflag_f32_e32 v2, v2
	v_mul_f32_e32 v1, 0x4f7ffffe, v1
	v_mul_f32_e32 v2, 0x4f7ffffe, v2
	v_cvt_u32_f32_e32 v1, v1
	v_cvt_u32_f32_e32 v2, v2
	v_readfirstlane_b32 s31, v1
	v_readfirstlane_b32 s30, v2
	s_and_saveexec_b64 s[20:21], vcc
	s_cbranch_execz .LBB70_19
; %bb.1:
	s_ashr_i32 s39, s2, 31
	s_ashr_i32 s34, s8, 31
	s_xor_b32 s34, s39, s34
	s_xor_b32 s29, s29, s34
	s_sub_i32 s40, s29, s34
	s_sub_i32 s29, 0, s38
	s_mul_i32 s29, s29, s31
	s_mul_hi_u32 s29, s31, s29
	s_load_dwordx2 s[34:35], s[0:1], 0x108
	s_abs_i32 s42, s40
	s_add_i32 s31, s31, s29
	s_ashr_i32 s44, s28, 31
	s_sub_i32 s28, 0, s33
	s_mul_hi_u32 s43, s42, s31
	s_mul_i32 s28, s28, s30
	s_ashr_i32 s41, s40, 31
	s_mul_hi_u32 s28, s30, s28
	s_mul_i32 s40, s40, s8
	s_mul_i32 s43, s43, s38
	s_add_i32 s30, s30, s28
	s_sub_i32 s40, s2, s40
	s_sub_i32 s2, s42, s43
	s_load_dwordx8 s[20:27], s[0:1], 0x0
	s_mul_hi_u32 s45, s3, s30
	s_load_dwordx2 s[36:37], s[0:1], 0x20
	s_load_dwordx4 s[28:31], s[0:1], 0xf8
	s_load_dword s47, s[0:1], 0x11c
	s_waitcnt lgkmcnt(0)
	s_mul_i32 s0, s35, s8
	s_mul_i32 s1, s35, s9
	s_sub_i32 s35, s2, s38
	s_cmp_ge_u32 s2, s38
	s_cselect_b32 s2, s35, s2
	s_sub_i32 s35, s2, s38
	s_cmp_ge_u32 s2, s38
	s_cselect_b32 s2, s35, s2
	s_mul_i32 s35, s45, s33
	s_xor_b32 s2, s2, s41
	s_sub_i32 s3, s3, s35
	s_sub_i32 s38, s2, s41
	s_xor_b32 s2, s39, s44
	s_add_i32 s35, s45, 1
	s_sub_i32 s39, s3, s33
	s_cmp_ge_u32 s3, s33
	s_cselect_b32 s35, s35, s45
	s_cselect_b32 s3, s39, s3
	s_add_i32 s39, s35, 1
	s_cmp_ge_u32 s3, s33
	s_cselect_b32 s3, s39, s35
	s_xor_b32 s3, s3, s2
	s_sub_i32 s39, s3, s2
	s_mul_hi_i32 s2, s38, s1
	s_mul_i32 s1, s38, s1
	s_ashr_i32 s33, s4, 31
	s_ashr_i32 s52, s5, 31
	;; [unrolled: 1-line block ×4, first 2 shown]
	s_mul_i32 s41, s39, s9
	s_mul_hi_i32 s3, s39, s9
	s_add_u32 s1, s41, s1
	s_mov_b32 s35, s4
	s_addc_u32 s2, s3, s2
	s_mul_hi_i32 s3, s5, s4
	s_mul_i32 s4, s5, s4
	s_mov_b32 s53, s5
	s_mul_i32 s5, s4, s54
	s_mul_hi_u32 s41, s4, s6
	s_add_i32 s5, s41, s5
	s_mul_i32 s3, s3, s6
	s_mul_i32 s4, s4, s6
	s_add_i32 s3, s5, s3
	s_mul_i32 s2, s4, s2
	s_mul_hi_u32 s5, s4, s1
	s_add_i32 s2, s5, s2
	s_mul_i32 s3, s3, s1
	s_add_i32 s3, s2, s3
	s_mul_i32 s4, s4, s1
	s_add_u32 s2, s20, s4
	s_addc_u32 s3, s21, s3
	s_mul_hi_i32 s1, s39, s8
	s_mul_i32 s39, s39, s8
	s_ashr_i32 s8, s30, 31
	s_ashr_i32 s57, s34, 31
	;; [unrolled: 1-line block ×3, first 2 shown]
	s_add_u32 s49, s39, s40
	s_addc_u32 s50, s1, s4
	s_mul_hi_i32 s1, s38, s0
	s_mul_i32 s38, s38, s0
	s_ashr_i32 s59, s12, 31
	s_mul_i32 s5, s11, s10
	s_add_u32 s0, s49, s38
	s_mul_hi_i32 s4, s11, s10
	s_mul_i32 s10, s5, s59
	s_mul_hi_u32 s20, s5, s12
	s_addc_u32 s1, s50, s1
	s_add_i32 s10, s20, s10
	s_mul_i32 s4, s4, s12
	s_mul_i32 s5, s5, s12
	s_add_i32 s4, s10, s4
	s_mul_i32 s1, s5, s1
	s_mul_hi_u32 s10, s5, s0
	s_add_i32 s1, s10, s1
	s_mul_i32 s4, s4, s0
	s_add_i32 s1, s1, s4
	s_mul_i32 s0, s5, s0
	s_lshl_b64 s[0:1], s[0:1], 2
	s_add_u32 s4, s36, s0
	s_addc_u32 s5, s37, s1
	s_cmp_gt_i32 s9, 0
	s_cselect_b64 s[20:21], -1, 0
	s_cmp_gt_i32 s30, 0
	s_cselect_b64 s[36:37], -1, 0
	;; [unrolled: 2-line block ×3, first 2 shown]
	s_cmp_gt_i32 s34, 0
	s_mov_b32 s60, s12
	s_cselect_b64 s[40:41], -1, 0
	s_abs_i32 s12, s12
	v_cvt_f32_u32_e32 v1, s12
	s_abs_i32 s61, s11
	v_cvt_f32_u32_e32 v3, s61
	s_abs_i32 s63, s46
	v_rcp_iflag_f32_e32 v2, v1
	v_cmp_neq_f64_e64 s[0:1], s[24:25], 1.0
	v_cmp_neq_f64_e64 s[44:45], s[26:27], 0
	v_cvt_f32_u32_e32 v5, s63
	v_mul_f32_e32 v2, 0x4f7ffffe, v2
	v_cvt_u32_f32_e32 v2, v2
	s_or_b64 s[44:45], s[0:1], s[44:45]
	s_sub_i32 s0, 0, s12
	v_rcp_iflag_f32_e32 v3, v3
	v_mul_lo_u32 v4, s0, v2
	v_mul_hi_u32 v4, v2, v4
	v_add_u32_e32 v15, v2, v4
	v_rcp_iflag_f32_e32 v2, v5
	v_mul_f32_e32 v3, 0x4f7ffffe, v3
	v_cvt_u32_f32_e32 v3, v3
	s_sub_i32 s0, 0, s61
	v_mul_f32_e32 v2, 0x4f7ffffe, v2
	v_cvt_u32_f32_e32 v2, v2
	v_mul_lo_u32 v4, s0, v3
	s_mul_i32 s65, s34, s31
	v_mul_hi_u32 v4, v3, v4
	s_sub_i32 s0, 0, s63
	s_mul_i32 s66, s65, s30
	v_add_u32_e32 v16, v3, v4
	v_mul_lo_u32 v3, s0, v2
	s_mul_i32 s0, s66, s50
	s_mul_hi_u32 s1, s66, s49
	s_mov_b32 s56, s31
	s_add_i32 s0, s1, s0
	s_mul_hi_i32 s31, s34, s31
	s_mul_i32 s1, s65, s8
	s_mul_hi_u32 s8, s65, s30
	s_add_i32 s1, s8, s1
	s_mul_i32 s8, s31, s30
	s_add_i32 s67, s1, s8
	s_mul_i32 s1, s67, s49
	;; [unrolled: 2-line block ×3, first 2 shown]
	s_mul_i32 s8, s1, s48
	s_mul_hi_u32 s10, s1, s9
	s_add_i32 s8, s10, s8
	s_mul_i32 s0, s0, s9
	s_and_b32 s62, s47, 0xffff
	s_ashr_i32 s64, s46, 31
	s_add_i32 s0, s8, s0
	s_mul_i32 s1, s1, s9
	v_mul_hi_u32 v3, v2, v3
	s_add_u32 s8, s22, s1
	s_mov_b32 s55, s9
	s_mov_b32 s58, s11
	s_mov_b64 s[42:43], 0
	v_cvt_i32_f64_e32 v1, s[24:25]
	v_cvt_i32_f64_e32 v14, s[26:27]
	v_add_u32_e32 v17, v2, v3
	s_addc_u32 s9, s23, s0
	v_mov_b32_e32 v3, 0
	s_branch .LBB70_3
.LBB70_2:                               ;   in Loop: Header=BB70_3 Depth=1
	v_cvt_f32_i32_e32 v2, v6
	v_add_u32_e32 v0, s62, v0
	v_cmp_le_i32_e32 vcc, s7, v0
	s_or_b64 s[42:43], vcc, s[42:43]
	global_store_dword v[4:5], v2, off
	s_andn2_b64 exec, exec, s[42:43]
	s_cbranch_execz .LBB70_19
.LBB70_3:                               ; =>This Loop Header: Depth=1
                                        ;     Child Loop BB70_6 Depth 2
                                        ;       Child Loop BB70_9 Depth 3
                                        ;         Child Loop BB70_12 Depth 4
                                        ;           Child Loop BB70_15 Depth 5
	v_sub_u32_e32 v5, 0, v0
	v_max_i32_e32 v5, v0, v5
	v_mul_hi_u32 v6, v5, v15
	v_mul_lo_u32 v7, v6, s12
	v_sub_u32_e32 v7, v5, v7
	v_add_u32_e32 v8, 1, v6
	v_cmp_le_u32_e32 vcc, s12, v7
	v_ashrrev_i32_e32 v2, 31, v0
	v_xor_b32_e32 v4, s59, v2
	v_cndmask_b32_e32 v6, v6, v8, vcc
	v_subrev_u32_e32 v8, s12, v7
	v_cndmask_b32_e32 v7, v7, v8, vcc
	v_add_u32_e32 v8, 1, v6
	v_cmp_le_u32_e32 vcc, s12, v7
	v_xor_b32_e32 v2, s64, v2
	s_nop 0
	v_cndmask_b32_e32 v6, v6, v8, vcc
	v_xor_b32_e32 v6, v6, v4
	v_sub_u32_e32 v6, v6, v4
	v_sub_u32_e32 v8, 0, v6
	v_mul_lo_u32 v4, v6, s60
	v_ashrrev_i32_e32 v7, 31, v6
	v_max_i32_e32 v6, v6, v8
	v_mul_hi_u32 v8, v6, v16
	v_mul_lo_u32 v8, v8, s61
	v_sub_u32_e32 v6, v6, v8
	v_subrev_u32_e32 v8, s61, v6
	v_cmp_le_u32_e32 vcc, s61, v6
	v_sub_u32_e32 v4, v0, v4
	s_nop 0
	v_cndmask_b32_e32 v6, v6, v8, vcc
	v_subrev_u32_e32 v8, s61, v6
	v_cmp_le_u32_e32 vcc, s61, v6
	s_nop 1
	v_cndmask_b32_e32 v6, v6, v8, vcc
	v_xor_b32_e32 v6, v6, v7
	v_sub_u32_e32 v8, v6, v7
	v_mul_hi_u32 v6, v5, v17
	v_mul_lo_u32 v7, v6, s63
	v_sub_u32_e32 v5, v5, v7
	v_add_u32_e32 v7, 1, v6
	v_cmp_le_u32_e32 vcc, s63, v5
	s_nop 1
	v_cndmask_b32_e32 v6, v6, v7, vcc
	v_subrev_u32_e32 v7, s63, v5
	v_cndmask_b32_e32 v5, v5, v7, vcc
	v_add_u32_e32 v7, 1, v6
	v_cmp_le_u32_e32 vcc, s63, v5
	s_nop 1
	v_cndmask_b32_e32 v5, v6, v7, vcc
	v_xor_b32_e32 v5, v5, v2
	v_sub_u32_e32 v5, v5, v2
	s_andn2_b64 vcc, exec, s[20:21]
	v_mov_b32_e32 v6, v3
	s_cbranch_vccnz .LBB70_17
; %bb.4:                                ;   in Loop: Header=BB70_3 Depth=1
	v_mul_lo_u32 v2, v5, s13
	v_subrev_u32_e32 v7, s19, v2
	v_mul_lo_u32 v2, v8, s14
	v_subrev_u32_e32 v9, s28, v2
	;; [unrolled: 2-line block ×3, first 2 shown]
	s_mov_b32 s68, 0
	v_mov_b32_e32 v6, 0
	s_mov_b64 s[10:11], s[8:9]
	s_branch .LBB70_6
.LBB70_5:                               ;   in Loop: Header=BB70_6 Depth=2
	s_add_i32 s68, s68, 1
	s_add_u32 s10, s10, s66
	s_addc_u32 s11, s11, s67
	s_cmp_eq_u32 s68, s55
	s_cbranch_scc1 .LBB70_17
.LBB70_6:                               ;   Parent Loop BB70_3 Depth=1
                                        ; =>  This Loop Header: Depth=2
                                        ;       Child Loop BB70_9 Depth 3
                                        ;         Child Loop BB70_12 Depth 4
                                        ;           Child Loop BB70_15 Depth 5
	s_andn2_b64 vcc, exec, s[36:37]
	s_cbranch_vccnz .LBB70_5
; %bb.7:                                ;   in Loop: Header=BB70_6 Depth=2
	s_mul_i32 s0, s68, s33
	s_mul_hi_u32 s1, s68, s35
	s_add_i32 s23, s1, s0
	s_mul_i32 s22, s68, s35
	s_mov_b32 s69, 0
	s_mov_b64 s[24:25], s[10:11]
	s_branch .LBB70_9
.LBB70_8:                               ;   in Loop: Header=BB70_9 Depth=3
	s_add_i32 s69, s69, 1
	s_add_u32 s24, s24, s65
	s_addc_u32 s25, s25, s31
	s_cmp_eq_u32 s69, s30
	s_cbranch_scc1 .LBB70_5
.LBB70_9:                               ;   Parent Loop BB70_3 Depth=1
                                        ;     Parent Loop BB70_6 Depth=2
                                        ; =>    This Loop Header: Depth=3
                                        ;         Child Loop BB70_12 Depth 4
                                        ;           Child Loop BB70_15 Depth 5
	s_andn2_b64 vcc, exec, s[38:39]
	s_cbranch_vccnz .LBB70_8
; %bb.10:                               ;   in Loop: Header=BB70_9 Depth=3
	s_mul_i32 s0, s69, s16
	v_add_u32_e32 v2, s0, v7
	v_cmp_gt_i32_e32 vcc, 0, v2
	v_cmp_le_i32_e64 s[0:1], s35, v2
	v_lshl_add_u64 v[10:11], s[22:23], 0, v[2:3]
	s_or_b64 s[26:27], vcc, s[0:1]
	v_mul_lo_u32 v2, v11, s53
	v_mul_lo_u32 v12, v10, s52
	v_mad_u64_u32 v[10:11], s[0:1], v10, s53, 0
	s_mov_b32 s70, 0
	v_add3_u32 v11, v11, v12, v2
	s_mov_b64 s[46:47], s[24:25]
	s_branch .LBB70_12
.LBB70_11:                              ;   in Loop: Header=BB70_12 Depth=4
	s_add_i32 s70, s70, 1
	s_add_u32 s46, s46, s34
	s_addc_u32 s47, s47, s57
	s_cmp_eq_u32 s70, s56
	s_cbranch_scc1 .LBB70_8
.LBB70_12:                              ;   Parent Loop BB70_3 Depth=1
                                        ;     Parent Loop BB70_6 Depth=2
                                        ;       Parent Loop BB70_9 Depth=3
                                        ; =>      This Loop Header: Depth=4
                                        ;           Child Loop BB70_15 Depth 5
	s_andn2_b64 vcc, exec, s[40:41]
	s_cbranch_vccnz .LBB70_11
; %bb.13:                               ;   in Loop: Header=BB70_12 Depth=4
	s_mul_i32 s0, s70, s17
	v_add_u32_e32 v2, s0, v9
	v_cmp_gt_i32_e32 vcc, 0, v2
	v_cmp_le_i32_e64 s[0:1], s53, v2
	v_lshl_add_u64 v[12:13], v[10:11], 0, v[2:3]
	v_mov_b64_e32 v[20:21], s[2:3]
	s_or_b64 s[48:49], vcc, s[0:1]
	v_mul_lo_u32 v2, v12, s54
	v_mul_lo_u32 v19, v13, s6
	v_mad_u64_u32 v[12:13], s[0:1], v12, s6, v[20:21]
	v_add3_u32 v13, v19, v13, v2
	v_mov_b32_e32 v2, v18
	s_mov_b64 s[50:51], s[46:47]
	s_mov_b32 s71, s34
	s_branch .LBB70_15
.LBB70_14:                              ;   in Loop: Header=BB70_15 Depth=5
	s_or_b64 exec, exec, s[0:1]
	s_add_i32 s71, s71, -1
	s_add_u32 s50, s50, 1
	s_addc_u32 s51, s51, 0
	s_cmp_eq_u32 s71, 0
	v_add_u32_e32 v2, s18, v2
	s_cbranch_scc1 .LBB70_11
.LBB70_15:                              ;   Parent Loop BB70_3 Depth=1
                                        ;     Parent Loop BB70_6 Depth=2
                                        ;       Parent Loop BB70_9 Depth=3
                                        ;         Parent Loop BB70_12 Depth=4
                                        ; =>        This Inner Loop Header: Depth=5
	v_cmp_gt_i32_e32 vcc, 0, v2
	v_cmp_le_i32_e64 s[0:1], s6, v2
	s_or_b64 s[0:1], vcc, s[0:1]
	s_or_b64 s[0:1], s[26:27], s[0:1]
	s_or_b64 s[0:1], s[48:49], s[0:1]
	s_xor_b64 s[72:73], s[0:1], -1
	s_and_saveexec_b64 s[0:1], s[72:73]
	s_cbranch_execz .LBB70_14
; %bb.16:                               ;   in Loop: Header=BB70_15 Depth=5
	v_lshl_add_u64 v[20:21], v[12:13], 0, v[2:3]
	global_load_sbyte v19, v[20:21], off
	s_nop 0
	global_load_sbyte v20, v3, s[50:51]
	s_waitcnt vmcnt(0)
	v_mad_i32_i24 v6, v20, v19, v6
	s_branch .LBB70_14
.LBB70_17:                              ;   in Loop: Header=BB70_3 Depth=1
	v_ashrrev_i32_e32 v9, 31, v8
	v_mad_i64_i32 v[8:9], s[0:1], v5, s58, v[8:9]
	v_mul_lo_u32 v2, v9, s60
	v_mul_lo_u32 v5, v8, s59
	v_mad_u64_u32 v[8:9], s[0:1], v8, s60, 0
	v_add3_u32 v9, v9, v5, v2
	v_ashrrev_i32_e32 v5, 31, v4
	v_lshl_add_u64 v[8:9], v[8:9], 2, s[4:5]
	s_andn2_b64 vcc, exec, s[44:45]
	v_lshl_add_u64 v[4:5], v[4:5], 2, v[8:9]
	s_cbranch_vccnz .LBB70_2
; %bb.18:                               ;   in Loop: Header=BB70_3 Depth=1
	global_load_dword v2, v[4:5], off
	s_waitcnt vmcnt(0)
	v_cvt_i32_f32_e32 v7, v2
	v_mul_lo_u32 v2, v6, v1
	v_mad_u64_u32 v[6:7], s[0:1], v7, v14, v[2:3]
	s_branch .LBB70_2
.LBB70_19:
	s_endpgm
	.section	.rodata,"a",@progbits
	.p2align	6, 0x0
	.amdhsa_kernel naive_conv_ab_packed_fwd_ncdhw_int8_t_int32_t_float_0
		.amdhsa_group_segment_fixed_size 0
		.amdhsa_private_segment_fixed_size 0
		.amdhsa_kernarg_size 528
		.amdhsa_user_sgpr_count 2
		.amdhsa_user_sgpr_dispatch_ptr 0
		.amdhsa_user_sgpr_queue_ptr 0
		.amdhsa_user_sgpr_kernarg_segment_ptr 1
		.amdhsa_user_sgpr_dispatch_id 0
		.amdhsa_user_sgpr_kernarg_preload_length 0
		.amdhsa_user_sgpr_kernarg_preload_offset 0
		.amdhsa_user_sgpr_private_segment_size 0
		.amdhsa_uses_dynamic_stack 0
		.amdhsa_enable_private_segment 0
		.amdhsa_system_sgpr_workgroup_id_x 1
		.amdhsa_system_sgpr_workgroup_id_y 0
		.amdhsa_system_sgpr_workgroup_id_z 0
		.amdhsa_system_sgpr_workgroup_info 0
		.amdhsa_system_vgpr_workitem_id 0
		.amdhsa_next_free_vgpr 22
		.amdhsa_next_free_sgpr 74
		.amdhsa_accum_offset 24
		.amdhsa_reserve_vcc 1
		.amdhsa_float_round_mode_32 0
		.amdhsa_float_round_mode_16_64 0
		.amdhsa_float_denorm_mode_32 3
		.amdhsa_float_denorm_mode_16_64 3
		.amdhsa_dx10_clamp 1
		.amdhsa_ieee_mode 1
		.amdhsa_fp16_overflow 0
		.amdhsa_tg_split 0
		.amdhsa_exception_fp_ieee_invalid_op 0
		.amdhsa_exception_fp_denorm_src 0
		.amdhsa_exception_fp_ieee_div_zero 0
		.amdhsa_exception_fp_ieee_overflow 0
		.amdhsa_exception_fp_ieee_underflow 0
		.amdhsa_exception_fp_ieee_inexact 0
		.amdhsa_exception_int_div_zero 0
	.end_amdhsa_kernel
	.text
.Lfunc_end70:
	.size	naive_conv_ab_packed_fwd_ncdhw_int8_t_int32_t_float_0, .Lfunc_end70-naive_conv_ab_packed_fwd_ncdhw_int8_t_int32_t_float_0
                                        ; -- End function
	.section	.AMDGPU.csdata,"",@progbits
; Kernel info:
; codeLenInByte = 1800
; NumSgprs: 80
; NumVgprs: 22
; NumAgprs: 0
; TotalNumVgprs: 22
; ScratchSize: 0
; MemoryBound: 0
; FloatMode: 240
; IeeeMode: 1
; LDSByteSize: 0 bytes/workgroup (compile time only)
; SGPRBlocks: 9
; VGPRBlocks: 2
; NumSGPRsForWavesPerEU: 80
; NumVGPRsForWavesPerEU: 22
; AccumOffset: 24
; Occupancy: 8
; WaveLimiterHint : 1
; COMPUTE_PGM_RSRC2:SCRATCH_EN: 0
; COMPUTE_PGM_RSRC2:USER_SGPR: 2
; COMPUTE_PGM_RSRC2:TRAP_HANDLER: 0
; COMPUTE_PGM_RSRC2:TGID_X_EN: 1
; COMPUTE_PGM_RSRC2:TGID_Y_EN: 0
; COMPUTE_PGM_RSRC2:TGID_Z_EN: 0
; COMPUTE_PGM_RSRC2:TIDIG_COMP_CNT: 0
; COMPUTE_PGM_RSRC3_GFX90A:ACCUM_OFFSET: 5
; COMPUTE_PGM_RSRC3_GFX90A:TG_SPLIT: 0
	.text
	.protected	naive_conv_ab_nonpacked_fwd_ncdhw_int8_t_int32_t_float_0 ; -- Begin function naive_conv_ab_nonpacked_fwd_ncdhw_int8_t_int32_t_float_0
	.globl	naive_conv_ab_nonpacked_fwd_ncdhw_int8_t_int32_t_float_0
	.p2align	8
	.type	naive_conv_ab_nonpacked_fwd_ncdhw_int8_t_int32_t_float_0,@function
naive_conv_ab_nonpacked_fwd_ncdhw_int8_t_int32_t_float_0: ; @naive_conv_ab_nonpacked_fwd_ncdhw_int8_t_int32_t_float_0
; %bb.0:
	s_load_dwordx16 s[4:19], s[0:1], 0xb8
	s_abs_i32 s3, s2
	s_waitcnt lgkmcnt(0)
	s_abs_i32 s20, s8
	v_cvt_f32_u32_e32 v1, s20
	s_sub_i32 s21, 0, s20
	s_mul_i32 s28, s8, s7
	s_mul_i32 s68, s12, s11
	v_rcp_iflag_f32_e32 v1, v1
	s_nop 0
	v_mul_f32_e32 v1, 0x4f7ffffe, v1
	v_cvt_u32_f32_e32 v1, v1
	s_nop 0
	v_readfirstlane_b32 s22, v1
	s_mul_i32 s21, s21, s22
	s_mul_hi_u32 s21, s22, s21
	s_add_i32 s22, s22, s21
	s_mul_hi_u32 s21, s3, s22
	s_mul_i32 s22, s21, s20
	s_sub_i32 s22, s3, s22
	s_add_i32 s23, s21, 1
	s_sub_i32 s24, s22, s20
	s_cmp_ge_u32 s22, s20
	s_cselect_b32 s21, s23, s21
	s_cselect_b32 s22, s24, s22
	s_add_i32 s23, s21, 1
	s_cmp_ge_u32 s22, s20
	s_cselect_b32 s29, s23, s21
	s_abs_i32 s69, s7
	s_abs_i32 s33, s28
	v_cvt_f32_u32_e32 v1, s69
	v_cvt_f32_u32_e32 v2, s33
	s_mul_i32 s7, s68, s10
	v_cmp_gt_i32_e32 vcc, s7, v0
	v_rcp_iflag_f32_e32 v1, v1
	v_rcp_iflag_f32_e32 v2, v2
	v_mul_f32_e32 v1, 0x4f7ffffe, v1
	v_mul_f32_e32 v2, 0x4f7ffffe, v2
	v_cvt_u32_f32_e32 v1, v1
	v_cvt_u32_f32_e32 v2, v2
	v_readfirstlane_b32 s30, v1
	v_readfirstlane_b32 s10, v2
	s_and_saveexec_b64 s[20:21], vcc
	s_cbranch_execz .LBB71_19
; %bb.1:
	s_ashr_i32 s70, s2, 31
	s_ashr_i32 s31, s8, 31
	s_xor_b32 s31, s70, s31
	s_xor_b32 s29, s29, s31
	s_sub_i32 s71, s29, s31
	s_sub_i32 s29, 0, s69
	s_mul_i32 s29, s29, s30
	s_mul_hi_u32 s29, s30, s29
	s_abs_i32 s73, s71
	s_add_i32 s30, s30, s29
	s_mul_hi_u32 s74, s73, s30
	s_ashr_i32 s75, s28, 31
	s_sub_i32 s28, 0, s33
	s_ashr_i32 s72, s71, 31
	s_mul_i32 s28, s28, s10
	s_mul_i32 s71, s71, s8
	s_mul_i32 s74, s74, s69
	s_mul_hi_u32 s28, s10, s28
	s_sub_i32 s71, s2, s71
	s_sub_i32 s2, s73, s74
	s_add_i32 s10, s10, s28
	s_sub_i32 s8, s2, s69
	s_cmp_ge_u32 s2, s69
	s_cselect_b32 s2, s8, s2
	s_sub_i32 s8, s2, s69
	s_mul_hi_u32 s10, s3, s10
	s_cmp_ge_u32 s2, s69
	s_cselect_b32 s2, s8, s2
	s_mul_i32 s69, s10, s33
	s_xor_b32 s2, s2, s72
	s_sub_i32 s3, s3, s69
	s_sub_i32 s2, s2, s72
	s_xor_b32 s8, s70, s75
	s_add_i32 s69, s10, 1
	s_sub_i32 s70, s3, s33
	s_cmp_ge_u32 s3, s33
	s_cselect_b32 s10, s69, s10
	s_cselect_b32 s3, s70, s3
	s_add_i32 s69, s10, 1
	s_cmp_ge_u32 s3, s33
	s_load_dwordx8 s[20:27], s[0:1], 0x0
	s_load_dwordx2 s[34:35], s[0:1], 0x20
	s_load_dwordx16 s[36:51], s[0:1], 0x28
	s_load_dwordx16 s[52:67], s[0:1], 0x68
	s_load_dwordx4 s[28:31], s[0:1], 0xa8
	s_cselect_b32 s3, s69, s10
	s_xor_b32 s3, s3, s8
	s_sub_i32 s10, s3, s8
	s_ashr_i32 s3, s2, 31
	s_waitcnt lgkmcnt(0)
	s_mul_i32 s8, s46, s3
	s_mul_hi_u32 s33, s46, s2
	s_add_i32 s8, s33, s8
	s_mul_i32 s33, s47, s2
	s_add_i32 s8, s8, s33
	s_mul_i32 s33, s46, s2
	s_ashr_i32 s46, s10, 31
	s_mul_i32 s47, s44, s46
	s_mul_hi_u32 s69, s44, s10
	s_add_i32 s47, s69, s47
	s_mul_i32 s45, s45, s10
	s_add_i32 s47, s47, s45
	s_add_u32 s20, s20, s33
	s_mul_i32 s44, s44, s10
	s_addc_u32 s21, s21, s8
	s_add_u32 s8, s20, s44
	s_addc_u32 s33, s21, s47
	s_mul_i32 s20, s58, s46
	s_mul_hi_u32 s21, s58, s10
	s_add_i32 s20, s21, s20
	s_mul_i32 s21, s59, s10
	s_ashr_i32 s44, s71, 31
	s_add_i32 s59, s20, s21
	s_mul_i32 s20, s56, s44
	s_mul_hi_u32 s21, s56, s71
	s_add_i32 s20, s21, s20
	s_mul_i32 s21, s57, s71
	s_add_i32 s57, s20, s21
	s_mul_i32 s3, s30, s3
	s_mul_hi_u32 s20, s30, s2
	s_add_i32 s3, s20, s3
	s_mul_i32 s20, s31, s2
	;; [unrolled: 5-line block ×3, first 2 shown]
	s_add_i32 s21, s20, s21
	s_mul_i32 s20, s28, s10
	s_mul_i32 s28, s66, s44
	s_mul_hi_u32 s29, s66, s71
	s_mul_i32 s2, s30, s2
	s_add_i32 s28, s29, s28
	s_mul_i32 s29, s67, s71
	s_add_i32 s45, s28, s29
	s_lshl_b64 s[2:3], s[2:3], 2
	s_add_u32 s34, s34, s2
	s_addc_u32 s35, s35, s3
	s_lshl_b64 s[2:3], s[20:21], 2
	s_load_dwordx4 s[28:31], s[0:1], 0xf8
	s_load_dword s74, s[0:1], 0x108
	s_load_dword s69, s[0:1], 0x11c
	s_mul_i32 s44, s66, s71
	s_add_u32 s20, s34, s2
	s_addc_u32 s21, s35, s3
	s_lshl_b64 s[2:3], s[44:45], 2
	s_add_u32 s2, s20, s2
	s_addc_u32 s3, s21, s3
	s_cmp_gt_i32 s9, 0
	s_cselect_b64 s[20:21], -1, 0
	s_waitcnt lgkmcnt(0)
	s_cmp_gt_i32 s30, 0
	s_cselect_b64 s[34:35], -1, 0
	s_cmp_gt_i32 s31, 0
	s_cselect_b64 s[44:45], -1, 0
	;; [unrolled: 2-line block ×3, first 2 shown]
	s_abs_i32 s79, s12
	s_abs_i32 s80, s11
	v_cvt_f32_u32_e32 v2, s79
	v_cvt_f32_u32_e32 v4, s80
	s_abs_i32 s77, s68
	v_cvt_f32_u32_e32 v6, s77
	v_rcp_iflag_f32_e32 v2, v2
	v_rcp_iflag_f32_e32 v4, v4
	v_cmp_neq_f64_e64 s[0:1], s[24:25], 1.0
	v_rcp_iflag_f32_e32 v6, v6
	v_mul_f32_e32 v2, 0x4f7ffffe, v2
	v_cvt_u32_f32_e32 v2, v2
	v_mul_f32_e32 v4, 0x4f7ffffe, v4
	v_cvt_u32_f32_e32 v4, v4
	v_cmp_neq_f64_e64 s[66:67], s[26:27], 0
	v_mul_f32_e32 v6, 0x4f7ffffe, v6
	s_or_b64 s[66:67], s[0:1], s[66:67]
	s_mul_i32 s1, s56, s71
	s_sub_i32 s56, 0, s79
	v_cvt_u32_f32_e32 v6, v6
	s_mul_i32 s0, s58, s10
	s_sub_i32 s58, 0, s80
	v_mul_lo_u32 v3, s56, v2
	s_and_b32 s75, s69, 0xffff
	s_ashr_i32 s76, s68, 31
	s_ashr_i32 s78, s12, 31
	s_sub_i32 s68, 0, s77
	v_mul_lo_u32 v5, s58, v4
	v_mul_hi_u32 v3, v2, v3
	s_add_u32 s0, s1, s0
	v_add_u32_e32 v9, v2, v3
	v_mul_hi_u32 v2, v4, v5
	s_addc_u32 s1, s57, s59
	v_add_u32_e32 v10, v4, v2
	v_mul_lo_u32 v2, s68, v6
	s_add_u32 s10, s22, s0
	v_mul_hi_u32 v2, v6, v2
	s_addc_u32 s11, s23, s1
	v_cvt_i32_f64_e32 v1, s[24:25]
	v_cvt_i32_f64_e32 v8, s[26:27]
	s_mov_b64 s[22:23], 0
	v_add_u32_e32 v11, v6, v2
	v_mov_b32_e32 v12, 0
	s_branch .LBB71_3
.LBB71_2:                               ;   in Loop: Header=BB71_3 Depth=1
	v_cvt_f32_i32_e32 v2, v2
	v_add_u32_e32 v0, s75, v0
	v_cmp_le_i32_e32 vcc, s7, v0
	s_or_b64 s[22:23], vcc, s[22:23]
	global_store_dword v[4:5], v2, off
	s_andn2_b64 exec, exec, s[22:23]
	s_cbranch_execz .LBB71_19
.LBB71_3:                               ; =>This Loop Header: Depth=1
                                        ;     Child Loop BB71_6 Depth 2
                                        ;       Child Loop BB71_9 Depth 3
                                        ;         Child Loop BB71_12 Depth 4
                                        ;           Child Loop BB71_15 Depth 5
	v_sub_u32_e32 v4, 0, v0
	v_max_i32_e32 v4, v0, v4
	v_mul_hi_u32 v5, v4, v9
	v_mul_lo_u32 v6, v5, s79
	v_sub_u32_e32 v6, v4, v6
	v_add_u32_e32 v7, 1, v5
	v_cmp_le_u32_e32 vcc, s79, v6
	v_ashrrev_i32_e32 v2, 31, v0
	v_xor_b32_e32 v3, s78, v2
	v_cndmask_b32_e32 v5, v5, v7, vcc
	v_subrev_u32_e32 v7, s79, v6
	v_cndmask_b32_e32 v6, v6, v7, vcc
	v_add_u32_e32 v7, 1, v5
	v_cmp_le_u32_e32 vcc, s79, v6
	v_xor_b32_e32 v2, s76, v2
	s_nop 0
	v_cndmask_b32_e32 v5, v5, v7, vcc
	v_xor_b32_e32 v5, v5, v3
	v_sub_u32_e32 v5, v5, v3
	v_sub_u32_e32 v7, 0, v5
	v_mul_lo_u32 v3, v5, s12
	v_ashrrev_i32_e32 v6, 31, v5
	v_max_i32_e32 v5, v5, v7
	v_mul_hi_u32 v7, v5, v10
	v_mul_lo_u32 v7, v7, s80
	v_sub_u32_e32 v5, v5, v7
	v_subrev_u32_e32 v7, s80, v5
	v_cmp_le_u32_e32 vcc, s80, v5
	v_sub_u32_e32 v3, v0, v3
	s_nop 0
	v_cndmask_b32_e32 v5, v5, v7, vcc
	v_subrev_u32_e32 v7, s80, v5
	v_cmp_le_u32_e32 vcc, s80, v5
	s_nop 1
	v_cndmask_b32_e32 v5, v5, v7, vcc
	v_xor_b32_e32 v5, v5, v6
	v_sub_u32_e32 v13, v5, v6
	v_mul_hi_u32 v5, v4, v11
	v_mul_lo_u32 v6, v5, s77
	v_sub_u32_e32 v4, v4, v6
	v_add_u32_e32 v6, 1, v5
	v_cmp_le_u32_e32 vcc, s77, v4
	s_nop 1
	v_cndmask_b32_e32 v5, v5, v6, vcc
	v_subrev_u32_e32 v6, s77, v4
	v_cndmask_b32_e32 v4, v4, v6, vcc
	v_add_u32_e32 v6, 1, v5
	v_cmp_le_u32_e32 vcc, s77, v4
	s_nop 1
	v_cndmask_b32_e32 v4, v5, v6, vcc
	v_xor_b32_e32 v4, v4, v2
	v_sub_u32_e32 v14, v4, v2
	s_andn2_b64 vcc, exec, s[20:21]
	v_mov_b32_e32 v2, 0
	s_cbranch_vccnz .LBB71_17
; %bb.4:                                ;   in Loop: Header=BB71_3 Depth=1
	v_mul_lo_u32 v2, v14, s13
	v_subrev_u32_e32 v15, s19, v2
	v_mul_lo_u32 v2, v13, s14
	v_subrev_u32_e32 v16, s28, v2
	;; [unrolled: 2-line block ×3, first 2 shown]
	s_mov_b32 s81, 0
	v_mov_b32_e32 v2, 0
	s_mov_b64 s[24:25], s[10:11]
	s_branch .LBB71_6
.LBB71_5:                               ;   in Loop: Header=BB71_6 Depth=2
	s_add_i32 s81, s81, 1
	s_add_u32 s24, s24, s54
	s_addc_u32 s25, s25, s55
	s_cmp_eq_u32 s81, s9
	s_cbranch_scc1 .LBB71_17
.LBB71_6:                               ;   Parent Loop BB71_3 Depth=1
                                        ; =>  This Loop Header: Depth=2
                                        ;       Child Loop BB71_9 Depth 3
                                        ;         Child Loop BB71_12 Depth 4
                                        ;           Child Loop BB71_15 Depth 5
	s_andn2_b64 vcc, exec, s[34:35]
	s_cbranch_vccnz .LBB71_5
; %bb.7:                                ;   in Loop: Header=BB71_6 Depth=2
	s_mul_i32 s0, s43, s81
	s_mul_hi_u32 s1, s42, s81
	s_add_i32 s1, s1, s0
	s_mul_i32 s0, s42, s81
	s_add_u32 s26, s8, s0
	s_addc_u32 s27, s33, s1
	s_mov_b32 s82, 0
	s_mov_b64 s[56:57], s[24:25]
	s_branch .LBB71_9
.LBB71_8:                               ;   in Loop: Header=BB71_9 Depth=3
	s_add_i32 s82, s82, 1
	s_add_u32 s56, s56, s52
	s_addc_u32 s57, s57, s53
	s_cmp_eq_u32 s82, s30
	s_cbranch_scc1 .LBB71_5
.LBB71_9:                               ;   Parent Loop BB71_3 Depth=1
                                        ;     Parent Loop BB71_6 Depth=2
                                        ; =>    This Loop Header: Depth=3
                                        ;         Child Loop BB71_12 Depth 4
                                        ;           Child Loop BB71_15 Depth 5
	s_andn2_b64 vcc, exec, s[44:45]
	s_cbranch_vccnz .LBB71_8
; %bb.10:                               ;   in Loop: Header=BB71_9 Depth=3
	s_mul_i32 s0, s82, s16
	v_add_u32_e32 v7, s0, v15
	v_cmp_gt_i32_e32 vcc, 0, v7
	v_cmp_le_i32_e64 s[0:1], s4, v7
	v_mov_b64_e32 v[4:5], s[26:27]
	s_or_b64 s[58:59], vcc, s[0:1]
	v_mad_u64_u32 v[4:5], s[0:1], s40, v7, v[4:5]
	v_mov_b32_e32 v6, v5
	v_mad_u64_u32 v[6:7], s[0:1], s41, v7, v[6:7]
	s_mov_b32 s83, 0
	v_mov_b32_e32 v5, v6
	s_mov_b64 s[68:69], s[56:57]
	s_branch .LBB71_12
.LBB71_11:                              ;   in Loop: Header=BB71_12 Depth=4
	s_add_i32 s83, s83, 1
	s_add_u32 s68, s68, s50
	s_addc_u32 s69, s69, s51
	s_cmp_eq_u32 s83, s31
	s_cbranch_scc1 .LBB71_8
.LBB71_12:                              ;   Parent Loop BB71_3 Depth=1
                                        ;     Parent Loop BB71_6 Depth=2
                                        ;       Parent Loop BB71_9 Depth=3
                                        ; =>      This Loop Header: Depth=4
                                        ;           Child Loop BB71_15 Depth 5
	s_andn2_b64 vcc, exec, s[46:47]
	s_cbranch_vccnz .LBB71_11
; %bb.13:                               ;   in Loop: Header=BB71_12 Depth=4
	s_mul_i32 s0, s83, s17
	v_add_u32_e32 v19, s0, v16
	v_cmp_gt_i32_e32 vcc, 0, v19
	v_cmp_le_i32_e64 s[0:1], s5, v19
	s_or_b64 s[70:71], vcc, s[0:1]
	v_mad_u64_u32 v[6:7], s[0:1], s38, v19, v[4:5]
	v_mov_b32_e32 v18, v7
	v_mad_u64_u32 v[18:19], s[0:1], s39, v19, v[18:19]
	v_mov_b32_e32 v7, v18
	v_mov_b32_e32 v18, v17
	s_mov_b64 s[72:73], s[68:69]
	s_mov_b32 s84, s74
	s_branch .LBB71_15
.LBB71_14:                              ;   in Loop: Header=BB71_15 Depth=5
	s_or_b64 exec, exec, s[0:1]
	s_add_i32 s84, s84, -1
	s_add_u32 s72, s72, s48
	s_addc_u32 s73, s73, s49
	s_cmp_eq_u32 s84, 0
	v_add_u32_e32 v18, s18, v18
	s_cbranch_scc1 .LBB71_11
.LBB71_15:                              ;   Parent Loop BB71_3 Depth=1
                                        ;     Parent Loop BB71_6 Depth=2
                                        ;       Parent Loop BB71_9 Depth=3
                                        ;         Parent Loop BB71_12 Depth=4
                                        ; =>        This Inner Loop Header: Depth=5
	v_cmp_gt_i32_e32 vcc, 0, v18
	v_cmp_le_i32_e64 s[0:1], s6, v18
	s_or_b64 s[0:1], vcc, s[0:1]
	s_or_b64 s[0:1], s[58:59], s[0:1]
	s_or_b64 s[0:1], s[70:71], s[0:1]
	s_xor_b64 s[86:87], s[0:1], -1
	s_and_saveexec_b64 s[0:1], s[86:87]
	s_cbranch_execz .LBB71_14
; %bb.16:                               ;   in Loop: Header=BB71_15 Depth=5
	v_mad_u64_u32 v[20:21], s[86:87], s36, v18, v[6:7]
	v_mov_b32_e32 v22, v21
	v_mad_u64_u32 v[22:23], s[86:87], s37, v18, v[22:23]
	v_mov_b32_e32 v21, v22
	global_load_sbyte v19, v[20:21], off
	s_nop 0
	global_load_sbyte v20, v12, s[72:73]
	s_waitcnt vmcnt(0)
	v_mad_i32_i24 v2, v20, v19, v2
	s_branch .LBB71_14
.LBB71_17:                              ;   in Loop: Header=BB71_3 Depth=1
	v_ashrrev_i32_e32 v4, 31, v14
	v_mul_lo_u32 v6, s65, v14
	v_mul_lo_u32 v7, s64, v4
	v_mad_u64_u32 v[4:5], s[0:1], s64, v14, 0
	v_add3_u32 v5, v5, v7, v6
	v_ashrrev_i32_e32 v6, 31, v13
	v_mul_lo_u32 v14, s63, v13
	v_mul_lo_u32 v15, s62, v6
	v_mad_u64_u32 v[6:7], s[0:1], s62, v13, 0
	v_ashrrev_i32_e32 v13, 31, v3
	v_add3_u32 v7, v7, v15, v14
	v_mul_lo_u32 v16, s61, v3
	v_mul_lo_u32 v13, s60, v13
	v_mad_u64_u32 v[14:15], s[0:1], s60, v3, 0
	v_add3_u32 v15, v15, v13, v16
	v_lshl_add_u64 v[6:7], v[6:7], 2, s[2:3]
	v_lshl_add_u64 v[6:7], v[14:15], 2, v[6:7]
	s_andn2_b64 vcc, exec, s[66:67]
	v_lshl_add_u64 v[4:5], v[4:5], 2, v[6:7]
	s_cbranch_vccnz .LBB71_2
; %bb.18:                               ;   in Loop: Header=BB71_3 Depth=1
	global_load_dword v3, v[4:5], off
	v_mul_lo_u32 v2, v2, v1
	s_waitcnt vmcnt(0)
	v_cvt_i32_f32_e32 v3, v3
	v_mad_u64_u32 v[2:3], s[0:1], v3, v8, v[2:3]
	s_branch .LBB71_2
.LBB71_19:
	s_endpgm
	.section	.rodata,"a",@progbits
	.p2align	6, 0x0
	.amdhsa_kernel naive_conv_ab_nonpacked_fwd_ncdhw_int8_t_int32_t_float_0
		.amdhsa_group_segment_fixed_size 0
		.amdhsa_private_segment_fixed_size 0
		.amdhsa_kernarg_size 528
		.amdhsa_user_sgpr_count 2
		.amdhsa_user_sgpr_dispatch_ptr 0
		.amdhsa_user_sgpr_queue_ptr 0
		.amdhsa_user_sgpr_kernarg_segment_ptr 1
		.amdhsa_user_sgpr_dispatch_id 0
		.amdhsa_user_sgpr_kernarg_preload_length 0
		.amdhsa_user_sgpr_kernarg_preload_offset 0
		.amdhsa_user_sgpr_private_segment_size 0
		.amdhsa_uses_dynamic_stack 0
		.amdhsa_enable_private_segment 0
		.amdhsa_system_sgpr_workgroup_id_x 1
		.amdhsa_system_sgpr_workgroup_id_y 0
		.amdhsa_system_sgpr_workgroup_id_z 0
		.amdhsa_system_sgpr_workgroup_info 0
		.amdhsa_system_vgpr_workitem_id 0
		.amdhsa_next_free_vgpr 24
		.amdhsa_next_free_sgpr 88
		.amdhsa_accum_offset 24
		.amdhsa_reserve_vcc 1
		.amdhsa_float_round_mode_32 0
		.amdhsa_float_round_mode_16_64 0
		.amdhsa_float_denorm_mode_32 3
		.amdhsa_float_denorm_mode_16_64 3
		.amdhsa_dx10_clamp 1
		.amdhsa_ieee_mode 1
		.amdhsa_fp16_overflow 0
		.amdhsa_tg_split 0
		.amdhsa_exception_fp_ieee_invalid_op 0
		.amdhsa_exception_fp_denorm_src 0
		.amdhsa_exception_fp_ieee_div_zero 0
		.amdhsa_exception_fp_ieee_overflow 0
		.amdhsa_exception_fp_ieee_underflow 0
		.amdhsa_exception_fp_ieee_inexact 0
		.amdhsa_exception_int_div_zero 0
	.end_amdhsa_kernel
	.text
.Lfunc_end71:
	.size	naive_conv_ab_nonpacked_fwd_ncdhw_int8_t_int32_t_float_0, .Lfunc_end71-naive_conv_ab_nonpacked_fwd_ncdhw_int8_t_int32_t_float_0
                                        ; -- End function
	.section	.AMDGPU.csdata,"",@progbits
; Kernel info:
; codeLenInByte = 1800
; NumSgprs: 94
; NumVgprs: 24
; NumAgprs: 0
; TotalNumVgprs: 24
; ScratchSize: 0
; MemoryBound: 0
; FloatMode: 240
; IeeeMode: 1
; LDSByteSize: 0 bytes/workgroup (compile time only)
; SGPRBlocks: 11
; VGPRBlocks: 2
; NumSGPRsForWavesPerEU: 94
; NumVGPRsForWavesPerEU: 24
; AccumOffset: 24
; Occupancy: 8
; WaveLimiterHint : 1
; COMPUTE_PGM_RSRC2:SCRATCH_EN: 0
; COMPUTE_PGM_RSRC2:USER_SGPR: 2
; COMPUTE_PGM_RSRC2:TRAP_HANDLER: 0
; COMPUTE_PGM_RSRC2:TGID_X_EN: 1
; COMPUTE_PGM_RSRC2:TGID_Y_EN: 0
; COMPUTE_PGM_RSRC2:TGID_Z_EN: 0
; COMPUTE_PGM_RSRC2:TIDIG_COMP_CNT: 0
; COMPUTE_PGM_RSRC3_GFX90A:ACCUM_OFFSET: 5
; COMPUTE_PGM_RSRC3_GFX90A:TG_SPLIT: 0
	.text
	.protected	naive_conv_ab_packed_fwd_ndhwc_float_double_float_0 ; -- Begin function naive_conv_ab_packed_fwd_ndhwc_float_double_float_0
	.globl	naive_conv_ab_packed_fwd_ndhwc_float_double_float_0
	.p2align	8
	.type	naive_conv_ab_packed_fwd_ndhwc_float_double_float_0,@function
naive_conv_ab_packed_fwd_ndhwc_float_double_float_0: ; @naive_conv_ab_packed_fwd_ndhwc_float_double_float_0
; %bb.0:
	s_load_dwordx16 s[8:23], s[0:1], 0xb8
	s_abs_i32 s34, s2
	s_waitcnt lgkmcnt(0)
	s_abs_i32 s3, s14
	v_cvt_f32_u32_e32 v1, s3
	s_sub_i32 s5, 0, s3
	s_mul_i32 s4, s14, s11
	v_rcp_iflag_f32_e32 v1, v1
	s_nop 0
	v_mul_f32_e32 v1, 0x4f7ffffe, v1
	v_cvt_u32_f32_e32 v1, v1
	s_nop 0
	v_readfirstlane_b32 s6, v1
	s_mul_i32 s5, s5, s6
	s_mul_hi_u32 s5, s6, s5
	s_add_i32 s6, s6, s5
	s_mul_hi_u32 s5, s34, s6
	s_mul_i32 s6, s5, s3
	s_sub_i32 s6, s34, s6
	s_add_i32 s7, s5, 1
	s_sub_i32 s24, s6, s3
	s_cmp_ge_u32 s6, s3
	s_cselect_b32 s5, s7, s5
	s_cselect_b32 s6, s24, s6
	s_add_i32 s7, s5, 1
	s_cmp_ge_u32 s6, s3
	s_cselect_b32 s5, s7, s5
	s_abs_i32 s40, s11
	s_abs_i32 s35, s4
	v_cvt_f32_u32_e32 v1, s40
	v_cvt_f32_u32_e32 v2, s35
	s_mul_i32 s3, s16, s12
	s_mul_i32 s11, s3, s15
	v_rcp_iflag_f32_e32 v1, v1
	v_rcp_iflag_f32_e32 v2, v2
	v_cmp_gt_i32_e32 vcc, s11, v0
	v_mul_f32_e32 v1, 0x4f7ffffe, v1
	v_mul_f32_e32 v2, 0x4f7ffffe, v2
	v_cvt_u32_f32_e32 v1, v1
	v_cvt_u32_f32_e32 v2, v2
	v_readfirstlane_b32 s7, v1
	v_readfirstlane_b32 s6, v2
	s_and_saveexec_b64 s[24:25], vcc
	s_cbranch_execz .LBB72_21
; %bb.1:
	s_ashr_i32 s41, s2, 31
	s_ashr_i32 s33, s14, 31
	s_xor_b32 s33, s41, s33
	s_xor_b32 s5, s5, s33
	s_sub_i32 s42, s5, s33
	s_sub_i32 s5, 0, s40
	s_mul_i32 s5, s5, s7
	s_mul_hi_u32 s5, s7, s5
	s_ashr_i32 s46, s4, 31
	s_sub_i32 s4, 0, s35
	s_abs_i32 s44, s42
	s_add_i32 s7, s7, s5
	s_mul_i32 s4, s4, s6
	s_mul_hi_u32 s45, s44, s7
	s_mul_hi_u32 s4, s6, s4
	s_add_i32 s4, s6, s4
	s_mul_i32 s45, s45, s40
	s_load_dwordx8 s[24:31], s[0:1], 0x0
	s_ashr_i32 s43, s42, 31
	s_load_dwordx2 s[6:7], s[0:1], 0x108
	s_mul_hi_u32 s47, s34, s4
	s_load_dwordx2 s[4:5], s[0:1], 0x20
	s_load_dwordx4 s[36:39], s[0:1], 0xf8
	s_load_dword s52, s[0:1], 0x11c
	s_mul_i32 s42, s42, s14
	s_sub_i32 s0, s44, s45
	s_sub_i32 s2, s2, s42
	;; [unrolled: 1-line block ×3, first 2 shown]
	s_cmp_ge_u32 s0, s40
	s_cselect_b32 s0, s1, s0
	s_sub_i32 s1, s0, s40
	s_cmp_ge_u32 s0, s40
	s_cselect_b32 s0, s1, s0
	s_mul_i32 s1, s47, s35
	s_xor_b32 s0, s0, s43
	s_sub_i32 s1, s34, s1
	s_sub_i32 s53, s0, s43
	s_xor_b32 s0, s41, s46
	s_add_i32 s34, s47, 1
	s_sub_i32 s40, s1, s35
	s_cmp_ge_u32 s1, s35
	s_cselect_b32 s34, s34, s47
	s_cselect_b32 s1, s40, s1
	s_add_i32 s40, s34, 1
	s_cmp_ge_u32 s1, s35
	s_cselect_b32 s1, s40, s34
	s_waitcnt lgkmcnt(0)
	s_mul_i32 s33, s7, s12
	s_mul_i32 s7, s7, s13
	s_xor_b32 s1, s1, s0
	s_sub_i32 s54, s1, s0
	s_ashr_i32 s55, s53, 31
	s_ashr_i32 s56, s8, 31
	;; [unrolled: 1-line block ×7, first 2 shown]
	s_mul_hi_i32 s40, s53, s14
	s_mul_i32 s14, s53, s14
	s_ashr_i32 s68, s33, 31
	s_ashr_i32 s41, s2, 31
	s_add_u32 s14, s14, s2
	s_addc_u32 s40, s40, s41
	s_mul_hi_i32 s41, s16, s15
	s_mul_i32 s15, s16, s15
	s_mul_hi_u32 s42, s15, s33
	s_mul_i32 s43, s15, s68
	s_add_i32 s42, s42, s43
	s_mul_i32 s41, s41, s33
	s_add_i32 s41, s42, s41
	s_mul_i32 s42, s15, s33
	s_mul_i32 s15, s42, s40
	s_mul_hi_u32 s40, s42, s14
	s_add_i32 s15, s40, s15
	s_mul_i32 s41, s41, s14
	s_add_i32 s15, s15, s41
	s_mul_i32 s14, s42, s14
	s_lshl_b64 s[14:15], s[14:15], 2
	s_mul_hi_i32 s35, s54, s12
	s_mul_i32 s34, s54, s12
	s_add_u32 s4, s4, s14
	s_addc_u32 s5, s5, s15
	s_lshl_b64 s[14:15], s[34:35], 2
	s_add_u32 s34, s4, s14
	s_addc_u32 s35, s5, s15
	s_cmp_lt_i32 s38, 1
	s_mul_i32 s2, s2, s17
	s_cselect_b64 s[40:41], -1, 0
	s_sub_i32 s17, s2, s23
	s_cmp_gt_i32 s39, 0
	s_cselect_b64 s[42:43], -1, 0
	s_cmp_gt_i32 s6, 0
	s_cselect_b64 s[44:45], -1, 0
	;; [unrolled: 2-line block ×3, first 2 shown]
	s_abs_i32 s23, s12
	v_cvt_f32_u32_e32 v1, s23
	s_abs_i32 s71, s16
	v_cvt_f32_u32_e32 v2, s71
	s_abs_i32 s73, s3
	v_rcp_iflag_f32_e32 v1, v1
	v_cvt_f32_u32_e32 v4, s73
	s_sub_i32 s2, 0, s23
	v_rcp_iflag_f32_e32 v2, v2
	v_mul_f32_e32 v1, 0x4f7ffffe, v1
	v_cvt_u32_f32_e32 v1, v1
	v_cmp_neq_f64_e64 s[4:5], s[28:29], 1.0
	v_mul_f32_e32 v2, 0x4f7ffffe, v2
	v_cvt_u32_f32_e32 v2, v2
	v_mul_lo_u32 v3, s2, v1
	v_mul_hi_u32 v3, v1, v3
	v_add_u32_e32 v1, v1, v3
	v_rcp_iflag_f32_e32 v3, v4
	s_sub_i32 s2, 0, s71
	v_mul_lo_u32 v4, s2, v2
	v_mul_hi_u32 v4, v2, v4
	v_mul_f32_e32 v3, 0x4f7ffffe, v3
	v_cvt_u32_f32_e32 v3, v3
	s_sub_i32 s2, 0, s73
	v_cmp_neq_f64_e64 s[50:51], s[30:31], 0
	v_add_u32_e32 v24, v2, v4
	s_ashr_i32 s74, s3, 31
	v_mul_lo_u32 v2, s2, v3
	s_mul_hi_i32 s3, s13, s54
	s_mul_i32 s2, s13, s54
	s_or_b64 s[50:51], s[4:5], s[50:51]
	s_and_b32 s70, s52, 0xffff
	s_ashr_i32 s72, s12, 31
	s_lshl_b64 s[2:3], s[2:3], 2
	s_add_u32 s24, s24, s2
	s_addc_u32 s25, s25, s3
	s_mul_i32 s3, s10, s9
	s_mul_hi_i32 s2, s10, s9
	s_mul_i32 s4, s3, s56
	s_mul_hi_u32 s5, s3, s8
	s_add_i32 s4, s5, s4
	s_mul_i32 s2, s2, s8
	s_add_i32 s2, s4, s2
	s_mul_i32 s4, s3, s8
	s_mul_i32 s3, s4, s55
	s_mul_hi_u32 s5, s4, s53
	s_add_i32 s3, s5, s3
	s_mul_i32 s2, s2, s53
	s_add_i32 s3, s3, s2
	s_mul_i32 s2, s4, s53
	s_mul_i32 s4, s6, s39
	s_lshl_b64 s[52:53], s[2:3], 2
	s_mul_i32 s2, s4, s13
	s_mov_b32 s65, s9
	s_mul_i32 s5, s2, s57
	s_mul_hi_u32 s9, s2, s38
	s_mul_hi_i32 s3, s6, s39
	s_add_i32 s5, s9, s5
	s_mul_i32 s9, s4, s1
	s_mul_hi_u32 s4, s4, s13
	s_add_i32 s4, s4, s9
	s_mul_i32 s3, s3, s13
	s_add_i32 s3, s4, s3
	s_mov_b32 s0, s13
	s_mov_b32 s69, s39
	v_mul_hi_u32 v2, v3, v2
	s_mul_i32 s4, s3, s38
	s_mul_i32 s39, s2, s38
	s_lshl_b64 s[54:55], s[2:3], 2
	s_mul_hi_i32 s3, s6, s13
	s_mul_i32 s2, s6, s13
	s_mov_b64 s[48:49], 0
	v_add_u32_e32 v25, v3, v2
	s_add_i32 s9, s5, s4
	s_lshl_b64 s[56:57], s[2:3], 2
	s_lshl_b64 s[58:59], s[0:1], 2
	v_mov_b32_e32 v3, 0
	s_branch .LBB72_3
.LBB72_2:                               ;   in Loop: Header=BB72_3 Depth=1
	v_add_u32_e32 v0, s70, v0
	v_cmp_le_i32_e32 vcc, s11, v0
	v_cvt_f32_f64_e32 v2, v[8:9]
	s_or_b64 s[48:49], vcc, s[48:49]
	global_store_dword v[4:5], v2, off
	s_andn2_b64 exec, exec, s[48:49]
	s_cbranch_execz .LBB72_21
.LBB72_3:                               ; =>This Loop Header: Depth=1
                                        ;     Child Loop BB72_8 Depth 2
                                        ;       Child Loop BB72_11 Depth 3
                                        ;         Child Loop BB72_14 Depth 4
                                        ;           Child Loop BB72_17 Depth 5
	v_sub_u32_e32 v5, 0, v0
	v_max_i32_e32 v5, v0, v5
	v_mul_hi_u32 v6, v5, v1
	v_mul_lo_u32 v7, v6, s23
	v_sub_u32_e32 v7, v5, v7
	v_add_u32_e32 v8, 1, v6
	v_cmp_le_u32_e32 vcc, s23, v7
	v_ashrrev_i32_e32 v2, 31, v0
	v_xor_b32_e32 v4, s72, v2
	v_cndmask_b32_e32 v6, v6, v8, vcc
	v_subrev_u32_e32 v8, s23, v7
	v_cndmask_b32_e32 v7, v7, v8, vcc
	v_add_u32_e32 v8, 1, v6
	v_cmp_le_u32_e32 vcc, s23, v7
	s_mov_b64 s[62:63], -1
                                        ; implicit-def: $sgpr60_sgpr61
	s_nop 0
	v_cndmask_b32_e32 v6, v6, v8, vcc
	v_xor_b32_e32 v6, v6, v4
	v_sub_u32_e32 v6, v6, v4
	v_sub_u32_e32 v7, 0, v6
	v_max_i32_e32 v7, v6, v7
	v_mul_hi_u32 v8, v7, v24
	v_mul_lo_u32 v8, v8, s71
	v_sub_u32_e32 v7, v7, v8
	v_subrev_u32_e32 v8, s71, v7
	v_cmp_le_u32_e32 vcc, s71, v7
	v_mul_lo_u32 v4, v6, s12
	v_sub_u32_e32 v4, v0, v4
	v_cndmask_b32_e32 v8, v7, v8, vcc
	v_mul_hi_u32 v7, v5, v25
	v_mul_lo_u32 v9, v7, s73
	v_sub_u32_e32 v5, v5, v9
	v_subrev_u32_e32 v9, s73, v5
	v_cmp_le_u32_e64 s[2:3], s73, v5
	v_cmp_le_u32_e64 s[0:1], s71, v8
	s_andn2_b64 vcc, exec, s[40:41]
	v_cndmask_b32_e64 v5, v5, v9, s[2:3]
	v_cmp_le_u32_e64 s[4:5], s73, v5
	s_cbranch_vccnz .LBB72_5
; %bb.4:                                ;   in Loop: Header=BB72_3 Depth=1
	v_ashrrev_i32_e32 v5, 31, v4
	s_mov_b64 s[62:63], 0
	s_mov_b64 s[60:61], 0
.LBB72_5:                               ;   in Loop: Header=BB72_3 Depth=1
	v_subrev_u32_e32 v9, s71, v8
	v_ashrrev_i32_e32 v6, 31, v6
	v_cndmask_b32_e64 v8, v8, v9, s[0:1]
	v_xor_b32_e32 v8, v8, v6
	v_sub_u32_e32 v6, v8, v6
	v_add_u32_e32 v8, 1, v7
	v_cndmask_b32_e64 v7, v7, v8, s[2:3]
	v_add_u32_e32 v8, 1, v7
	v_xor_b32_e32 v2, s74, v2
	v_cndmask_b32_e64 v7, v7, v8, s[4:5]
	v_xor_b32_e32 v7, v7, v2
	v_sub_u32_e32 v26, v7, v2
	s_andn2_b64 vcc, exec, s[62:63]
	v_mov_b64_e32 v[8:9], s[60:61]
	s_cbranch_vccnz .LBB72_19
; %bb.6:                                ;   in Loop: Header=BB72_3 Depth=1
	v_mul_lo_u32 v2, v26, s18
	v_ashrrev_i32_e32 v5, 31, v4
	v_subrev_u32_e32 v7, s36, v2
	v_mul_lo_u32 v2, v6, s19
	v_lshl_add_u64 v[8:9], v[4:5], 2, s[14:15]
	v_mov_b64_e32 v[10:11], s[26:27]
	v_subrev_u32_e32 v27, s37, v2
	v_mul_lo_u32 v2, s39, v9
	v_mul_lo_u32 v9, s9, v8
	v_mad_u64_u32 v[10:11], s[0:1], s39, v8, v[10:11]
	v_add3_u32 v11, v9, v11, v2
	s_mov_b32 s75, 0
	v_mov_b64_e32 v[8:9], 0
	s_mov_b32 s76, s17
	s_branch .LBB72_8
.LBB72_7:                               ;   in Loop: Header=BB72_8 Depth=2
	s_add_i32 s75, s75, 1
	s_add_i32 s76, s76, s20
	s_cmp_eq_u32 s75, s38
	v_lshl_add_u64 v[10:11], v[10:11], 0, s[54:55]
	s_cbranch_scc1 .LBB72_19
.LBB72_8:                               ;   Parent Loop BB72_3 Depth=1
                                        ; =>  This Loop Header: Depth=2
                                        ;       Child Loop BB72_11 Depth 3
                                        ;         Child Loop BB72_14 Depth 4
                                        ;           Child Loop BB72_17 Depth 5
	s_andn2_b64 vcc, exec, s[42:43]
	s_cbranch_vccnz .LBB72_7
; %bb.9:                                ;   in Loop: Header=BB72_8 Depth=2
	s_mul_i32 s0, s64, s76
	s_mul_hi_u32 s1, s65, s76
	s_add_i32 s3, s1, s0
	s_mul_i32 s0, s75, s20
	s_add_i32 s4, s0, s17
	s_cmp_lt_i32 s4, 0
	s_cselect_b64 s[0:1], -1, 0
	s_cmp_ge_i32 s4, s8
	s_cselect_b64 s[4:5], -1, 0
	s_mul_i32 s2, s65, s76
	s_mov_b32 s77, 0
	s_or_b64 s[4:5], s[0:1], s[4:5]
	v_mov_b64_e32 v[12:13], v[10:11]
	v_mov_b32_e32 v14, v7
	s_branch .LBB72_11
.LBB72_10:                              ;   in Loop: Header=BB72_11 Depth=3
	s_add_i32 s77, s77, 1
	v_add_u32_e32 v14, s21, v14
	s_cmp_eq_u32 s77, s69
	v_lshl_add_u64 v[12:13], v[12:13], 0, s[56:57]
	s_cbranch_scc1 .LBB72_7
.LBB72_11:                              ;   Parent Loop BB72_3 Depth=1
                                        ;     Parent Loop BB72_8 Depth=2
                                        ; =>    This Loop Header: Depth=3
                                        ;         Child Loop BB72_14 Depth 4
                                        ;           Child Loop BB72_17 Depth 5
	s_andn2_b64 vcc, exec, s[44:45]
	s_cbranch_vccnz .LBB72_10
; %bb.12:                               ;   in Loop: Header=BB72_11 Depth=3
	v_mov_b32_e32 v15, v3
	v_lshl_add_u64 v[16:17], s[2:3], 0, v[14:15]
	v_mul_lo_u32 v2, s66, v16
	v_mul_lo_u32 v15, s10, v17
	v_mad_u64_u32 v[16:17], s[0:1], s10, v16, 0
	s_mul_i32 s0, s77, s21
	v_add3_u32 v17, v17, v15, v2
	v_add_u32_e32 v2, s0, v7
	v_cmp_gt_i32_e32 vcc, 0, v2
	v_cmp_le_i32_e64 s[0:1], s65, v2
	s_mov_b32 s78, 0
	s_or_b64 s[60:61], vcc, s[0:1]
	v_mov_b64_e32 v[18:19], v[12:13]
	v_mov_b32_e32 v2, v27
	s_branch .LBB72_14
.LBB72_13:                              ;   in Loop: Header=BB72_14 Depth=4
	s_add_i32 s78, s78, 1
	v_add_u32_e32 v2, s22, v2
	s_cmp_eq_u32 s78, s6
	v_lshl_add_u64 v[18:19], v[18:19], 0, s[58:59]
	s_cbranch_scc1 .LBB72_10
.LBB72_14:                              ;   Parent Loop BB72_3 Depth=1
                                        ;     Parent Loop BB72_8 Depth=2
                                        ;       Parent Loop BB72_11 Depth=3
                                        ; =>      This Loop Header: Depth=4
                                        ;           Child Loop BB72_17 Depth 5
	s_andn2_b64 vcc, exec, s[46:47]
	s_cbranch_vccnz .LBB72_13
; %bb.15:                               ;   in Loop: Header=BB72_14 Depth=4
	v_lshl_add_u64 v[20:21], v[16:17], 0, v[2:3]
	v_lshl_add_u64 v[20:21], v[20:21], 2, s[52:53]
	v_mov_b64_e32 v[22:23], s[24:25]
	v_mul_lo_u32 v15, s7, v21
	v_mul_lo_u32 v28, s67, v20
	v_mad_u64_u32 v[20:21], s[0:1], s7, v20, v[22:23]
	s_mul_i32 s0, s78, s22
	v_add3_u32 v21, v28, v21, v15
	v_add_u32_e32 v15, s0, v27
	v_cmp_gt_i32_e32 vcc, 0, v15
	v_cmp_le_i32_e64 s[0:1], s10, v15
	s_or_b64 s[0:1], vcc, s[0:1]
	s_or_b64 s[0:1], s[4:5], s[0:1]
	s_or_b64 s[0:1], s[60:61], s[0:1]
	s_xor_b64 s[0:1], s[0:1], -1
	v_mov_b64_e32 v[22:23], v[18:19]
	s_mov_b32 s79, s13
	s_branch .LBB72_17
.LBB72_16:                              ;   in Loop: Header=BB72_17 Depth=5
	s_or_b64 exec, exec, s[62:63]
	s_add_i32 s79, s79, -1
	v_lshl_add_u64 v[20:21], v[20:21], 0, 4
	s_cmp_eq_u32 s79, 0
	v_lshl_add_u64 v[22:23], v[22:23], 0, 4
	s_cbranch_scc1 .LBB72_13
.LBB72_17:                              ;   Parent Loop BB72_3 Depth=1
                                        ;     Parent Loop BB72_8 Depth=2
                                        ;       Parent Loop BB72_11 Depth=3
                                        ;         Parent Loop BB72_14 Depth=4
                                        ; =>        This Inner Loop Header: Depth=5
	s_and_saveexec_b64 s[62:63], s[0:1]
	s_cbranch_execz .LBB72_16
; %bb.18:                               ;   in Loop: Header=BB72_17 Depth=5
	global_load_dword v15, v[20:21], off
	global_load_dword v30, v[22:23], off
	s_waitcnt vmcnt(1)
	v_cvt_f64_f32_e32 v[28:29], v15
	s_waitcnt vmcnt(0)
	v_cvt_f64_f32_e32 v[30:31], v30
	v_fmac_f64_e32 v[8:9], v[28:29], v[30:31]
	s_branch .LBB72_16
.LBB72_19:                              ;   in Loop: Header=BB72_3 Depth=1
	v_ashrrev_i32_e32 v7, 31, v6
	v_mad_i64_i32 v[6:7], s[0:1], v26, s16, v[6:7]
	v_mul_lo_u32 v2, v7, s33
	v_mul_lo_u32 v10, v6, s68
	v_mad_u64_u32 v[6:7], s[0:1], v6, s33, 0
	v_add3_u32 v7, v7, v10, v2
	v_lshl_add_u64 v[6:7], v[6:7], 2, s[34:35]
	s_andn2_b64 vcc, exec, s[50:51]
	v_lshl_add_u64 v[4:5], v[4:5], 2, v[6:7]
	s_cbranch_vccnz .LBB72_2
; %bb.20:                               ;   in Loop: Header=BB72_3 Depth=1
	global_load_dword v2, v[4:5], off
	s_waitcnt vmcnt(0)
	v_cvt_f64_f32_e32 v[6:7], v2
	v_mul_f64 v[6:7], v[6:7], s[30:31]
	v_fmac_f64_e32 v[6:7], s[28:29], v[8:9]
	v_mov_b64_e32 v[8:9], v[6:7]
	s_branch .LBB72_2
.LBB72_21:
	s_endpgm
	.section	.rodata,"a",@progbits
	.p2align	6, 0x0
	.amdhsa_kernel naive_conv_ab_packed_fwd_ndhwc_float_double_float_0
		.amdhsa_group_segment_fixed_size 0
		.amdhsa_private_segment_fixed_size 0
		.amdhsa_kernarg_size 528
		.amdhsa_user_sgpr_count 2
		.amdhsa_user_sgpr_dispatch_ptr 0
		.amdhsa_user_sgpr_queue_ptr 0
		.amdhsa_user_sgpr_kernarg_segment_ptr 1
		.amdhsa_user_sgpr_dispatch_id 0
		.amdhsa_user_sgpr_kernarg_preload_length 0
		.amdhsa_user_sgpr_kernarg_preload_offset 0
		.amdhsa_user_sgpr_private_segment_size 0
		.amdhsa_uses_dynamic_stack 0
		.amdhsa_enable_private_segment 0
		.amdhsa_system_sgpr_workgroup_id_x 1
		.amdhsa_system_sgpr_workgroup_id_y 0
		.amdhsa_system_sgpr_workgroup_id_z 0
		.amdhsa_system_sgpr_workgroup_info 0
		.amdhsa_system_vgpr_workitem_id 0
		.amdhsa_next_free_vgpr 32
		.amdhsa_next_free_sgpr 80
		.amdhsa_accum_offset 32
		.amdhsa_reserve_vcc 1
		.amdhsa_float_round_mode_32 0
		.amdhsa_float_round_mode_16_64 0
		.amdhsa_float_denorm_mode_32 3
		.amdhsa_float_denorm_mode_16_64 3
		.amdhsa_dx10_clamp 1
		.amdhsa_ieee_mode 1
		.amdhsa_fp16_overflow 0
		.amdhsa_tg_split 0
		.amdhsa_exception_fp_ieee_invalid_op 0
		.amdhsa_exception_fp_denorm_src 0
		.amdhsa_exception_fp_ieee_div_zero 0
		.amdhsa_exception_fp_ieee_overflow 0
		.amdhsa_exception_fp_ieee_underflow 0
		.amdhsa_exception_fp_ieee_inexact 0
		.amdhsa_exception_int_div_zero 0
	.end_amdhsa_kernel
	.text
.Lfunc_end72:
	.size	naive_conv_ab_packed_fwd_ndhwc_float_double_float_0, .Lfunc_end72-naive_conv_ab_packed_fwd_ndhwc_float_double_float_0
                                        ; -- End function
	.section	.AMDGPU.csdata,"",@progbits
; Kernel info:
; codeLenInByte = 1888
; NumSgprs: 86
; NumVgprs: 32
; NumAgprs: 0
; TotalNumVgprs: 32
; ScratchSize: 0
; MemoryBound: 0
; FloatMode: 240
; IeeeMode: 1
; LDSByteSize: 0 bytes/workgroup (compile time only)
; SGPRBlocks: 10
; VGPRBlocks: 3
; NumSGPRsForWavesPerEU: 86
; NumVGPRsForWavesPerEU: 32
; AccumOffset: 32
; Occupancy: 8
; WaveLimiterHint : 1
; COMPUTE_PGM_RSRC2:SCRATCH_EN: 0
; COMPUTE_PGM_RSRC2:USER_SGPR: 2
; COMPUTE_PGM_RSRC2:TRAP_HANDLER: 0
; COMPUTE_PGM_RSRC2:TGID_X_EN: 1
; COMPUTE_PGM_RSRC2:TGID_Y_EN: 0
; COMPUTE_PGM_RSRC2:TGID_Z_EN: 0
; COMPUTE_PGM_RSRC2:TIDIG_COMP_CNT: 0
; COMPUTE_PGM_RSRC3_GFX90A:ACCUM_OFFSET: 7
; COMPUTE_PGM_RSRC3_GFX90A:TG_SPLIT: 0
	.text
	.protected	naive_conv_ab_nonpacked_fwd_ndhwc_float_double_float_0 ; -- Begin function naive_conv_ab_nonpacked_fwd_ndhwc_float_double_float_0
	.globl	naive_conv_ab_nonpacked_fwd_ndhwc_float_double_float_0
	.p2align	8
	.type	naive_conv_ab_nonpacked_fwd_ndhwc_float_double_float_0,@function
naive_conv_ab_nonpacked_fwd_ndhwc_float_double_float_0: ; @naive_conv_ab_nonpacked_fwd_ndhwc_float_double_float_0
; %bb.0:
	s_load_dwordx16 s[8:23], s[0:1], 0xb8
	s_abs_i32 s6, s2
	s_waitcnt lgkmcnt(0)
	s_abs_i32 s3, s14
	v_cvt_f32_u32_e32 v1, s3
	s_sub_i32 s4, 0, s3
	s_mul_i32 s34, s14, s11
	v_rcp_iflag_f32_e32 v1, v1
	s_nop 0
	v_mul_f32_e32 v1, 0x4f7ffffe, v1
	v_cvt_u32_f32_e32 v1, v1
	s_nop 0
	v_readfirstlane_b32 s5, v1
	s_mul_i32 s4, s4, s5
	s_mul_hi_u32 s4, s5, s4
	s_add_i32 s5, s5, s4
	s_mul_hi_u32 s4, s6, s5
	s_mul_i32 s5, s4, s3
	s_sub_i32 s5, s6, s5
	s_add_i32 s7, s4, 1
	s_sub_i32 s24, s5, s3
	s_cmp_ge_u32 s5, s3
	s_cselect_b32 s4, s7, s4
	s_cselect_b32 s5, s24, s5
	s_add_i32 s7, s4, 1
	s_cmp_ge_u32 s5, s3
	s_cselect_b32 s35, s7, s4
	s_abs_i32 s33, s11
	s_abs_i32 s7, s34
	v_cvt_f32_u32_e32 v1, s33
	v_cvt_f32_u32_e32 v2, s7
	s_mul_i32 s3, s16, s12
	s_mul_i32 s11, s3, s15
	v_rcp_iflag_f32_e32 v1, v1
	v_rcp_iflag_f32_e32 v2, v2
	v_cmp_gt_i32_e32 vcc, s11, v0
	v_mul_f32_e32 v1, 0x4f7ffffe, v1
	v_mul_f32_e32 v2, 0x4f7ffffe, v2
	v_cvt_u32_f32_e32 v1, v1
	v_cvt_u32_f32_e32 v2, v2
	v_readfirstlane_b32 s36, v1
	v_readfirstlane_b32 s15, v2
	s_and_saveexec_b64 s[4:5], vcc
	s_cbranch_execz .LBB73_21
; %bb.1:
	s_ashr_i32 s56, s2, 31
	s_ashr_i32 s37, s14, 31
	s_xor_b32 s37, s56, s37
	s_xor_b32 s35, s35, s37
	s_sub_i32 s35, s35, s37
	s_sub_i32 s37, 0, s33
	s_mul_i32 s37, s37, s36
	s_mul_hi_u32 s37, s36, s37
	s_abs_i32 s58, s35
	s_add_i32 s36, s36, s37
	s_mul_hi_u32 s59, s58, s36
	s_sub_i32 s36, 0, s7
	s_mul_i32 s36, s36, s15
	s_mul_i32 s59, s59, s33
	s_ashr_i32 s57, s35, 31
	s_mul_hi_u32 s36, s15, s36
	s_mul_i32 s35, s35, s14
	s_sub_i32 s14, s58, s59
	s_ashr_i32 s34, s34, 31
	s_add_i32 s15, s15, s36
	s_sub_i32 s2, s2, s35
	s_sub_i32 s35, s14, s33
	s_cmp_ge_u32 s14, s33
	s_cselect_b32 s14, s35, s14
	s_sub_i32 s35, s14, s33
	s_mul_hi_u32 s15, s6, s15
	s_cmp_ge_u32 s14, s33
	s_cselect_b32 s14, s35, s14
	s_mul_i32 s33, s15, s7
	s_xor_b32 s14, s14, s57
	s_sub_i32 s6, s6, s33
	s_sub_i32 s82, s14, s57
	s_xor_b32 s14, s56, s34
	s_add_i32 s33, s15, 1
	s_sub_i32 s34, s6, s7
	s_cmp_ge_u32 s6, s7
	s_cselect_b32 s15, s33, s15
	s_load_dwordx8 s[24:31], s[0:1], 0x0
	s_load_dwordx2 s[4:5], s[0:1], 0x20
	s_load_dwordx16 s[36:51], s[0:1], 0x68
	s_load_dwordx4 s[68:71], s[0:1], 0xf8
	s_load_dwordx4 s[52:55], s[0:1], 0xa8
	s_cselect_b32 s6, s34, s6
	s_add_i32 s33, s15, 1
	s_cmp_ge_u32 s6, s7
	s_cselect_b32 s6, s33, s15
	s_xor_b32 s6, s6, s14
	s_sub_i32 s83, s6, s14
	s_ashr_i32 s84, s82, 31
	s_ashr_i32 s85, s83, 31
	s_waitcnt lgkmcnt(0)
	s_mul_i32 s6, s54, s84
	s_mul_hi_u32 s7, s54, s82
	s_ashr_i32 s14, s2, 31
	s_add_i32 s6, s7, s6
	s_mul_i32 s7, s55, s82
	s_mul_i32 s14, s52, s14
	s_mul_hi_u32 s15, s52, s2
	s_mul_i32 s33, s46, s85
	s_mul_hi_u32 s34, s46, s83
	s_add_i32 s7, s6, s7
	s_mul_i32 s6, s54, s82
	s_add_i32 s14, s15, s14
	s_mul_i32 s15, s53, s2
	;; [unrolled: 2-line block ×3, first 2 shown]
	s_add_i32 s15, s14, s15
	s_add_i32 s35, s33, s34
	s_lshl_b64 s[6:7], s[6:7], 2
	s_mul_i32 s14, s52, s2
	s_add_u32 s6, s4, s6
	s_addc_u32 s7, s5, s7
	s_lshl_b64 s[4:5], s[14:15], 2
	s_mul_i32 s34, s46, s83
	s_add_u32 s6, s6, s4
	s_addc_u32 s7, s7, s5
	s_lshl_b64 s[4:5], s[34:35], 2
	s_add_u32 s6, s6, s4
	s_load_dword s33, s[0:1], 0x108
	s_addc_u32 s7, s7, s5
	s_cmp_lt_i32 s70, 1
	s_mul_i32 s2, s2, s17
	s_cselect_b64 s[14:15], -1, 0
	s_sub_i32 s23, s2, s23
	s_load_dword s2, s[0:1], 0x11c
	s_cmp_gt_i32 s71, 0
	s_cselect_b64 s[34:35], -1, 0
	s_waitcnt lgkmcnt(0)
	s_cmp_gt_i32 s33, 0
	s_cselect_b64 s[46:47], -1, 0
	s_cmp_gt_i32 s13, 0
	s_cselect_b64 s[72:73], -1, 0
	s_abs_i32 s78, s12
	s_abs_i32 s79, s16
	v_cvt_f32_u32_e32 v1, s78
	s_abs_i32 s81, s3
	v_cvt_f32_u32_e32 v3, s79
	v_cvt_f32_u32_e32 v5, s81
	v_cmp_neq_f64_e64 s[4:5], s[28:29], 1.0
	v_cmp_neq_f64_e64 s[52:53], s[30:31], 0
	v_rcp_iflag_f32_e32 v1, v1
	s_or_b64 s[74:75], s[4:5], s[52:53]
	s_and_b32 s76, s2, 0xffff
	s_ashr_i32 s80, s3, 31
	s_mul_i32 s2, s42, s85
	s_mul_hi_u32 s3, s42, s83
	s_load_dwordx16 s[52:67], s[0:1], 0x28
	v_rcp_iflag_f32_e32 v3, v3
	s_add_i32 s2, s3, s2
	s_mul_i32 s3, s43, s83
	v_rcp_iflag_f32_e32 v5, v5
	s_add_i32 s3, s2, s3
	s_mul_i32 s2, s42, s83
	s_ashr_i32 s77, s12, 31
	s_sub_i32 s4, 0, s78
	s_sub_i32 s5, 0, s79
	;; [unrolled: 1-line block ×3, first 2 shown]
	s_lshl_b64 s[2:3], s[2:3], 2
	v_mul_f32_e32 v1, 0x4f7ffffe, v1
	s_add_u32 s16, s26, s2
	v_cvt_u32_f32_e32 v1, v1
	v_mul_f32_e32 v3, 0x4f7ffffe, v3
	s_addc_u32 s17, s27, s3
	s_waitcnt lgkmcnt(0)
	s_mul_i32 s0, s54, s85
	s_mul_hi_u32 s1, s54, s83
	s_mul_i32 s2, s62, s84
	s_mul_hi_u32 s3, s62, s82
	v_cvt_u32_f32_e32 v3, v3
	v_mul_f32_e32 v5, 0x4f7ffffe, v5
	s_add_i32 s0, s1, s0
	s_mul_i32 s1, s55, s83
	s_add_i32 s2, s3, s2
	s_mul_i32 s3, s63, s82
	v_cvt_u32_f32_e32 v5, v5
	s_add_i32 s1, s0, s1
	s_mul_i32 s0, s54, s83
	s_add_i32 s3, s2, s3
	s_mul_i32 s2, s62, s82
	s_lshl_b64 s[0:1], s[0:1], 2
	s_lshl_b64 s[2:3], s[2:3], 2
	;; [unrolled: 1-line block ×7, first 2 shown]
	v_mul_lo_u32 v2, s4, v1
	s_add_u32 s0, s0, s2
	v_mul_lo_u32 v4, s5, v3
	v_mul_hi_u32 v2, v1, v2
	s_addc_u32 s1, s1, s3
	v_mul_lo_u32 v6, s86, v5
	v_add_u32_e32 v1, v1, v2
	v_mul_hi_u32 v2, v3, v4
	s_add_u32 s64, s24, s0
	v_add_u32_e32 v20, v3, v2
	v_mul_hi_u32 v2, v5, v6
	s_addc_u32 s65, s25, s1
	s_lshl_b64 s[24:25], s[60:61], 2
	s_lshl_b64 s[54:55], s[58:59], 2
	;; [unrolled: 1-line block ×4, first 2 shown]
	v_add_u32_e32 v21, v5, v2
	s_mov_b64 s[58:59], 0
	s_branch .LBB73_3
.LBB73_2:                               ;   in Loop: Header=BB73_3 Depth=1
	v_add_u32_e32 v0, s76, v0
	v_cmp_le_i32_e32 vcc, s11, v0
	v_cvt_f32_f64_e32 v4, v[6:7]
	s_or_b64 s[58:59], vcc, s[58:59]
	global_store_dword v[2:3], v4, off
	s_andn2_b64 exec, exec, s[58:59]
	s_cbranch_execz .LBB73_21
.LBB73_3:                               ; =>This Loop Header: Depth=1
                                        ;     Child Loop BB73_8 Depth 2
                                        ;       Child Loop BB73_11 Depth 3
                                        ;         Child Loop BB73_14 Depth 4
                                        ;           Child Loop BB73_17 Depth 5
	v_sub_u32_e32 v3, 0, v0
	v_max_i32_e32 v4, v0, v3
	v_mul_hi_u32 v3, v4, v1
	v_mul_lo_u32 v5, v3, s78
	v_sub_u32_e32 v5, v4, v5
	v_add_u32_e32 v7, 1, v3
	v_cmp_le_u32_e32 vcc, s78, v5
	v_ashrrev_i32_e32 v6, 31, v0
	v_xor_b32_e32 v2, s77, v6
	v_cndmask_b32_e32 v3, v3, v7, vcc
	v_subrev_u32_e32 v7, s78, v5
	v_cndmask_b32_e32 v5, v5, v7, vcc
	v_add_u32_e32 v7, 1, v3
	v_cmp_le_u32_e32 vcc, s78, v5
	s_mov_b64 s[62:63], -1
                                        ; implicit-def: $sgpr60_sgpr61
	s_nop 0
	v_cndmask_b32_e32 v3, v3, v7, vcc
	v_xor_b32_e32 v3, v3, v2
	v_sub_u32_e32 v3, v3, v2
	v_sub_u32_e32 v5, 0, v3
	v_max_i32_e32 v5, v3, v5
	v_mul_hi_u32 v7, v5, v20
	v_mul_lo_u32 v7, v7, s79
	v_sub_u32_e32 v5, v5, v7
	v_subrev_u32_e32 v7, s79, v5
	v_cmp_le_u32_e32 vcc, s79, v5
	v_mul_lo_u32 v2, v3, s12
	v_sub_u32_e32 v2, v0, v2
	v_cndmask_b32_e32 v8, v5, v7, vcc
	v_mul_hi_u32 v7, v4, v21
	v_mul_lo_u32 v5, v7, s81
	v_sub_u32_e32 v4, v4, v5
	v_subrev_u32_e32 v5, s81, v4
	v_cmp_le_u32_e64 s[2:3], s81, v4
	v_cmp_le_u32_e64 s[0:1], s79, v8
	s_andn2_b64 vcc, exec, s[14:15]
	v_cndmask_b32_e64 v4, v4, v5, s[2:3]
	v_cmp_le_u32_e64 s[4:5], s81, v4
                                        ; implicit-def: $vgpr4_vgpr5
	s_cbranch_vccnz .LBB73_5
; %bb.4:                                ;   in Loop: Header=BB73_3 Depth=1
	v_ashrrev_i32_e32 v5, 31, v2
	s_mov_b64 s[62:63], 0
	s_mov_b64 s[60:61], 0
.LBB73_5:                               ;   in Loop: Header=BB73_3 Depth=1
	v_subrev_u32_e32 v4, s79, v8
	v_ashrrev_i32_e32 v3, 31, v3
	v_cndmask_b32_e64 v4, v8, v4, s[0:1]
	v_xor_b32_e32 v4, v4, v3
	v_sub_u32_e32 v3, v4, v3
	v_xor_b32_e32 v4, s80, v6
	v_add_u32_e32 v6, 1, v7
	v_cndmask_b32_e64 v6, v7, v6, s[2:3]
	v_add_u32_e32 v7, 1, v6
	v_cndmask_b32_e64 v6, v6, v7, s[4:5]
	v_xor_b32_e32 v6, v6, v4
	v_sub_u32_e32 v4, v6, v4
	s_andn2_b64 vcc, exec, s[62:63]
	v_mov_b64_e32 v[6:7], s[60:61]
	s_cbranch_vccnz .LBB73_19
; %bb.6:                                ;   in Loop: Header=BB73_3 Depth=1
	v_mul_lo_u32 v5, v4, s18
	v_subrev_u32_e32 v22, s68, v5
	v_mul_lo_u32 v5, v3, s19
	v_subrev_u32_e32 v23, s69, v5
	v_ashrrev_i32_e32 v5, 31, v2
	v_mov_b64_e32 v[6:7], s[16:17]
	v_mad_u64_u32 v[8:9], s[0:1], s26, v2, v[6:7]
	v_mul_lo_u32 v6, s27, v2
	v_mul_lo_u32 v7, s26, v5
	v_add3_u32 v9, v6, v9, v7
	s_mov_b32 s66, 0
	v_mov_b64_e32 v[6:7], 0
	s_mov_b32 s67, s23
	s_branch .LBB73_8
.LBB73_7:                               ;   in Loop: Header=BB73_8 Depth=2
	s_add_i32 s66, s66, 1
	s_add_i32 s67, s67, s20
	s_cmp_eq_u32 s66, s70
	v_lshl_add_u64 v[8:9], v[8:9], 0, s[38:39]
	s_cbranch_scc1 .LBB73_19
.LBB73_8:                               ;   Parent Loop BB73_3 Depth=1
                                        ; =>  This Loop Header: Depth=2
                                        ;       Child Loop BB73_11 Depth 3
                                        ;         Child Loop BB73_14 Depth 4
                                        ;           Child Loop BB73_17 Depth 5
	s_andn2_b64 vcc, exec, s[34:35]
	s_cbranch_vccnz .LBB73_7
; %bb.9:                                ;   in Loop: Header=BB73_8 Depth=2
	s_mul_i32 s0, s25, s67
	s_mul_hi_u32 s1, s24, s67
	s_add_i32 s5, s1, s0
	s_mul_i32 s0, s66, s20
	s_add_i32 s2, s0, s23
	s_cmp_lt_i32 s2, 0
	s_cselect_b64 s[0:1], -1, 0
	s_cmp_ge_i32 s2, s8
	s_cselect_b64 s[2:3], -1, 0
	s_mul_i32 s4, s24, s67
	s_or_b64 s[2:3], s[0:1], s[2:3]
	s_add_u32 s4, s64, s4
	s_mov_b32 s82, 0
	s_addc_u32 s5, s65, s5
	v_mov_b32_e32 v24, v22
	v_mov_b64_e32 v[10:11], v[8:9]
	s_branch .LBB73_11
.LBB73_10:                              ;   in Loop: Header=BB73_11 Depth=3
	s_add_i32 s82, s82, 1
	v_lshl_add_u64 v[10:11], v[10:11], 0, s[36:37]
	s_cmp_eq_u32 s82, s71
	v_add_u32_e32 v24, s21, v24
	s_cbranch_scc1 .LBB73_7
.LBB73_11:                              ;   Parent Loop BB73_3 Depth=1
                                        ;     Parent Loop BB73_8 Depth=2
                                        ; =>    This Loop Header: Depth=3
                                        ;         Child Loop BB73_14 Depth 4
                                        ;           Child Loop BB73_17 Depth 5
	s_andn2_b64 vcc, exec, s[46:47]
	s_cbranch_vccnz .LBB73_10
; %bb.12:                               ;   in Loop: Header=BB73_11 Depth=3
	s_mul_i32 s0, s82, s21
	v_add_u32_e32 v12, s0, v22
	v_cmp_gt_i32_e32 vcc, 0, v12
	v_cmp_le_i32_e64 s[0:1], s9, v12
	v_mov_b64_e32 v[12:13], s[4:5]
	s_or_b64 s[60:61], vcc, s[0:1]
	v_mad_u64_u32 v[12:13], s[0:1], s54, v24, v[12:13]
	v_mov_b32_e32 v14, v13
	v_mad_u64_u32 v[14:15], s[0:1], s55, v24, v[14:15]
	s_mov_b32 s83, 0
	v_mov_b32_e32 v13, v14
	v_mov_b32_e32 v25, v23
	v_mov_b64_e32 v[14:15], v[10:11]
	s_branch .LBB73_14
.LBB73_13:                              ;   in Loop: Header=BB73_14 Depth=4
	s_add_i32 s83, s83, 1
	v_lshl_add_u64 v[14:15], v[14:15], 0, s[40:41]
	s_cmp_eq_u32 s83, s33
	v_add_u32_e32 v25, s22, v25
	s_cbranch_scc1 .LBB73_10
.LBB73_14:                              ;   Parent Loop BB73_3 Depth=1
                                        ;     Parent Loop BB73_8 Depth=2
                                        ;       Parent Loop BB73_11 Depth=3
                                        ; =>      This Loop Header: Depth=4
                                        ;           Child Loop BB73_17 Depth 5
	s_andn2_b64 vcc, exec, s[72:73]
	s_cbranch_vccnz .LBB73_13
; %bb.15:                               ;   in Loop: Header=BB73_14 Depth=4
	v_mad_u64_u32 v[16:17], s[0:1], s56, v25, v[12:13]
	v_mov_b32_e32 v18, v17
	v_mad_u64_u32 v[18:19], s[0:1], s57, v25, v[18:19]
	s_mul_i32 s0, s83, s22
	v_mov_b32_e32 v17, v18
	v_add_u32_e32 v18, s0, v23
	v_cmp_gt_i32_e32 vcc, 0, v18
	v_cmp_le_i32_e64 s[0:1], s10, v18
	s_or_b64 s[0:1], vcc, s[0:1]
	s_or_b64 s[0:1], s[2:3], s[0:1]
	s_or_b64 s[0:1], s[60:61], s[0:1]
	s_xor_b64 s[0:1], s[0:1], -1
	v_mov_b64_e32 v[18:19], v[14:15]
	s_mov_b32 s84, s13
	s_branch .LBB73_17
.LBB73_16:                              ;   in Loop: Header=BB73_17 Depth=5
	s_or_b64 exec, exec, s[62:63]
	s_add_i32 s84, s84, -1
	v_lshl_add_u64 v[18:19], v[18:19], 0, s[42:43]
	s_cmp_eq_u32 s84, 0
	v_lshl_add_u64 v[16:17], v[16:17], 0, s[52:53]
	s_cbranch_scc1 .LBB73_13
.LBB73_17:                              ;   Parent Loop BB73_3 Depth=1
                                        ;     Parent Loop BB73_8 Depth=2
                                        ;       Parent Loop BB73_11 Depth=3
                                        ;         Parent Loop BB73_14 Depth=4
                                        ; =>        This Inner Loop Header: Depth=5
	s_and_saveexec_b64 s[62:63], s[0:1]
	s_cbranch_execz .LBB73_16
; %bb.18:                               ;   in Loop: Header=BB73_17 Depth=5
	global_load_dword v26, v[16:17], off
	global_load_dword v28, v[18:19], off
	s_waitcnt vmcnt(1)
	v_cvt_f64_f32_e32 v[26:27], v26
	s_waitcnt vmcnt(0)
	v_cvt_f64_f32_e32 v[28:29], v28
	v_fmac_f64_e32 v[6:7], v[26:27], v[28:29]
	s_branch .LBB73_16
.LBB73_19:                              ;   in Loop: Header=BB73_3 Depth=1
	v_ashrrev_i32_e32 v8, 31, v4
	v_mul_lo_u32 v10, s51, v4
	v_mul_lo_u32 v11, s50, v8
	v_mad_u64_u32 v[8:9], s[0:1], s50, v4, 0
	v_ashrrev_i32_e32 v4, 31, v3
	v_add3_u32 v9, v9, v11, v10
	v_mul_lo_u32 v12, s49, v3
	v_mul_lo_u32 v4, s48, v4
	v_mad_u64_u32 v[10:11], s[0:1], s48, v3, 0
	v_add3_u32 v11, v11, v4, v12
	v_mul_lo_u32 v4, v5, s44
	v_mul_lo_u32 v5, v2, s45
	v_mad_u64_u32 v[2:3], s[0:1], v2, s44, 0
	v_add3_u32 v3, v3, v5, v4
	v_lshl_add_u64 v[4:5], v[8:9], 2, s[6:7]
	v_lshl_add_u64 v[4:5], v[10:11], 2, v[4:5]
	s_andn2_b64 vcc, exec, s[74:75]
	v_lshl_add_u64 v[2:3], v[2:3], 2, v[4:5]
	s_cbranch_vccnz .LBB73_2
; %bb.20:                               ;   in Loop: Header=BB73_3 Depth=1
	global_load_dword v4, v[2:3], off
	s_waitcnt vmcnt(0)
	v_cvt_f64_f32_e32 v[4:5], v4
	v_mul_f64 v[4:5], v[4:5], s[30:31]
	v_fmac_f64_e32 v[4:5], s[28:29], v[6:7]
	v_mov_b64_e32 v[6:7], v[4:5]
	s_branch .LBB73_2
.LBB73_21:
	s_endpgm
	.section	.rodata,"a",@progbits
	.p2align	6, 0x0
	.amdhsa_kernel naive_conv_ab_nonpacked_fwd_ndhwc_float_double_float_0
		.amdhsa_group_segment_fixed_size 0
		.amdhsa_private_segment_fixed_size 0
		.amdhsa_kernarg_size 528
		.amdhsa_user_sgpr_count 2
		.amdhsa_user_sgpr_dispatch_ptr 0
		.amdhsa_user_sgpr_queue_ptr 0
		.amdhsa_user_sgpr_kernarg_segment_ptr 1
		.amdhsa_user_sgpr_dispatch_id 0
		.amdhsa_user_sgpr_kernarg_preload_length 0
		.amdhsa_user_sgpr_kernarg_preload_offset 0
		.amdhsa_user_sgpr_private_segment_size 0
		.amdhsa_uses_dynamic_stack 0
		.amdhsa_enable_private_segment 0
		.amdhsa_system_sgpr_workgroup_id_x 1
		.amdhsa_system_sgpr_workgroup_id_y 0
		.amdhsa_system_sgpr_workgroup_id_z 0
		.amdhsa_system_sgpr_workgroup_info 0
		.amdhsa_system_vgpr_workitem_id 0
		.amdhsa_next_free_vgpr 30
		.amdhsa_next_free_sgpr 87
		.amdhsa_accum_offset 32
		.amdhsa_reserve_vcc 1
		.amdhsa_float_round_mode_32 0
		.amdhsa_float_round_mode_16_64 0
		.amdhsa_float_denorm_mode_32 3
		.amdhsa_float_denorm_mode_16_64 3
		.amdhsa_dx10_clamp 1
		.amdhsa_ieee_mode 1
		.amdhsa_fp16_overflow 0
		.amdhsa_tg_split 0
		.amdhsa_exception_fp_ieee_invalid_op 0
		.amdhsa_exception_fp_denorm_src 0
		.amdhsa_exception_fp_ieee_div_zero 0
		.amdhsa_exception_fp_ieee_overflow 0
		.amdhsa_exception_fp_ieee_underflow 0
		.amdhsa_exception_fp_ieee_inexact 0
		.amdhsa_exception_int_div_zero 0
	.end_amdhsa_kernel
	.text
.Lfunc_end73:
	.size	naive_conv_ab_nonpacked_fwd_ndhwc_float_double_float_0, .Lfunc_end73-naive_conv_ab_nonpacked_fwd_ndhwc_float_double_float_0
                                        ; -- End function
	.section	.AMDGPU.csdata,"",@progbits
; Kernel info:
; codeLenInByte = 1888
; NumSgprs: 93
; NumVgprs: 30
; NumAgprs: 0
; TotalNumVgprs: 30
; ScratchSize: 0
; MemoryBound: 0
; FloatMode: 240
; IeeeMode: 1
; LDSByteSize: 0 bytes/workgroup (compile time only)
; SGPRBlocks: 11
; VGPRBlocks: 3
; NumSGPRsForWavesPerEU: 93
; NumVGPRsForWavesPerEU: 30
; AccumOffset: 32
; Occupancy: 8
; WaveLimiterHint : 1
; COMPUTE_PGM_RSRC2:SCRATCH_EN: 0
; COMPUTE_PGM_RSRC2:USER_SGPR: 2
; COMPUTE_PGM_RSRC2:TRAP_HANDLER: 0
; COMPUTE_PGM_RSRC2:TGID_X_EN: 1
; COMPUTE_PGM_RSRC2:TGID_Y_EN: 0
; COMPUTE_PGM_RSRC2:TGID_Z_EN: 0
; COMPUTE_PGM_RSRC2:TIDIG_COMP_CNT: 0
; COMPUTE_PGM_RSRC3_GFX90A:ACCUM_OFFSET: 7
; COMPUTE_PGM_RSRC3_GFX90A:TG_SPLIT: 0
	.text
	.protected	naive_conv_ab_packed_fwd_ndhwc_float_double_float_1 ; -- Begin function naive_conv_ab_packed_fwd_ndhwc_float_double_float_1
	.globl	naive_conv_ab_packed_fwd_ndhwc_float_double_float_1
	.p2align	8
	.type	naive_conv_ab_packed_fwd_ndhwc_float_double_float_1,@function
naive_conv_ab_packed_fwd_ndhwc_float_double_float_1: ; @naive_conv_ab_packed_fwd_ndhwc_float_double_float_1
; %bb.0:
	s_load_dwordx16 s[8:23], s[0:1], 0xb8
	s_abs_i32 s34, s2
	s_waitcnt lgkmcnt(0)
	s_abs_i32 s3, s14
	v_cvt_f32_u32_e32 v1, s3
	s_sub_i32 s5, 0, s3
	s_mul_i32 s4, s14, s11
	v_rcp_iflag_f32_e32 v1, v1
	s_nop 0
	v_mul_f32_e32 v1, 0x4f7ffffe, v1
	v_cvt_u32_f32_e32 v1, v1
	s_nop 0
	v_readfirstlane_b32 s6, v1
	s_mul_i32 s5, s5, s6
	s_mul_hi_u32 s5, s6, s5
	s_add_i32 s6, s6, s5
	s_mul_hi_u32 s5, s34, s6
	s_mul_i32 s6, s5, s3
	s_sub_i32 s6, s34, s6
	s_add_i32 s7, s5, 1
	s_sub_i32 s24, s6, s3
	s_cmp_ge_u32 s6, s3
	s_cselect_b32 s5, s7, s5
	s_cselect_b32 s6, s24, s6
	s_add_i32 s7, s5, 1
	s_cmp_ge_u32 s6, s3
	s_cselect_b32 s5, s7, s5
	s_abs_i32 s40, s11
	s_abs_i32 s35, s4
	v_cvt_f32_u32_e32 v1, s40
	v_cvt_f32_u32_e32 v2, s35
	s_mul_i32 s3, s16, s12
	s_mul_i32 s11, s3, s15
	v_rcp_iflag_f32_e32 v1, v1
	v_rcp_iflag_f32_e32 v2, v2
	v_cmp_gt_i32_e32 vcc, s11, v0
	v_mul_f32_e32 v1, 0x4f7ffffe, v1
	v_mul_f32_e32 v2, 0x4f7ffffe, v2
	v_cvt_u32_f32_e32 v1, v1
	v_cvt_u32_f32_e32 v2, v2
	v_readfirstlane_b32 s7, v1
	v_readfirstlane_b32 s6, v2
	s_and_saveexec_b64 s[24:25], vcc
	s_cbranch_execz .LBB74_21
; %bb.1:
	s_ashr_i32 s41, s2, 31
	s_ashr_i32 s33, s14, 31
	s_xor_b32 s33, s41, s33
	s_xor_b32 s5, s5, s33
	s_sub_i32 s42, s5, s33
	s_sub_i32 s5, 0, s40
	s_mul_i32 s5, s5, s7
	s_mul_hi_u32 s5, s7, s5
	s_ashr_i32 s46, s4, 31
	s_sub_i32 s4, 0, s35
	s_abs_i32 s44, s42
	s_add_i32 s7, s7, s5
	s_mul_i32 s4, s4, s6
	s_mul_hi_u32 s45, s44, s7
	s_mul_hi_u32 s4, s6, s4
	s_add_i32 s4, s6, s4
	s_mul_i32 s45, s45, s40
	s_load_dwordx8 s[24:31], s[0:1], 0x0
	s_ashr_i32 s43, s42, 31
	s_load_dwordx2 s[6:7], s[0:1], 0x108
	s_mul_hi_u32 s47, s34, s4
	s_load_dwordx2 s[4:5], s[0:1], 0x20
	s_load_dwordx4 s[36:39], s[0:1], 0xf8
	s_load_dword s52, s[0:1], 0x11c
	s_mul_i32 s42, s42, s14
	s_sub_i32 s0, s44, s45
	s_sub_i32 s2, s2, s42
	;; [unrolled: 1-line block ×3, first 2 shown]
	s_cmp_ge_u32 s0, s40
	s_cselect_b32 s0, s1, s0
	s_sub_i32 s1, s0, s40
	s_cmp_ge_u32 s0, s40
	s_cselect_b32 s0, s1, s0
	s_mul_i32 s1, s47, s35
	s_xor_b32 s0, s0, s43
	s_sub_i32 s1, s34, s1
	s_sub_i32 s53, s0, s43
	s_xor_b32 s0, s41, s46
	s_add_i32 s34, s47, 1
	s_sub_i32 s40, s1, s35
	s_cmp_ge_u32 s1, s35
	s_cselect_b32 s34, s34, s47
	s_cselect_b32 s1, s40, s1
	s_add_i32 s40, s34, 1
	s_cmp_ge_u32 s1, s35
	s_cselect_b32 s1, s40, s34
	s_waitcnt lgkmcnt(0)
	s_mul_i32 s33, s7, s12
	s_mul_i32 s7, s7, s13
	s_xor_b32 s1, s1, s0
	s_sub_i32 s54, s1, s0
	s_ashr_i32 s55, s53, 31
	s_ashr_i32 s56, s8, 31
	;; [unrolled: 1-line block ×7, first 2 shown]
	s_mul_hi_i32 s40, s53, s14
	s_mul_i32 s14, s53, s14
	s_ashr_i32 s68, s33, 31
	s_ashr_i32 s41, s2, 31
	s_add_u32 s14, s14, s2
	s_addc_u32 s40, s40, s41
	s_mul_hi_i32 s41, s16, s15
	s_mul_i32 s15, s16, s15
	s_mul_hi_u32 s42, s15, s33
	s_mul_i32 s43, s15, s68
	s_add_i32 s42, s42, s43
	s_mul_i32 s41, s41, s33
	s_add_i32 s41, s42, s41
	s_mul_i32 s42, s15, s33
	s_mul_i32 s15, s42, s40
	s_mul_hi_u32 s40, s42, s14
	s_add_i32 s15, s40, s15
	s_mul_i32 s41, s41, s14
	s_add_i32 s15, s15, s41
	s_mul_i32 s14, s42, s14
	s_lshl_b64 s[14:15], s[14:15], 2
	s_mul_hi_i32 s35, s54, s12
	s_mul_i32 s34, s54, s12
	s_add_u32 s4, s4, s14
	s_addc_u32 s5, s5, s15
	s_lshl_b64 s[14:15], s[34:35], 2
	s_add_u32 s34, s4, s14
	s_addc_u32 s35, s5, s15
	s_cmp_lt_i32 s38, 1
	s_mul_i32 s2, s2, s17
	s_cselect_b64 s[40:41], -1, 0
	s_sub_i32 s17, s2, s23
	s_cmp_gt_i32 s39, 0
	s_cselect_b64 s[42:43], -1, 0
	s_cmp_gt_i32 s6, 0
	s_cselect_b64 s[44:45], -1, 0
	;; [unrolled: 2-line block ×3, first 2 shown]
	s_abs_i32 s23, s12
	v_cvt_f32_u32_e32 v1, s23
	s_abs_i32 s71, s16
	v_cvt_f32_u32_e32 v2, s71
	s_abs_i32 s73, s3
	v_rcp_iflag_f32_e32 v1, v1
	v_cvt_f32_u32_e32 v4, s73
	s_sub_i32 s2, 0, s23
	v_rcp_iflag_f32_e32 v2, v2
	v_mul_f32_e32 v1, 0x4f7ffffe, v1
	v_cvt_u32_f32_e32 v1, v1
	v_cmp_neq_f64_e64 s[4:5], s[28:29], 1.0
	v_mul_f32_e32 v2, 0x4f7ffffe, v2
	v_cvt_u32_f32_e32 v2, v2
	v_mul_lo_u32 v3, s2, v1
	v_mul_hi_u32 v3, v1, v3
	v_add_u32_e32 v1, v1, v3
	v_rcp_iflag_f32_e32 v3, v4
	s_sub_i32 s2, 0, s71
	v_mul_lo_u32 v4, s2, v2
	v_mul_hi_u32 v4, v2, v4
	v_mul_f32_e32 v3, 0x4f7ffffe, v3
	v_cvt_u32_f32_e32 v3, v3
	s_sub_i32 s2, 0, s73
	v_cmp_neq_f64_e64 s[50:51], s[30:31], 0
	v_add_u32_e32 v24, v2, v4
	s_ashr_i32 s74, s3, 31
	v_mul_lo_u32 v2, s2, v3
	s_mul_hi_i32 s3, s13, s54
	s_mul_i32 s2, s13, s54
	s_or_b64 s[50:51], s[4:5], s[50:51]
	s_and_b32 s70, s52, 0xffff
	s_ashr_i32 s72, s12, 31
	s_lshl_b64 s[2:3], s[2:3], 2
	s_add_u32 s24, s24, s2
	s_addc_u32 s25, s25, s3
	s_mul_i32 s3, s10, s9
	s_mul_hi_i32 s2, s10, s9
	s_mul_i32 s4, s3, s56
	s_mul_hi_u32 s5, s3, s8
	s_add_i32 s4, s5, s4
	s_mul_i32 s2, s2, s8
	s_add_i32 s2, s4, s2
	s_mul_i32 s4, s3, s8
	s_mul_i32 s3, s4, s55
	s_mul_hi_u32 s5, s4, s53
	s_add_i32 s3, s5, s3
	s_mul_i32 s2, s2, s53
	s_add_i32 s3, s3, s2
	s_mul_i32 s2, s4, s53
	s_mul_i32 s4, s6, s39
	s_lshl_b64 s[52:53], s[2:3], 2
	s_mul_i32 s2, s4, s13
	s_mov_b32 s65, s9
	s_mul_i32 s5, s2, s57
	s_mul_hi_u32 s9, s2, s38
	s_mul_hi_i32 s3, s6, s39
	s_add_i32 s5, s9, s5
	s_mul_i32 s9, s4, s1
	s_mul_hi_u32 s4, s4, s13
	s_add_i32 s4, s4, s9
	s_mul_i32 s3, s3, s13
	s_add_i32 s3, s4, s3
	s_mov_b32 s0, s13
	s_mov_b32 s69, s39
	v_mul_hi_u32 v2, v3, v2
	s_mul_i32 s4, s3, s38
	s_mul_i32 s39, s2, s38
	s_lshl_b64 s[54:55], s[2:3], 2
	s_mul_hi_i32 s3, s6, s13
	s_mul_i32 s2, s6, s13
	s_mov_b64 s[48:49], 0
	v_add_u32_e32 v25, v3, v2
	s_add_i32 s9, s5, s4
	s_lshl_b64 s[56:57], s[2:3], 2
	s_lshl_b64 s[58:59], s[0:1], 2
	v_mov_b32_e32 v3, 0
	s_branch .LBB74_3
.LBB74_2:                               ;   in Loop: Header=BB74_3 Depth=1
	v_add_u32_e32 v0, s70, v0
	v_cmp_le_i32_e32 vcc, s11, v0
	v_cvt_f32_f64_e32 v2, v[8:9]
	s_or_b64 s[48:49], vcc, s[48:49]
	global_store_dword v[4:5], v2, off
	s_andn2_b64 exec, exec, s[48:49]
	s_cbranch_execz .LBB74_21
.LBB74_3:                               ; =>This Loop Header: Depth=1
                                        ;     Child Loop BB74_8 Depth 2
                                        ;       Child Loop BB74_11 Depth 3
                                        ;         Child Loop BB74_14 Depth 4
                                        ;           Child Loop BB74_17 Depth 5
	v_sub_u32_e32 v5, 0, v0
	v_max_i32_e32 v5, v0, v5
	v_mul_hi_u32 v6, v5, v1
	v_mul_lo_u32 v7, v6, s23
	v_sub_u32_e32 v7, v5, v7
	v_add_u32_e32 v8, 1, v6
	v_cmp_le_u32_e32 vcc, s23, v7
	v_ashrrev_i32_e32 v2, 31, v0
	v_xor_b32_e32 v4, s72, v2
	v_cndmask_b32_e32 v6, v6, v8, vcc
	v_subrev_u32_e32 v8, s23, v7
	v_cndmask_b32_e32 v7, v7, v8, vcc
	v_add_u32_e32 v8, 1, v6
	v_cmp_le_u32_e32 vcc, s23, v7
	s_mov_b64 s[62:63], -1
                                        ; implicit-def: $sgpr60_sgpr61
	s_nop 0
	v_cndmask_b32_e32 v6, v6, v8, vcc
	v_xor_b32_e32 v6, v6, v4
	v_sub_u32_e32 v6, v6, v4
	v_sub_u32_e32 v7, 0, v6
	v_max_i32_e32 v7, v6, v7
	v_mul_hi_u32 v8, v7, v24
	v_mul_lo_u32 v8, v8, s71
	v_sub_u32_e32 v7, v7, v8
	v_subrev_u32_e32 v8, s71, v7
	v_cmp_le_u32_e32 vcc, s71, v7
	v_mul_lo_u32 v4, v6, s12
	v_sub_u32_e32 v4, v0, v4
	v_cndmask_b32_e32 v8, v7, v8, vcc
	v_mul_hi_u32 v7, v5, v25
	v_mul_lo_u32 v9, v7, s73
	v_sub_u32_e32 v5, v5, v9
	v_subrev_u32_e32 v9, s73, v5
	v_cmp_le_u32_e64 s[2:3], s73, v5
	v_cmp_le_u32_e64 s[0:1], s71, v8
	s_andn2_b64 vcc, exec, s[40:41]
	v_cndmask_b32_e64 v5, v5, v9, s[2:3]
	v_cmp_le_u32_e64 s[4:5], s73, v5
	s_cbranch_vccnz .LBB74_5
; %bb.4:                                ;   in Loop: Header=BB74_3 Depth=1
	v_ashrrev_i32_e32 v5, 31, v4
	s_mov_b64 s[62:63], 0
	s_mov_b64 s[60:61], 0
.LBB74_5:                               ;   in Loop: Header=BB74_3 Depth=1
	v_subrev_u32_e32 v9, s71, v8
	v_ashrrev_i32_e32 v6, 31, v6
	v_cndmask_b32_e64 v8, v8, v9, s[0:1]
	v_xor_b32_e32 v8, v8, v6
	v_sub_u32_e32 v6, v8, v6
	v_add_u32_e32 v8, 1, v7
	v_cndmask_b32_e64 v7, v7, v8, s[2:3]
	v_add_u32_e32 v8, 1, v7
	v_xor_b32_e32 v2, s74, v2
	v_cndmask_b32_e64 v7, v7, v8, s[4:5]
	v_xor_b32_e32 v7, v7, v2
	v_sub_u32_e32 v26, v7, v2
	s_andn2_b64 vcc, exec, s[62:63]
	v_mov_b64_e32 v[8:9], s[60:61]
	s_cbranch_vccnz .LBB74_19
; %bb.6:                                ;   in Loop: Header=BB74_3 Depth=1
	v_mul_lo_u32 v2, v26, s18
	v_ashrrev_i32_e32 v5, 31, v4
	v_subrev_u32_e32 v7, s36, v2
	v_mul_lo_u32 v2, v6, s19
	v_lshl_add_u64 v[8:9], v[4:5], 2, s[14:15]
	v_mov_b64_e32 v[10:11], s[26:27]
	v_subrev_u32_e32 v27, s37, v2
	v_mul_lo_u32 v2, s39, v9
	v_mul_lo_u32 v9, s9, v8
	v_mad_u64_u32 v[10:11], s[0:1], s39, v8, v[10:11]
	v_add3_u32 v11, v9, v11, v2
	s_mov_b32 s75, 0
	v_mov_b64_e32 v[8:9], 0
	s_mov_b32 s76, s17
	s_branch .LBB74_8
.LBB74_7:                               ;   in Loop: Header=BB74_8 Depth=2
	s_add_i32 s75, s75, 1
	s_add_i32 s76, s76, s20
	s_cmp_eq_u32 s75, s38
	v_lshl_add_u64 v[10:11], v[10:11], 0, s[54:55]
	s_cbranch_scc1 .LBB74_19
.LBB74_8:                               ;   Parent Loop BB74_3 Depth=1
                                        ; =>  This Loop Header: Depth=2
                                        ;       Child Loop BB74_11 Depth 3
                                        ;         Child Loop BB74_14 Depth 4
                                        ;           Child Loop BB74_17 Depth 5
	s_andn2_b64 vcc, exec, s[42:43]
	s_cbranch_vccnz .LBB74_7
; %bb.9:                                ;   in Loop: Header=BB74_8 Depth=2
	s_mul_i32 s0, s64, s76
	s_mul_hi_u32 s1, s65, s76
	s_add_i32 s3, s1, s0
	s_mul_i32 s0, s75, s20
	s_add_i32 s4, s0, s17
	s_cmp_lt_i32 s4, 0
	s_cselect_b64 s[0:1], -1, 0
	s_cmp_ge_i32 s4, s8
	s_cselect_b64 s[4:5], -1, 0
	s_mul_i32 s2, s65, s76
	s_mov_b32 s77, 0
	s_or_b64 s[4:5], s[0:1], s[4:5]
	v_mov_b64_e32 v[12:13], v[10:11]
	v_mov_b32_e32 v14, v7
	s_branch .LBB74_11
.LBB74_10:                              ;   in Loop: Header=BB74_11 Depth=3
	s_add_i32 s77, s77, 1
	v_add_u32_e32 v14, s21, v14
	s_cmp_eq_u32 s77, s69
	v_lshl_add_u64 v[12:13], v[12:13], 0, s[56:57]
	s_cbranch_scc1 .LBB74_7
.LBB74_11:                              ;   Parent Loop BB74_3 Depth=1
                                        ;     Parent Loop BB74_8 Depth=2
                                        ; =>    This Loop Header: Depth=3
                                        ;         Child Loop BB74_14 Depth 4
                                        ;           Child Loop BB74_17 Depth 5
	s_andn2_b64 vcc, exec, s[44:45]
	s_cbranch_vccnz .LBB74_10
; %bb.12:                               ;   in Loop: Header=BB74_11 Depth=3
	v_mov_b32_e32 v15, v3
	v_lshl_add_u64 v[16:17], s[2:3], 0, v[14:15]
	v_mul_lo_u32 v2, s66, v16
	v_mul_lo_u32 v15, s10, v17
	v_mad_u64_u32 v[16:17], s[0:1], s10, v16, 0
	s_mul_i32 s0, s77, s21
	v_add3_u32 v17, v17, v15, v2
	v_add_u32_e32 v2, s0, v7
	v_cmp_gt_i32_e32 vcc, 0, v2
	v_cmp_le_i32_e64 s[0:1], s65, v2
	s_mov_b32 s78, 0
	s_or_b64 s[60:61], vcc, s[0:1]
	v_mov_b64_e32 v[18:19], v[12:13]
	v_mov_b32_e32 v2, v27
	s_branch .LBB74_14
.LBB74_13:                              ;   in Loop: Header=BB74_14 Depth=4
	s_add_i32 s78, s78, 1
	v_add_u32_e32 v2, s22, v2
	s_cmp_eq_u32 s78, s6
	v_lshl_add_u64 v[18:19], v[18:19], 0, s[58:59]
	s_cbranch_scc1 .LBB74_10
.LBB74_14:                              ;   Parent Loop BB74_3 Depth=1
                                        ;     Parent Loop BB74_8 Depth=2
                                        ;       Parent Loop BB74_11 Depth=3
                                        ; =>      This Loop Header: Depth=4
                                        ;           Child Loop BB74_17 Depth 5
	s_andn2_b64 vcc, exec, s[46:47]
	s_cbranch_vccnz .LBB74_13
; %bb.15:                               ;   in Loop: Header=BB74_14 Depth=4
	v_lshl_add_u64 v[20:21], v[16:17], 0, v[2:3]
	v_lshl_add_u64 v[20:21], v[20:21], 2, s[52:53]
	v_mov_b64_e32 v[22:23], s[24:25]
	v_mul_lo_u32 v15, s7, v21
	v_mul_lo_u32 v28, s67, v20
	v_mad_u64_u32 v[20:21], s[0:1], s7, v20, v[22:23]
	s_mul_i32 s0, s78, s22
	v_add3_u32 v21, v28, v21, v15
	v_add_u32_e32 v15, s0, v27
	v_cmp_gt_i32_e32 vcc, 0, v15
	v_cmp_le_i32_e64 s[0:1], s10, v15
	s_or_b64 s[0:1], vcc, s[0:1]
	s_or_b64 s[0:1], s[4:5], s[0:1]
	s_or_b64 s[0:1], s[60:61], s[0:1]
	s_xor_b64 s[0:1], s[0:1], -1
	v_mov_b64_e32 v[22:23], v[18:19]
	s_mov_b32 s79, s13
	s_branch .LBB74_17
.LBB74_16:                              ;   in Loop: Header=BB74_17 Depth=5
	s_or_b64 exec, exec, s[62:63]
	s_add_i32 s79, s79, -1
	v_lshl_add_u64 v[20:21], v[20:21], 0, 4
	s_cmp_eq_u32 s79, 0
	v_lshl_add_u64 v[22:23], v[22:23], 0, 4
	s_cbranch_scc1 .LBB74_13
.LBB74_17:                              ;   Parent Loop BB74_3 Depth=1
                                        ;     Parent Loop BB74_8 Depth=2
                                        ;       Parent Loop BB74_11 Depth=3
                                        ;         Parent Loop BB74_14 Depth=4
                                        ; =>        This Inner Loop Header: Depth=5
	s_and_saveexec_b64 s[62:63], s[0:1]
	s_cbranch_execz .LBB74_16
; %bb.18:                               ;   in Loop: Header=BB74_17 Depth=5
	global_load_dword v15, v[20:21], off
	global_load_dword v28, v[22:23], off
	s_waitcnt vmcnt(1)
	v_and_b32_e32 v15, 0xffffe000, v15
	s_waitcnt vmcnt(0)
	v_and_b32_e32 v28, 0xffffe000, v28
	v_cvt_f64_f32_e32 v[28:29], v28
	v_cvt_f64_f32_e32 v[30:31], v15
	v_fmac_f64_e32 v[8:9], v[30:31], v[28:29]
	s_branch .LBB74_16
.LBB74_19:                              ;   in Loop: Header=BB74_3 Depth=1
	v_ashrrev_i32_e32 v7, 31, v6
	v_mad_i64_i32 v[6:7], s[0:1], v26, s16, v[6:7]
	v_mul_lo_u32 v2, v7, s33
	v_mul_lo_u32 v10, v6, s68
	v_mad_u64_u32 v[6:7], s[0:1], v6, s33, 0
	v_add3_u32 v7, v7, v10, v2
	v_lshl_add_u64 v[6:7], v[6:7], 2, s[34:35]
	s_andn2_b64 vcc, exec, s[50:51]
	v_lshl_add_u64 v[4:5], v[4:5], 2, v[6:7]
	s_cbranch_vccnz .LBB74_2
; %bb.20:                               ;   in Loop: Header=BB74_3 Depth=1
	global_load_dword v2, v[4:5], off
	s_waitcnt vmcnt(0)
	v_cvt_f64_f32_e32 v[6:7], v2
	v_mul_f64 v[6:7], v[6:7], s[30:31]
	v_fmac_f64_e32 v[6:7], s[28:29], v[8:9]
	v_mov_b64_e32 v[8:9], v[6:7]
	s_branch .LBB74_2
.LBB74_21:
	s_endpgm
	.section	.rodata,"a",@progbits
	.p2align	6, 0x0
	.amdhsa_kernel naive_conv_ab_packed_fwd_ndhwc_float_double_float_1
		.amdhsa_group_segment_fixed_size 0
		.amdhsa_private_segment_fixed_size 0
		.amdhsa_kernarg_size 528
		.amdhsa_user_sgpr_count 2
		.amdhsa_user_sgpr_dispatch_ptr 0
		.amdhsa_user_sgpr_queue_ptr 0
		.amdhsa_user_sgpr_kernarg_segment_ptr 1
		.amdhsa_user_sgpr_dispatch_id 0
		.amdhsa_user_sgpr_kernarg_preload_length 0
		.amdhsa_user_sgpr_kernarg_preload_offset 0
		.amdhsa_user_sgpr_private_segment_size 0
		.amdhsa_uses_dynamic_stack 0
		.amdhsa_enable_private_segment 0
		.amdhsa_system_sgpr_workgroup_id_x 1
		.amdhsa_system_sgpr_workgroup_id_y 0
		.amdhsa_system_sgpr_workgroup_id_z 0
		.amdhsa_system_sgpr_workgroup_info 0
		.amdhsa_system_vgpr_workitem_id 0
		.amdhsa_next_free_vgpr 32
		.amdhsa_next_free_sgpr 80
		.amdhsa_accum_offset 32
		.amdhsa_reserve_vcc 1
		.amdhsa_float_round_mode_32 0
		.amdhsa_float_round_mode_16_64 0
		.amdhsa_float_denorm_mode_32 3
		.amdhsa_float_denorm_mode_16_64 3
		.amdhsa_dx10_clamp 1
		.amdhsa_ieee_mode 1
		.amdhsa_fp16_overflow 0
		.amdhsa_tg_split 0
		.amdhsa_exception_fp_ieee_invalid_op 0
		.amdhsa_exception_fp_denorm_src 0
		.amdhsa_exception_fp_ieee_div_zero 0
		.amdhsa_exception_fp_ieee_overflow 0
		.amdhsa_exception_fp_ieee_underflow 0
		.amdhsa_exception_fp_ieee_inexact 0
		.amdhsa_exception_int_div_zero 0
	.end_amdhsa_kernel
	.text
.Lfunc_end74:
	.size	naive_conv_ab_packed_fwd_ndhwc_float_double_float_1, .Lfunc_end74-naive_conv_ab_packed_fwd_ndhwc_float_double_float_1
                                        ; -- End function
	.section	.AMDGPU.csdata,"",@progbits
; Kernel info:
; codeLenInByte = 1904
; NumSgprs: 86
; NumVgprs: 32
; NumAgprs: 0
; TotalNumVgprs: 32
; ScratchSize: 0
; MemoryBound: 0
; FloatMode: 240
; IeeeMode: 1
; LDSByteSize: 0 bytes/workgroup (compile time only)
; SGPRBlocks: 10
; VGPRBlocks: 3
; NumSGPRsForWavesPerEU: 86
; NumVGPRsForWavesPerEU: 32
; AccumOffset: 32
; Occupancy: 8
; WaveLimiterHint : 1
; COMPUTE_PGM_RSRC2:SCRATCH_EN: 0
; COMPUTE_PGM_RSRC2:USER_SGPR: 2
; COMPUTE_PGM_RSRC2:TRAP_HANDLER: 0
; COMPUTE_PGM_RSRC2:TGID_X_EN: 1
; COMPUTE_PGM_RSRC2:TGID_Y_EN: 0
; COMPUTE_PGM_RSRC2:TGID_Z_EN: 0
; COMPUTE_PGM_RSRC2:TIDIG_COMP_CNT: 0
; COMPUTE_PGM_RSRC3_GFX90A:ACCUM_OFFSET: 7
; COMPUTE_PGM_RSRC3_GFX90A:TG_SPLIT: 0
	.text
	.protected	naive_conv_ab_nonpacked_fwd_ndhwc_float_double_float_1 ; -- Begin function naive_conv_ab_nonpacked_fwd_ndhwc_float_double_float_1
	.globl	naive_conv_ab_nonpacked_fwd_ndhwc_float_double_float_1
	.p2align	8
	.type	naive_conv_ab_nonpacked_fwd_ndhwc_float_double_float_1,@function
naive_conv_ab_nonpacked_fwd_ndhwc_float_double_float_1: ; @naive_conv_ab_nonpacked_fwd_ndhwc_float_double_float_1
; %bb.0:
	s_load_dwordx16 s[8:23], s[0:1], 0xb8
	s_abs_i32 s6, s2
	s_waitcnt lgkmcnt(0)
	s_abs_i32 s3, s14
	v_cvt_f32_u32_e32 v1, s3
	s_sub_i32 s4, 0, s3
	s_mul_i32 s34, s14, s11
	v_rcp_iflag_f32_e32 v1, v1
	s_nop 0
	v_mul_f32_e32 v1, 0x4f7ffffe, v1
	v_cvt_u32_f32_e32 v1, v1
	s_nop 0
	v_readfirstlane_b32 s5, v1
	s_mul_i32 s4, s4, s5
	s_mul_hi_u32 s4, s5, s4
	s_add_i32 s5, s5, s4
	s_mul_hi_u32 s4, s6, s5
	s_mul_i32 s5, s4, s3
	s_sub_i32 s5, s6, s5
	s_add_i32 s7, s4, 1
	s_sub_i32 s24, s5, s3
	s_cmp_ge_u32 s5, s3
	s_cselect_b32 s4, s7, s4
	s_cselect_b32 s5, s24, s5
	s_add_i32 s7, s4, 1
	s_cmp_ge_u32 s5, s3
	s_cselect_b32 s35, s7, s4
	s_abs_i32 s33, s11
	s_abs_i32 s7, s34
	v_cvt_f32_u32_e32 v1, s33
	v_cvt_f32_u32_e32 v2, s7
	s_mul_i32 s3, s16, s12
	s_mul_i32 s11, s3, s15
	v_rcp_iflag_f32_e32 v1, v1
	v_rcp_iflag_f32_e32 v2, v2
	v_cmp_gt_i32_e32 vcc, s11, v0
	v_mul_f32_e32 v1, 0x4f7ffffe, v1
	v_mul_f32_e32 v2, 0x4f7ffffe, v2
	v_cvt_u32_f32_e32 v1, v1
	v_cvt_u32_f32_e32 v2, v2
	v_readfirstlane_b32 s36, v1
	v_readfirstlane_b32 s15, v2
	s_and_saveexec_b64 s[4:5], vcc
	s_cbranch_execz .LBB75_21
; %bb.1:
	s_ashr_i32 s56, s2, 31
	s_ashr_i32 s37, s14, 31
	s_xor_b32 s37, s56, s37
	s_xor_b32 s35, s35, s37
	s_sub_i32 s35, s35, s37
	s_sub_i32 s37, 0, s33
	s_mul_i32 s37, s37, s36
	s_mul_hi_u32 s37, s36, s37
	s_abs_i32 s58, s35
	s_add_i32 s36, s36, s37
	s_mul_hi_u32 s59, s58, s36
	s_sub_i32 s36, 0, s7
	s_mul_i32 s36, s36, s15
	s_mul_i32 s59, s59, s33
	s_ashr_i32 s57, s35, 31
	s_mul_hi_u32 s36, s15, s36
	s_mul_i32 s35, s35, s14
	s_sub_i32 s14, s58, s59
	s_ashr_i32 s34, s34, 31
	s_add_i32 s15, s15, s36
	s_sub_i32 s2, s2, s35
	s_sub_i32 s35, s14, s33
	s_cmp_ge_u32 s14, s33
	s_cselect_b32 s14, s35, s14
	s_sub_i32 s35, s14, s33
	s_mul_hi_u32 s15, s6, s15
	s_cmp_ge_u32 s14, s33
	s_cselect_b32 s14, s35, s14
	s_mul_i32 s33, s15, s7
	s_xor_b32 s14, s14, s57
	s_sub_i32 s6, s6, s33
	s_sub_i32 s82, s14, s57
	s_xor_b32 s14, s56, s34
	s_add_i32 s33, s15, 1
	s_sub_i32 s34, s6, s7
	s_cmp_ge_u32 s6, s7
	s_cselect_b32 s15, s33, s15
	s_load_dwordx8 s[24:31], s[0:1], 0x0
	s_load_dwordx2 s[4:5], s[0:1], 0x20
	s_load_dwordx16 s[36:51], s[0:1], 0x68
	s_load_dwordx4 s[68:71], s[0:1], 0xf8
	s_load_dwordx4 s[52:55], s[0:1], 0xa8
	s_cselect_b32 s6, s34, s6
	s_add_i32 s33, s15, 1
	s_cmp_ge_u32 s6, s7
	s_cselect_b32 s6, s33, s15
	s_xor_b32 s6, s6, s14
	s_sub_i32 s83, s6, s14
	s_ashr_i32 s84, s82, 31
	s_ashr_i32 s85, s83, 31
	s_waitcnt lgkmcnt(0)
	s_mul_i32 s6, s54, s84
	s_mul_hi_u32 s7, s54, s82
	s_ashr_i32 s14, s2, 31
	s_add_i32 s6, s7, s6
	s_mul_i32 s7, s55, s82
	s_mul_i32 s14, s52, s14
	s_mul_hi_u32 s15, s52, s2
	s_mul_i32 s33, s46, s85
	s_mul_hi_u32 s34, s46, s83
	s_add_i32 s7, s6, s7
	s_mul_i32 s6, s54, s82
	s_add_i32 s14, s15, s14
	s_mul_i32 s15, s53, s2
	;; [unrolled: 2-line block ×3, first 2 shown]
	s_add_i32 s15, s14, s15
	s_add_i32 s35, s33, s34
	s_lshl_b64 s[6:7], s[6:7], 2
	s_mul_i32 s14, s52, s2
	s_add_u32 s6, s4, s6
	s_addc_u32 s7, s5, s7
	s_lshl_b64 s[4:5], s[14:15], 2
	s_mul_i32 s34, s46, s83
	s_add_u32 s6, s6, s4
	s_addc_u32 s7, s7, s5
	s_lshl_b64 s[4:5], s[34:35], 2
	s_add_u32 s6, s6, s4
	s_load_dword s33, s[0:1], 0x108
	s_addc_u32 s7, s7, s5
	s_cmp_lt_i32 s70, 1
	s_mul_i32 s2, s2, s17
	s_cselect_b64 s[14:15], -1, 0
	s_sub_i32 s23, s2, s23
	s_load_dword s2, s[0:1], 0x11c
	s_cmp_gt_i32 s71, 0
	s_cselect_b64 s[34:35], -1, 0
	s_waitcnt lgkmcnt(0)
	s_cmp_gt_i32 s33, 0
	s_cselect_b64 s[46:47], -1, 0
	s_cmp_gt_i32 s13, 0
	s_cselect_b64 s[72:73], -1, 0
	s_abs_i32 s78, s12
	s_abs_i32 s79, s16
	v_cvt_f32_u32_e32 v1, s78
	s_abs_i32 s81, s3
	v_cvt_f32_u32_e32 v3, s79
	v_cvt_f32_u32_e32 v5, s81
	v_cmp_neq_f64_e64 s[4:5], s[28:29], 1.0
	v_cmp_neq_f64_e64 s[52:53], s[30:31], 0
	v_rcp_iflag_f32_e32 v1, v1
	s_or_b64 s[74:75], s[4:5], s[52:53]
	s_and_b32 s76, s2, 0xffff
	s_ashr_i32 s80, s3, 31
	s_mul_i32 s2, s42, s85
	s_mul_hi_u32 s3, s42, s83
	s_load_dwordx16 s[52:67], s[0:1], 0x28
	v_rcp_iflag_f32_e32 v3, v3
	s_add_i32 s2, s3, s2
	s_mul_i32 s3, s43, s83
	v_rcp_iflag_f32_e32 v5, v5
	s_add_i32 s3, s2, s3
	s_mul_i32 s2, s42, s83
	s_ashr_i32 s77, s12, 31
	s_sub_i32 s4, 0, s78
	s_sub_i32 s5, 0, s79
	;; [unrolled: 1-line block ×3, first 2 shown]
	s_lshl_b64 s[2:3], s[2:3], 2
	v_mul_f32_e32 v1, 0x4f7ffffe, v1
	s_add_u32 s16, s26, s2
	v_cvt_u32_f32_e32 v1, v1
	v_mul_f32_e32 v3, 0x4f7ffffe, v3
	s_addc_u32 s17, s27, s3
	s_waitcnt lgkmcnt(0)
	s_mul_i32 s0, s54, s85
	s_mul_hi_u32 s1, s54, s83
	s_mul_i32 s2, s62, s84
	s_mul_hi_u32 s3, s62, s82
	v_cvt_u32_f32_e32 v3, v3
	v_mul_f32_e32 v5, 0x4f7ffffe, v5
	s_add_i32 s0, s1, s0
	s_mul_i32 s1, s55, s83
	s_add_i32 s2, s3, s2
	s_mul_i32 s3, s63, s82
	v_cvt_u32_f32_e32 v5, v5
	s_add_i32 s1, s0, s1
	s_mul_i32 s0, s54, s83
	s_add_i32 s3, s2, s3
	s_mul_i32 s2, s62, s82
	s_lshl_b64 s[0:1], s[0:1], 2
	s_lshl_b64 s[2:3], s[2:3], 2
	;; [unrolled: 1-line block ×7, first 2 shown]
	v_mul_lo_u32 v2, s4, v1
	s_add_u32 s0, s0, s2
	v_mul_lo_u32 v4, s5, v3
	v_mul_hi_u32 v2, v1, v2
	s_addc_u32 s1, s1, s3
	v_mul_lo_u32 v6, s86, v5
	v_add_u32_e32 v1, v1, v2
	v_mul_hi_u32 v2, v3, v4
	s_add_u32 s64, s24, s0
	v_add_u32_e32 v20, v3, v2
	v_mul_hi_u32 v2, v5, v6
	s_addc_u32 s65, s25, s1
	s_lshl_b64 s[24:25], s[60:61], 2
	s_lshl_b64 s[54:55], s[58:59], 2
	;; [unrolled: 1-line block ×4, first 2 shown]
	v_add_u32_e32 v21, v5, v2
	s_mov_b64 s[58:59], 0
	s_branch .LBB75_3
.LBB75_2:                               ;   in Loop: Header=BB75_3 Depth=1
	v_add_u32_e32 v0, s76, v0
	v_cmp_le_i32_e32 vcc, s11, v0
	v_cvt_f32_f64_e32 v4, v[6:7]
	s_or_b64 s[58:59], vcc, s[58:59]
	global_store_dword v[2:3], v4, off
	s_andn2_b64 exec, exec, s[58:59]
	s_cbranch_execz .LBB75_21
.LBB75_3:                               ; =>This Loop Header: Depth=1
                                        ;     Child Loop BB75_8 Depth 2
                                        ;       Child Loop BB75_11 Depth 3
                                        ;         Child Loop BB75_14 Depth 4
                                        ;           Child Loop BB75_17 Depth 5
	v_sub_u32_e32 v3, 0, v0
	v_max_i32_e32 v4, v0, v3
	v_mul_hi_u32 v3, v4, v1
	v_mul_lo_u32 v5, v3, s78
	v_sub_u32_e32 v5, v4, v5
	v_add_u32_e32 v7, 1, v3
	v_cmp_le_u32_e32 vcc, s78, v5
	v_ashrrev_i32_e32 v6, 31, v0
	v_xor_b32_e32 v2, s77, v6
	v_cndmask_b32_e32 v3, v3, v7, vcc
	v_subrev_u32_e32 v7, s78, v5
	v_cndmask_b32_e32 v5, v5, v7, vcc
	v_add_u32_e32 v7, 1, v3
	v_cmp_le_u32_e32 vcc, s78, v5
	s_mov_b64 s[62:63], -1
                                        ; implicit-def: $sgpr60_sgpr61
	s_nop 0
	v_cndmask_b32_e32 v3, v3, v7, vcc
	v_xor_b32_e32 v3, v3, v2
	v_sub_u32_e32 v3, v3, v2
	v_sub_u32_e32 v5, 0, v3
	v_max_i32_e32 v5, v3, v5
	v_mul_hi_u32 v7, v5, v20
	v_mul_lo_u32 v7, v7, s79
	v_sub_u32_e32 v5, v5, v7
	v_subrev_u32_e32 v7, s79, v5
	v_cmp_le_u32_e32 vcc, s79, v5
	v_mul_lo_u32 v2, v3, s12
	v_sub_u32_e32 v2, v0, v2
	v_cndmask_b32_e32 v8, v5, v7, vcc
	v_mul_hi_u32 v7, v4, v21
	v_mul_lo_u32 v5, v7, s81
	v_sub_u32_e32 v4, v4, v5
	v_subrev_u32_e32 v5, s81, v4
	v_cmp_le_u32_e64 s[2:3], s81, v4
	v_cmp_le_u32_e64 s[0:1], s79, v8
	s_andn2_b64 vcc, exec, s[14:15]
	v_cndmask_b32_e64 v4, v4, v5, s[2:3]
	v_cmp_le_u32_e64 s[4:5], s81, v4
                                        ; implicit-def: $vgpr4_vgpr5
	s_cbranch_vccnz .LBB75_5
; %bb.4:                                ;   in Loop: Header=BB75_3 Depth=1
	v_ashrrev_i32_e32 v5, 31, v2
	s_mov_b64 s[62:63], 0
	s_mov_b64 s[60:61], 0
.LBB75_5:                               ;   in Loop: Header=BB75_3 Depth=1
	v_subrev_u32_e32 v4, s79, v8
	v_ashrrev_i32_e32 v3, 31, v3
	v_cndmask_b32_e64 v4, v8, v4, s[0:1]
	v_xor_b32_e32 v4, v4, v3
	v_sub_u32_e32 v3, v4, v3
	v_xor_b32_e32 v4, s80, v6
	v_add_u32_e32 v6, 1, v7
	v_cndmask_b32_e64 v6, v7, v6, s[2:3]
	v_add_u32_e32 v7, 1, v6
	v_cndmask_b32_e64 v6, v6, v7, s[4:5]
	v_xor_b32_e32 v6, v6, v4
	v_sub_u32_e32 v4, v6, v4
	s_andn2_b64 vcc, exec, s[62:63]
	v_mov_b64_e32 v[6:7], s[60:61]
	s_cbranch_vccnz .LBB75_19
; %bb.6:                                ;   in Loop: Header=BB75_3 Depth=1
	v_mul_lo_u32 v5, v4, s18
	v_subrev_u32_e32 v22, s68, v5
	v_mul_lo_u32 v5, v3, s19
	v_subrev_u32_e32 v23, s69, v5
	v_ashrrev_i32_e32 v5, 31, v2
	v_mov_b64_e32 v[6:7], s[16:17]
	v_mad_u64_u32 v[8:9], s[0:1], s26, v2, v[6:7]
	v_mul_lo_u32 v6, s27, v2
	v_mul_lo_u32 v7, s26, v5
	v_add3_u32 v9, v6, v9, v7
	s_mov_b32 s66, 0
	v_mov_b64_e32 v[6:7], 0
	s_mov_b32 s67, s23
	s_branch .LBB75_8
.LBB75_7:                               ;   in Loop: Header=BB75_8 Depth=2
	s_add_i32 s66, s66, 1
	s_add_i32 s67, s67, s20
	s_cmp_eq_u32 s66, s70
	v_lshl_add_u64 v[8:9], v[8:9], 0, s[38:39]
	s_cbranch_scc1 .LBB75_19
.LBB75_8:                               ;   Parent Loop BB75_3 Depth=1
                                        ; =>  This Loop Header: Depth=2
                                        ;       Child Loop BB75_11 Depth 3
                                        ;         Child Loop BB75_14 Depth 4
                                        ;           Child Loop BB75_17 Depth 5
	s_andn2_b64 vcc, exec, s[34:35]
	s_cbranch_vccnz .LBB75_7
; %bb.9:                                ;   in Loop: Header=BB75_8 Depth=2
	s_mul_i32 s0, s25, s67
	s_mul_hi_u32 s1, s24, s67
	s_add_i32 s5, s1, s0
	s_mul_i32 s0, s66, s20
	s_add_i32 s2, s0, s23
	s_cmp_lt_i32 s2, 0
	s_cselect_b64 s[0:1], -1, 0
	s_cmp_ge_i32 s2, s8
	s_cselect_b64 s[2:3], -1, 0
	s_mul_i32 s4, s24, s67
	s_or_b64 s[2:3], s[0:1], s[2:3]
	s_add_u32 s4, s64, s4
	s_mov_b32 s82, 0
	s_addc_u32 s5, s65, s5
	v_mov_b32_e32 v24, v22
	v_mov_b64_e32 v[10:11], v[8:9]
	s_branch .LBB75_11
.LBB75_10:                              ;   in Loop: Header=BB75_11 Depth=3
	s_add_i32 s82, s82, 1
	v_lshl_add_u64 v[10:11], v[10:11], 0, s[36:37]
	s_cmp_eq_u32 s82, s71
	v_add_u32_e32 v24, s21, v24
	s_cbranch_scc1 .LBB75_7
.LBB75_11:                              ;   Parent Loop BB75_3 Depth=1
                                        ;     Parent Loop BB75_8 Depth=2
                                        ; =>    This Loop Header: Depth=3
                                        ;         Child Loop BB75_14 Depth 4
                                        ;           Child Loop BB75_17 Depth 5
	s_andn2_b64 vcc, exec, s[46:47]
	s_cbranch_vccnz .LBB75_10
; %bb.12:                               ;   in Loop: Header=BB75_11 Depth=3
	s_mul_i32 s0, s82, s21
	v_add_u32_e32 v12, s0, v22
	v_cmp_gt_i32_e32 vcc, 0, v12
	v_cmp_le_i32_e64 s[0:1], s9, v12
	v_mov_b64_e32 v[12:13], s[4:5]
	s_or_b64 s[60:61], vcc, s[0:1]
	v_mad_u64_u32 v[12:13], s[0:1], s54, v24, v[12:13]
	v_mov_b32_e32 v14, v13
	v_mad_u64_u32 v[14:15], s[0:1], s55, v24, v[14:15]
	s_mov_b32 s83, 0
	v_mov_b32_e32 v13, v14
	v_mov_b32_e32 v25, v23
	v_mov_b64_e32 v[14:15], v[10:11]
	s_branch .LBB75_14
.LBB75_13:                              ;   in Loop: Header=BB75_14 Depth=4
	s_add_i32 s83, s83, 1
	v_lshl_add_u64 v[14:15], v[14:15], 0, s[40:41]
	s_cmp_eq_u32 s83, s33
	v_add_u32_e32 v25, s22, v25
	s_cbranch_scc1 .LBB75_10
.LBB75_14:                              ;   Parent Loop BB75_3 Depth=1
                                        ;     Parent Loop BB75_8 Depth=2
                                        ;       Parent Loop BB75_11 Depth=3
                                        ; =>      This Loop Header: Depth=4
                                        ;           Child Loop BB75_17 Depth 5
	s_andn2_b64 vcc, exec, s[72:73]
	s_cbranch_vccnz .LBB75_13
; %bb.15:                               ;   in Loop: Header=BB75_14 Depth=4
	v_mad_u64_u32 v[16:17], s[0:1], s56, v25, v[12:13]
	v_mov_b32_e32 v18, v17
	v_mad_u64_u32 v[18:19], s[0:1], s57, v25, v[18:19]
	s_mul_i32 s0, s83, s22
	v_mov_b32_e32 v17, v18
	v_add_u32_e32 v18, s0, v23
	v_cmp_gt_i32_e32 vcc, 0, v18
	v_cmp_le_i32_e64 s[0:1], s10, v18
	s_or_b64 s[0:1], vcc, s[0:1]
	s_or_b64 s[0:1], s[2:3], s[0:1]
	s_or_b64 s[0:1], s[60:61], s[0:1]
	s_xor_b64 s[0:1], s[0:1], -1
	v_mov_b64_e32 v[18:19], v[14:15]
	s_mov_b32 s84, s13
	s_branch .LBB75_17
.LBB75_16:                              ;   in Loop: Header=BB75_17 Depth=5
	s_or_b64 exec, exec, s[62:63]
	s_add_i32 s84, s84, -1
	v_lshl_add_u64 v[18:19], v[18:19], 0, s[42:43]
	s_cmp_eq_u32 s84, 0
	v_lshl_add_u64 v[16:17], v[16:17], 0, s[52:53]
	s_cbranch_scc1 .LBB75_13
.LBB75_17:                              ;   Parent Loop BB75_3 Depth=1
                                        ;     Parent Loop BB75_8 Depth=2
                                        ;       Parent Loop BB75_11 Depth=3
                                        ;         Parent Loop BB75_14 Depth=4
                                        ; =>        This Inner Loop Header: Depth=5
	s_and_saveexec_b64 s[62:63], s[0:1]
	s_cbranch_execz .LBB75_16
; %bb.18:                               ;   in Loop: Header=BB75_17 Depth=5
	global_load_dword v26, v[16:17], off
	global_load_dword v27, v[18:19], off
	s_waitcnt vmcnt(1)
	v_and_b32_e32 v28, 0xffffe000, v26
	s_waitcnt vmcnt(0)
	v_and_b32_e32 v26, 0xffffe000, v27
	v_cvt_f64_f32_e32 v[26:27], v26
	v_cvt_f64_f32_e32 v[28:29], v28
	v_fmac_f64_e32 v[6:7], v[28:29], v[26:27]
	s_branch .LBB75_16
.LBB75_19:                              ;   in Loop: Header=BB75_3 Depth=1
	v_ashrrev_i32_e32 v8, 31, v4
	v_mul_lo_u32 v10, s51, v4
	v_mul_lo_u32 v11, s50, v8
	v_mad_u64_u32 v[8:9], s[0:1], s50, v4, 0
	v_ashrrev_i32_e32 v4, 31, v3
	v_add3_u32 v9, v9, v11, v10
	v_mul_lo_u32 v12, s49, v3
	v_mul_lo_u32 v4, s48, v4
	v_mad_u64_u32 v[10:11], s[0:1], s48, v3, 0
	v_add3_u32 v11, v11, v4, v12
	v_mul_lo_u32 v4, v5, s44
	v_mul_lo_u32 v5, v2, s45
	v_mad_u64_u32 v[2:3], s[0:1], v2, s44, 0
	v_add3_u32 v3, v3, v5, v4
	v_lshl_add_u64 v[4:5], v[8:9], 2, s[6:7]
	v_lshl_add_u64 v[4:5], v[10:11], 2, v[4:5]
	s_andn2_b64 vcc, exec, s[74:75]
	v_lshl_add_u64 v[2:3], v[2:3], 2, v[4:5]
	s_cbranch_vccnz .LBB75_2
; %bb.20:                               ;   in Loop: Header=BB75_3 Depth=1
	global_load_dword v4, v[2:3], off
	s_waitcnt vmcnt(0)
	v_cvt_f64_f32_e32 v[4:5], v4
	v_mul_f64 v[4:5], v[4:5], s[30:31]
	v_fmac_f64_e32 v[4:5], s[28:29], v[6:7]
	v_mov_b64_e32 v[6:7], v[4:5]
	s_branch .LBB75_2
.LBB75_21:
	s_endpgm
	.section	.rodata,"a",@progbits
	.p2align	6, 0x0
	.amdhsa_kernel naive_conv_ab_nonpacked_fwd_ndhwc_float_double_float_1
		.amdhsa_group_segment_fixed_size 0
		.amdhsa_private_segment_fixed_size 0
		.amdhsa_kernarg_size 528
		.amdhsa_user_sgpr_count 2
		.amdhsa_user_sgpr_dispatch_ptr 0
		.amdhsa_user_sgpr_queue_ptr 0
		.amdhsa_user_sgpr_kernarg_segment_ptr 1
		.amdhsa_user_sgpr_dispatch_id 0
		.amdhsa_user_sgpr_kernarg_preload_length 0
		.amdhsa_user_sgpr_kernarg_preload_offset 0
		.amdhsa_user_sgpr_private_segment_size 0
		.amdhsa_uses_dynamic_stack 0
		.amdhsa_enable_private_segment 0
		.amdhsa_system_sgpr_workgroup_id_x 1
		.amdhsa_system_sgpr_workgroup_id_y 0
		.amdhsa_system_sgpr_workgroup_id_z 0
		.amdhsa_system_sgpr_workgroup_info 0
		.amdhsa_system_vgpr_workitem_id 0
		.amdhsa_next_free_vgpr 30
		.amdhsa_next_free_sgpr 87
		.amdhsa_accum_offset 32
		.amdhsa_reserve_vcc 1
		.amdhsa_float_round_mode_32 0
		.amdhsa_float_round_mode_16_64 0
		.amdhsa_float_denorm_mode_32 3
		.amdhsa_float_denorm_mode_16_64 3
		.amdhsa_dx10_clamp 1
		.amdhsa_ieee_mode 1
		.amdhsa_fp16_overflow 0
		.amdhsa_tg_split 0
		.amdhsa_exception_fp_ieee_invalid_op 0
		.amdhsa_exception_fp_denorm_src 0
		.amdhsa_exception_fp_ieee_div_zero 0
		.amdhsa_exception_fp_ieee_overflow 0
		.amdhsa_exception_fp_ieee_underflow 0
		.amdhsa_exception_fp_ieee_inexact 0
		.amdhsa_exception_int_div_zero 0
	.end_amdhsa_kernel
	.text
.Lfunc_end75:
	.size	naive_conv_ab_nonpacked_fwd_ndhwc_float_double_float_1, .Lfunc_end75-naive_conv_ab_nonpacked_fwd_ndhwc_float_double_float_1
                                        ; -- End function
	.section	.AMDGPU.csdata,"",@progbits
; Kernel info:
; codeLenInByte = 1904
; NumSgprs: 93
; NumVgprs: 30
; NumAgprs: 0
; TotalNumVgprs: 30
; ScratchSize: 0
; MemoryBound: 0
; FloatMode: 240
; IeeeMode: 1
; LDSByteSize: 0 bytes/workgroup (compile time only)
; SGPRBlocks: 11
; VGPRBlocks: 3
; NumSGPRsForWavesPerEU: 93
; NumVGPRsForWavesPerEU: 30
; AccumOffset: 32
; Occupancy: 8
; WaveLimiterHint : 1
; COMPUTE_PGM_RSRC2:SCRATCH_EN: 0
; COMPUTE_PGM_RSRC2:USER_SGPR: 2
; COMPUTE_PGM_RSRC2:TRAP_HANDLER: 0
; COMPUTE_PGM_RSRC2:TGID_X_EN: 1
; COMPUTE_PGM_RSRC2:TGID_Y_EN: 0
; COMPUTE_PGM_RSRC2:TGID_Z_EN: 0
; COMPUTE_PGM_RSRC2:TIDIG_COMP_CNT: 0
; COMPUTE_PGM_RSRC3_GFX90A:ACCUM_OFFSET: 7
; COMPUTE_PGM_RSRC3_GFX90A:TG_SPLIT: 0
	.text
	.protected	naive_conv_ab_packed_fwd_ndhwc_half_double_half_0 ; -- Begin function naive_conv_ab_packed_fwd_ndhwc_half_double_half_0
	.globl	naive_conv_ab_packed_fwd_ndhwc_half_double_half_0
	.p2align	8
	.type	naive_conv_ab_packed_fwd_ndhwc_half_double_half_0,@function
naive_conv_ab_packed_fwd_ndhwc_half_double_half_0: ; @naive_conv_ab_packed_fwd_ndhwc_half_double_half_0
; %bb.0:
	s_load_dwordx16 s[8:23], s[0:1], 0xb8
	s_abs_i32 s34, s2
	s_waitcnt lgkmcnt(0)
	s_abs_i32 s3, s14
	v_cvt_f32_u32_e32 v1, s3
	s_sub_i32 s5, 0, s3
	s_mul_i32 s4, s14, s11
	v_rcp_iflag_f32_e32 v1, v1
	s_nop 0
	v_mul_f32_e32 v1, 0x4f7ffffe, v1
	v_cvt_u32_f32_e32 v1, v1
	s_nop 0
	v_readfirstlane_b32 s6, v1
	s_mul_i32 s5, s5, s6
	s_mul_hi_u32 s5, s6, s5
	s_add_i32 s6, s6, s5
	s_mul_hi_u32 s5, s34, s6
	s_mul_i32 s6, s5, s3
	s_sub_i32 s6, s34, s6
	s_add_i32 s7, s5, 1
	s_sub_i32 s24, s6, s3
	s_cmp_ge_u32 s6, s3
	s_cselect_b32 s5, s7, s5
	s_cselect_b32 s6, s24, s6
	s_add_i32 s7, s5, 1
	s_cmp_ge_u32 s6, s3
	s_cselect_b32 s5, s7, s5
	s_abs_i32 s40, s11
	s_abs_i32 s35, s4
	v_cvt_f32_u32_e32 v1, s40
	v_cvt_f32_u32_e32 v2, s35
	s_mul_i32 s3, s16, s12
	s_mul_i32 s11, s3, s15
	v_rcp_iflag_f32_e32 v1, v1
	v_rcp_iflag_f32_e32 v2, v2
	v_cmp_gt_i32_e32 vcc, s11, v0
	v_mul_f32_e32 v1, 0x4f7ffffe, v1
	v_mul_f32_e32 v2, 0x4f7ffffe, v2
	v_cvt_u32_f32_e32 v1, v1
	v_cvt_u32_f32_e32 v2, v2
	v_readfirstlane_b32 s7, v1
	v_readfirstlane_b32 s6, v2
	s_and_saveexec_b64 s[24:25], vcc
	s_cbranch_execz .LBB76_23
; %bb.1:
	s_ashr_i32 s41, s2, 31
	s_ashr_i32 s33, s14, 31
	s_xor_b32 s33, s41, s33
	s_xor_b32 s5, s5, s33
	s_sub_i32 s42, s5, s33
	s_sub_i32 s5, 0, s40
	s_mul_i32 s5, s5, s7
	s_mul_hi_u32 s5, s7, s5
	s_ashr_i32 s46, s4, 31
	s_sub_i32 s4, 0, s35
	s_abs_i32 s44, s42
	s_add_i32 s7, s7, s5
	s_mul_i32 s4, s4, s6
	s_mul_hi_u32 s45, s44, s7
	s_mul_hi_u32 s4, s6, s4
	s_add_i32 s4, s6, s4
	s_mul_i32 s45, s45, s40
	s_load_dwordx8 s[24:31], s[0:1], 0x0
	s_ashr_i32 s43, s42, 31
	s_load_dwordx2 s[6:7], s[0:1], 0x108
	s_mul_hi_u32 s47, s34, s4
	s_load_dwordx2 s[4:5], s[0:1], 0x20
	s_load_dwordx4 s[36:39], s[0:1], 0xf8
	s_load_dword s52, s[0:1], 0x11c
	s_mul_i32 s42, s42, s14
	s_sub_i32 s0, s44, s45
	s_sub_i32 s2, s2, s42
	;; [unrolled: 1-line block ×3, first 2 shown]
	s_cmp_ge_u32 s0, s40
	s_cselect_b32 s0, s1, s0
	s_sub_i32 s1, s0, s40
	s_cmp_ge_u32 s0, s40
	s_cselect_b32 s0, s1, s0
	s_mul_i32 s1, s47, s35
	s_xor_b32 s0, s0, s43
	s_sub_i32 s1, s34, s1
	s_sub_i32 s53, s0, s43
	s_xor_b32 s0, s41, s46
	s_add_i32 s34, s47, 1
	s_sub_i32 s40, s1, s35
	s_cmp_ge_u32 s1, s35
	s_cselect_b32 s34, s34, s47
	s_cselect_b32 s1, s40, s1
	s_add_i32 s40, s34, 1
	s_cmp_ge_u32 s1, s35
	s_cselect_b32 s1, s40, s34
	s_waitcnt lgkmcnt(0)
	s_mul_i32 s33, s7, s12
	s_mul_i32 s7, s7, s13
	s_xor_b32 s1, s1, s0
	s_sub_i32 s54, s1, s0
	s_ashr_i32 s55, s53, 31
	s_ashr_i32 s56, s8, 31
	;; [unrolled: 1-line block ×7, first 2 shown]
	s_mul_hi_i32 s40, s53, s14
	s_mul_i32 s14, s53, s14
	s_ashr_i32 s68, s33, 31
	s_ashr_i32 s41, s2, 31
	s_add_u32 s14, s14, s2
	s_addc_u32 s40, s40, s41
	s_mul_hi_i32 s41, s16, s15
	s_mul_i32 s15, s16, s15
	s_mul_hi_u32 s42, s15, s33
	s_mul_i32 s43, s15, s68
	s_add_i32 s42, s42, s43
	s_mul_i32 s41, s41, s33
	s_add_i32 s41, s42, s41
	s_mul_i32 s42, s15, s33
	s_mul_i32 s15, s42, s40
	s_mul_hi_u32 s40, s42, s14
	s_add_i32 s15, s40, s15
	s_mul_i32 s41, s41, s14
	s_add_i32 s15, s15, s41
	s_mul_i32 s14, s42, s14
	s_lshl_b64 s[14:15], s[14:15], 1
	s_mul_hi_i32 s35, s54, s12
	s_mul_i32 s34, s54, s12
	s_add_u32 s4, s4, s14
	s_addc_u32 s5, s5, s15
	s_lshl_b64 s[14:15], s[34:35], 1
	s_add_u32 s34, s4, s14
	s_addc_u32 s35, s5, s15
	s_cmp_lt_i32 s38, 1
	s_mul_i32 s2, s2, s17
	s_cselect_b64 s[40:41], -1, 0
	s_sub_i32 s17, s2, s23
	s_cmp_gt_i32 s39, 0
	s_cselect_b64 s[42:43], -1, 0
	s_cmp_gt_i32 s6, 0
	s_cselect_b64 s[44:45], -1, 0
	;; [unrolled: 2-line block ×3, first 2 shown]
	s_abs_i32 s23, s12
	v_cvt_f32_u32_e32 v1, s23
	s_abs_i32 s71, s16
	v_cvt_f32_u32_e32 v2, s71
	s_abs_i32 s73, s3
	v_rcp_iflag_f32_e32 v1, v1
	v_cvt_f32_u32_e32 v4, s73
	s_sub_i32 s2, 0, s23
	v_rcp_iflag_f32_e32 v2, v2
	v_mul_f32_e32 v1, 0x4f7ffffe, v1
	v_cvt_u32_f32_e32 v1, v1
	v_cmp_neq_f64_e64 s[4:5], s[28:29], 1.0
	v_mul_f32_e32 v2, 0x4f7ffffe, v2
	v_cvt_u32_f32_e32 v2, v2
	v_mul_lo_u32 v3, s2, v1
	v_mul_hi_u32 v3, v1, v3
	v_add_u32_e32 v1, v1, v3
	v_rcp_iflag_f32_e32 v3, v4
	s_sub_i32 s2, 0, s71
	v_mul_lo_u32 v4, s2, v2
	v_mul_hi_u32 v4, v2, v4
	v_mul_f32_e32 v3, 0x4f7ffffe, v3
	v_cvt_u32_f32_e32 v3, v3
	s_sub_i32 s2, 0, s73
	v_cmp_neq_f64_e64 s[50:51], s[30:31], 0
	v_add_u32_e32 v24, v2, v4
	s_ashr_i32 s74, s3, 31
	v_mul_lo_u32 v2, s2, v3
	s_mul_hi_i32 s3, s13, s54
	s_mul_i32 s2, s13, s54
	s_or_b64 s[50:51], s[4:5], s[50:51]
	s_and_b32 s70, s52, 0xffff
	s_ashr_i32 s72, s12, 31
	s_lshl_b64 s[2:3], s[2:3], 1
	s_add_u32 s24, s24, s2
	s_addc_u32 s25, s25, s3
	s_mul_i32 s3, s10, s9
	s_mul_hi_i32 s2, s10, s9
	s_mul_i32 s4, s3, s56
	s_mul_hi_u32 s5, s3, s8
	s_add_i32 s4, s5, s4
	s_mul_i32 s2, s2, s8
	s_add_i32 s2, s4, s2
	s_mul_i32 s4, s3, s8
	s_mul_i32 s3, s4, s55
	s_mul_hi_u32 s5, s4, s53
	s_add_i32 s3, s5, s3
	s_mul_i32 s2, s2, s53
	s_add_i32 s3, s3, s2
	s_mul_i32 s2, s4, s53
	s_mul_i32 s4, s6, s39
	s_lshl_b64 s[52:53], s[2:3], 1
	s_mul_i32 s2, s4, s13
	s_mov_b32 s65, s9
	s_mul_i32 s5, s2, s57
	s_mul_hi_u32 s9, s2, s38
	s_mul_hi_i32 s3, s6, s39
	s_add_i32 s5, s9, s5
	s_mul_i32 s9, s4, s1
	s_mul_hi_u32 s4, s4, s13
	s_add_i32 s4, s4, s9
	s_mul_i32 s3, s3, s13
	s_add_i32 s3, s4, s3
	s_mov_b32 s0, s13
	s_mov_b32 s69, s39
	v_mul_hi_u32 v2, v3, v2
	s_mul_i32 s4, s3, s38
	s_mul_i32 s39, s2, s38
	s_lshl_b64 s[54:55], s[2:3], 1
	s_mul_hi_i32 s3, s6, s13
	s_mul_i32 s2, s6, s13
	s_mov_b64 s[48:49], 0
	v_add_u32_e32 v25, v3, v2
	s_add_i32 s9, s5, s4
	s_lshl_b64 s[56:57], s[2:3], 1
	s_lshl_b64 s[58:59], s[0:1], 1
	v_mov_b32_e32 v3, 0
	s_branch .LBB76_3
.LBB76_2:                               ;   in Loop: Header=BB76_3 Depth=1
	v_add_u32_e32 v0, s70, v0
	v_cmp_le_i32_e32 vcc, s11, v0
	s_or_b64 s[48:49], vcc, s[48:49]
	s_andn2_b64 exec, exec, s[48:49]
	s_cbranch_execz .LBB76_23
.LBB76_3:                               ; =>This Loop Header: Depth=1
                                        ;     Child Loop BB76_8 Depth 2
                                        ;       Child Loop BB76_11 Depth 3
                                        ;         Child Loop BB76_14 Depth 4
                                        ;           Child Loop BB76_17 Depth 5
	v_sub_u32_e32 v5, 0, v0
	v_max_i32_e32 v5, v0, v5
	v_mul_hi_u32 v6, v5, v1
	v_mul_lo_u32 v7, v6, s23
	v_sub_u32_e32 v7, v5, v7
	v_add_u32_e32 v8, 1, v6
	v_cmp_le_u32_e32 vcc, s23, v7
	v_ashrrev_i32_e32 v2, 31, v0
	v_xor_b32_e32 v4, s72, v2
	v_cndmask_b32_e32 v6, v6, v8, vcc
	v_subrev_u32_e32 v8, s23, v7
	v_cndmask_b32_e32 v7, v7, v8, vcc
	v_add_u32_e32 v8, 1, v6
	v_cmp_le_u32_e32 vcc, s23, v7
	s_mov_b64 s[62:63], -1
                                        ; implicit-def: $sgpr60_sgpr61
	s_nop 0
	v_cndmask_b32_e32 v6, v6, v8, vcc
	v_xor_b32_e32 v6, v6, v4
	v_sub_u32_e32 v6, v6, v4
	v_sub_u32_e32 v7, 0, v6
	v_max_i32_e32 v7, v6, v7
	v_mul_hi_u32 v8, v7, v24
	v_mul_lo_u32 v8, v8, s71
	v_sub_u32_e32 v7, v7, v8
	v_subrev_u32_e32 v8, s71, v7
	v_cmp_le_u32_e32 vcc, s71, v7
	v_mul_lo_u32 v4, v6, s12
	v_sub_u32_e32 v4, v0, v4
	v_cndmask_b32_e32 v8, v7, v8, vcc
	v_mul_hi_u32 v7, v5, v25
	v_mul_lo_u32 v9, v7, s73
	v_sub_u32_e32 v5, v5, v9
	v_subrev_u32_e32 v9, s73, v5
	v_cmp_le_u32_e64 s[2:3], s73, v5
	v_cmp_le_u32_e64 s[0:1], s71, v8
	s_andn2_b64 vcc, exec, s[40:41]
	v_cndmask_b32_e64 v5, v5, v9, s[2:3]
	v_cmp_le_u32_e64 s[4:5], s73, v5
	s_cbranch_vccnz .LBB76_5
; %bb.4:                                ;   in Loop: Header=BB76_3 Depth=1
	v_ashrrev_i32_e32 v5, 31, v4
	s_mov_b64 s[62:63], 0
	s_mov_b64 s[60:61], 0
.LBB76_5:                               ;   in Loop: Header=BB76_3 Depth=1
	v_subrev_u32_e32 v9, s71, v8
	v_ashrrev_i32_e32 v6, 31, v6
	v_cndmask_b32_e64 v8, v8, v9, s[0:1]
	v_xor_b32_e32 v8, v8, v6
	v_sub_u32_e32 v8, v8, v6
	v_add_u32_e32 v6, 1, v7
	v_cndmask_b32_e64 v6, v7, v6, s[2:3]
	v_add_u32_e32 v7, 1, v6
	v_xor_b32_e32 v2, s74, v2
	v_cndmask_b32_e64 v6, v6, v7, s[4:5]
	v_xor_b32_e32 v6, v6, v2
	v_sub_u32_e32 v26, v6, v2
	s_andn2_b64 vcc, exec, s[62:63]
	v_mov_b64_e32 v[6:7], s[60:61]
	s_cbranch_vccnz .LBB76_19
; %bb.6:                                ;   in Loop: Header=BB76_3 Depth=1
	v_mul_lo_u32 v2, v26, s18
	v_ashrrev_i32_e32 v5, 31, v4
	v_subrev_u32_e32 v9, s36, v2
	v_mul_lo_u32 v2, v8, s19
	v_lshl_add_u64 v[6:7], v[4:5], 1, s[14:15]
	v_mov_b64_e32 v[10:11], s[26:27]
	v_subrev_u32_e32 v27, s37, v2
	v_mul_lo_u32 v2, s39, v7
	v_mul_lo_u32 v7, s9, v6
	v_mad_u64_u32 v[10:11], s[0:1], s39, v6, v[10:11]
	v_add3_u32 v11, v7, v11, v2
	s_mov_b32 s75, 0
	v_mov_b64_e32 v[6:7], 0
	s_mov_b32 s76, s17
	s_branch .LBB76_8
.LBB76_7:                               ;   in Loop: Header=BB76_8 Depth=2
	s_add_i32 s75, s75, 1
	s_add_i32 s76, s76, s20
	s_cmp_eq_u32 s75, s38
	v_lshl_add_u64 v[10:11], v[10:11], 0, s[54:55]
	s_cbranch_scc1 .LBB76_19
.LBB76_8:                               ;   Parent Loop BB76_3 Depth=1
                                        ; =>  This Loop Header: Depth=2
                                        ;       Child Loop BB76_11 Depth 3
                                        ;         Child Loop BB76_14 Depth 4
                                        ;           Child Loop BB76_17 Depth 5
	s_andn2_b64 vcc, exec, s[42:43]
	s_cbranch_vccnz .LBB76_7
; %bb.9:                                ;   in Loop: Header=BB76_8 Depth=2
	s_mul_i32 s0, s64, s76
	s_mul_hi_u32 s1, s65, s76
	s_add_i32 s3, s1, s0
	s_mul_i32 s0, s75, s20
	s_add_i32 s4, s0, s17
	s_cmp_lt_i32 s4, 0
	s_cselect_b64 s[0:1], -1, 0
	s_cmp_ge_i32 s4, s8
	s_cselect_b64 s[4:5], -1, 0
	s_mul_i32 s2, s65, s76
	s_mov_b32 s77, 0
	s_or_b64 s[4:5], s[0:1], s[4:5]
	v_mov_b64_e32 v[12:13], v[10:11]
	v_mov_b32_e32 v14, v9
	s_branch .LBB76_11
.LBB76_10:                              ;   in Loop: Header=BB76_11 Depth=3
	s_add_i32 s77, s77, 1
	v_add_u32_e32 v14, s21, v14
	s_cmp_eq_u32 s77, s69
	v_lshl_add_u64 v[12:13], v[12:13], 0, s[56:57]
	s_cbranch_scc1 .LBB76_7
.LBB76_11:                              ;   Parent Loop BB76_3 Depth=1
                                        ;     Parent Loop BB76_8 Depth=2
                                        ; =>    This Loop Header: Depth=3
                                        ;         Child Loop BB76_14 Depth 4
                                        ;           Child Loop BB76_17 Depth 5
	s_andn2_b64 vcc, exec, s[44:45]
	s_cbranch_vccnz .LBB76_10
; %bb.12:                               ;   in Loop: Header=BB76_11 Depth=3
	v_mov_b32_e32 v15, v3
	v_lshl_add_u64 v[16:17], s[2:3], 0, v[14:15]
	v_mul_lo_u32 v2, s66, v16
	v_mul_lo_u32 v15, s10, v17
	v_mad_u64_u32 v[16:17], s[0:1], s10, v16, 0
	s_mul_i32 s0, s77, s21
	v_add3_u32 v17, v17, v15, v2
	v_add_u32_e32 v2, s0, v9
	v_cmp_gt_i32_e32 vcc, 0, v2
	v_cmp_le_i32_e64 s[0:1], s65, v2
	s_mov_b32 s78, 0
	s_or_b64 s[60:61], vcc, s[0:1]
	v_mov_b64_e32 v[18:19], v[12:13]
	v_mov_b32_e32 v2, v27
	s_branch .LBB76_14
.LBB76_13:                              ;   in Loop: Header=BB76_14 Depth=4
	s_add_i32 s78, s78, 1
	v_add_u32_e32 v2, s22, v2
	s_cmp_eq_u32 s78, s6
	v_lshl_add_u64 v[18:19], v[18:19], 0, s[58:59]
	s_cbranch_scc1 .LBB76_10
.LBB76_14:                              ;   Parent Loop BB76_3 Depth=1
                                        ;     Parent Loop BB76_8 Depth=2
                                        ;       Parent Loop BB76_11 Depth=3
                                        ; =>      This Loop Header: Depth=4
                                        ;           Child Loop BB76_17 Depth 5
	s_andn2_b64 vcc, exec, s[46:47]
	s_cbranch_vccnz .LBB76_13
; %bb.15:                               ;   in Loop: Header=BB76_14 Depth=4
	v_lshl_add_u64 v[20:21], v[16:17], 0, v[2:3]
	v_lshl_add_u64 v[20:21], v[20:21], 1, s[52:53]
	v_mov_b64_e32 v[22:23], s[24:25]
	v_mul_lo_u32 v15, s7, v21
	v_mul_lo_u32 v28, s67, v20
	v_mad_u64_u32 v[20:21], s[0:1], s7, v20, v[22:23]
	s_mul_i32 s0, s78, s22
	v_add3_u32 v21, v28, v21, v15
	v_add_u32_e32 v15, s0, v27
	v_cmp_gt_i32_e32 vcc, 0, v15
	v_cmp_le_i32_e64 s[0:1], s10, v15
	s_or_b64 s[0:1], vcc, s[0:1]
	s_or_b64 s[0:1], s[4:5], s[0:1]
	s_or_b64 s[0:1], s[60:61], s[0:1]
	s_xor_b64 s[0:1], s[0:1], -1
	v_mov_b64_e32 v[22:23], v[18:19]
	s_mov_b32 s79, s13
	s_branch .LBB76_17
.LBB76_16:                              ;   in Loop: Header=BB76_17 Depth=5
	s_or_b64 exec, exec, s[62:63]
	s_add_i32 s79, s79, -1
	v_lshl_add_u64 v[20:21], v[20:21], 0, 2
	s_cmp_eq_u32 s79, 0
	v_lshl_add_u64 v[22:23], v[22:23], 0, 2
	s_cbranch_scc1 .LBB76_13
.LBB76_17:                              ;   Parent Loop BB76_3 Depth=1
                                        ;     Parent Loop BB76_8 Depth=2
                                        ;       Parent Loop BB76_11 Depth=3
                                        ;         Parent Loop BB76_14 Depth=4
                                        ; =>        This Inner Loop Header: Depth=5
	s_and_saveexec_b64 s[62:63], s[0:1]
	s_cbranch_execz .LBB76_16
; %bb.18:                               ;   in Loop: Header=BB76_17 Depth=5
	global_load_ushort v15, v[20:21], off
	global_load_ushort v28, v[22:23], off
	s_waitcnt vmcnt(1)
	v_cvt_f32_f16_e32 v15, v15
	s_waitcnt vmcnt(0)
	v_cvt_f32_f16_e32 v30, v28
	v_cvt_f64_f32_e32 v[28:29], v15
	v_cvt_f64_f32_e32 v[30:31], v30
	v_fmac_f64_e32 v[6:7], v[28:29], v[30:31]
	s_branch .LBB76_16
.LBB76_19:                              ;   in Loop: Header=BB76_3 Depth=1
	v_ashrrev_i32_e32 v9, 31, v8
	v_mad_i64_i32 v[8:9], s[0:1], v26, s16, v[8:9]
	v_mul_lo_u32 v2, v8, s68
	v_mul_lo_u32 v9, v9, s33
	v_mad_u64_u32 v[4:5], s[0:1], v8, s33, v[4:5]
	v_add3_u32 v5, v9, v5, v2
	s_mov_b64 s[0:1], -1
	s_and_b64 vcc, exec, s[50:51]
	s_cbranch_vccz .LBB76_21
; %bb.20:                               ;   in Loop: Header=BB76_3 Depth=1
	v_lshl_add_u64 v[8:9], v[4:5], 1, s[34:35]
	global_load_ushort v2, v[8:9], off
	s_mov_b64 s[0:1], 0
	s_waitcnt vmcnt(0)
	v_cvt_f32_f16_e32 v2, v2
	v_cvt_f64_f32_e32 v[10:11], v2
	v_mul_f64 v[10:11], v[10:11], s[30:31]
	v_fmac_f64_e32 v[10:11], s[28:29], v[6:7]
	v_cvt_f32_f64_e32 v2, v[10:11]
	v_cvt_f16_f32_e32 v2, v2
	global_store_short v[8:9], v2, off
.LBB76_21:                              ;   in Loop: Header=BB76_3 Depth=1
	s_andn2_b64 vcc, exec, s[0:1]
	s_cbranch_vccnz .LBB76_2
; %bb.22:                               ;   in Loop: Header=BB76_3 Depth=1
	v_cvt_f32_f64_e32 v2, v[6:7]
	v_cvt_f16_f32_e32 v2, v2
	v_lshl_add_u64 v[4:5], v[4:5], 1, s[34:35]
	global_store_short v[4:5], v2, off
	s_branch .LBB76_2
.LBB76_23:
	s_endpgm
	.section	.rodata,"a",@progbits
	.p2align	6, 0x0
	.amdhsa_kernel naive_conv_ab_packed_fwd_ndhwc_half_double_half_0
		.amdhsa_group_segment_fixed_size 0
		.amdhsa_private_segment_fixed_size 0
		.amdhsa_kernarg_size 528
		.amdhsa_user_sgpr_count 2
		.amdhsa_user_sgpr_dispatch_ptr 0
		.amdhsa_user_sgpr_queue_ptr 0
		.amdhsa_user_sgpr_kernarg_segment_ptr 1
		.amdhsa_user_sgpr_dispatch_id 0
		.amdhsa_user_sgpr_kernarg_preload_length 0
		.amdhsa_user_sgpr_kernarg_preload_offset 0
		.amdhsa_user_sgpr_private_segment_size 0
		.amdhsa_uses_dynamic_stack 0
		.amdhsa_enable_private_segment 0
		.amdhsa_system_sgpr_workgroup_id_x 1
		.amdhsa_system_sgpr_workgroup_id_y 0
		.amdhsa_system_sgpr_workgroup_id_z 0
		.amdhsa_system_sgpr_workgroup_info 0
		.amdhsa_system_vgpr_workitem_id 0
		.amdhsa_next_free_vgpr 32
		.amdhsa_next_free_sgpr 80
		.amdhsa_accum_offset 32
		.amdhsa_reserve_vcc 1
		.amdhsa_float_round_mode_32 0
		.amdhsa_float_round_mode_16_64 0
		.amdhsa_float_denorm_mode_32 3
		.amdhsa_float_denorm_mode_16_64 3
		.amdhsa_dx10_clamp 1
		.amdhsa_ieee_mode 1
		.amdhsa_fp16_overflow 0
		.amdhsa_tg_split 0
		.amdhsa_exception_fp_ieee_invalid_op 0
		.amdhsa_exception_fp_denorm_src 0
		.amdhsa_exception_fp_ieee_div_zero 0
		.amdhsa_exception_fp_ieee_overflow 0
		.amdhsa_exception_fp_ieee_underflow 0
		.amdhsa_exception_fp_ieee_inexact 0
		.amdhsa_exception_int_div_zero 0
	.end_amdhsa_kernel
	.text
.Lfunc_end76:
	.size	naive_conv_ab_packed_fwd_ndhwc_half_double_half_0, .Lfunc_end76-naive_conv_ab_packed_fwd_ndhwc_half_double_half_0
                                        ; -- End function
	.section	.AMDGPU.csdata,"",@progbits
; Kernel info:
; codeLenInByte = 1932
; NumSgprs: 86
; NumVgprs: 32
; NumAgprs: 0
; TotalNumVgprs: 32
; ScratchSize: 0
; MemoryBound: 0
; FloatMode: 240
; IeeeMode: 1
; LDSByteSize: 0 bytes/workgroup (compile time only)
; SGPRBlocks: 10
; VGPRBlocks: 3
; NumSGPRsForWavesPerEU: 86
; NumVGPRsForWavesPerEU: 32
; AccumOffset: 32
; Occupancy: 8
; WaveLimiterHint : 1
; COMPUTE_PGM_RSRC2:SCRATCH_EN: 0
; COMPUTE_PGM_RSRC2:USER_SGPR: 2
; COMPUTE_PGM_RSRC2:TRAP_HANDLER: 0
; COMPUTE_PGM_RSRC2:TGID_X_EN: 1
; COMPUTE_PGM_RSRC2:TGID_Y_EN: 0
; COMPUTE_PGM_RSRC2:TGID_Z_EN: 0
; COMPUTE_PGM_RSRC2:TIDIG_COMP_CNT: 0
; COMPUTE_PGM_RSRC3_GFX90A:ACCUM_OFFSET: 7
; COMPUTE_PGM_RSRC3_GFX90A:TG_SPLIT: 0
	.text
	.protected	naive_conv_ab_nonpacked_fwd_ndhwc_half_double_half_0 ; -- Begin function naive_conv_ab_nonpacked_fwd_ndhwc_half_double_half_0
	.globl	naive_conv_ab_nonpacked_fwd_ndhwc_half_double_half_0
	.p2align	8
	.type	naive_conv_ab_nonpacked_fwd_ndhwc_half_double_half_0,@function
naive_conv_ab_nonpacked_fwd_ndhwc_half_double_half_0: ; @naive_conv_ab_nonpacked_fwd_ndhwc_half_double_half_0
; %bb.0:
	s_load_dwordx16 s[8:23], s[0:1], 0xb8
	s_abs_i32 s6, s2
	s_waitcnt lgkmcnt(0)
	s_abs_i32 s3, s14
	v_cvt_f32_u32_e32 v1, s3
	s_sub_i32 s4, 0, s3
	s_mul_i32 s34, s14, s11
	v_rcp_iflag_f32_e32 v1, v1
	s_nop 0
	v_mul_f32_e32 v1, 0x4f7ffffe, v1
	v_cvt_u32_f32_e32 v1, v1
	s_nop 0
	v_readfirstlane_b32 s5, v1
	s_mul_i32 s4, s4, s5
	s_mul_hi_u32 s4, s5, s4
	s_add_i32 s5, s5, s4
	s_mul_hi_u32 s4, s6, s5
	s_mul_i32 s5, s4, s3
	s_sub_i32 s5, s6, s5
	s_add_i32 s7, s4, 1
	s_sub_i32 s24, s5, s3
	s_cmp_ge_u32 s5, s3
	s_cselect_b32 s4, s7, s4
	s_cselect_b32 s5, s24, s5
	s_add_i32 s7, s4, 1
	s_cmp_ge_u32 s5, s3
	s_cselect_b32 s35, s7, s4
	s_abs_i32 s33, s11
	s_abs_i32 s7, s34
	v_cvt_f32_u32_e32 v1, s33
	v_cvt_f32_u32_e32 v2, s7
	s_mul_i32 s3, s16, s12
	s_mul_i32 s11, s3, s15
	v_rcp_iflag_f32_e32 v1, v1
	v_rcp_iflag_f32_e32 v2, v2
	v_cmp_gt_i32_e32 vcc, s11, v0
	v_mul_f32_e32 v1, 0x4f7ffffe, v1
	v_mul_f32_e32 v2, 0x4f7ffffe, v2
	v_cvt_u32_f32_e32 v1, v1
	v_cvt_u32_f32_e32 v2, v2
	v_readfirstlane_b32 s36, v1
	v_readfirstlane_b32 s15, v2
	s_and_saveexec_b64 s[4:5], vcc
	s_cbranch_execz .LBB77_23
; %bb.1:
	s_ashr_i32 s56, s2, 31
	s_ashr_i32 s37, s14, 31
	s_xor_b32 s37, s56, s37
	s_xor_b32 s35, s35, s37
	s_sub_i32 s35, s35, s37
	s_sub_i32 s37, 0, s33
	s_mul_i32 s37, s37, s36
	s_mul_hi_u32 s37, s36, s37
	s_abs_i32 s58, s35
	s_add_i32 s36, s36, s37
	s_mul_hi_u32 s59, s58, s36
	s_sub_i32 s36, 0, s7
	s_mul_i32 s36, s36, s15
	s_mul_i32 s59, s59, s33
	s_ashr_i32 s57, s35, 31
	s_mul_hi_u32 s36, s15, s36
	s_mul_i32 s35, s35, s14
	s_sub_i32 s14, s58, s59
	s_ashr_i32 s34, s34, 31
	s_add_i32 s15, s15, s36
	s_sub_i32 s2, s2, s35
	s_sub_i32 s35, s14, s33
	s_cmp_ge_u32 s14, s33
	s_cselect_b32 s14, s35, s14
	s_sub_i32 s35, s14, s33
	s_mul_hi_u32 s15, s6, s15
	s_cmp_ge_u32 s14, s33
	s_cselect_b32 s14, s35, s14
	s_mul_i32 s33, s15, s7
	s_xor_b32 s14, s14, s57
	s_sub_i32 s6, s6, s33
	s_sub_i32 s82, s14, s57
	s_xor_b32 s14, s56, s34
	s_add_i32 s33, s15, 1
	s_sub_i32 s34, s6, s7
	s_cmp_ge_u32 s6, s7
	s_cselect_b32 s15, s33, s15
	s_load_dwordx8 s[24:31], s[0:1], 0x0
	s_load_dwordx2 s[4:5], s[0:1], 0x20
	s_load_dwordx16 s[36:51], s[0:1], 0x68
	s_load_dwordx4 s[68:71], s[0:1], 0xf8
	s_load_dwordx4 s[52:55], s[0:1], 0xa8
	s_cselect_b32 s6, s34, s6
	s_add_i32 s33, s15, 1
	s_cmp_ge_u32 s6, s7
	s_cselect_b32 s6, s33, s15
	s_xor_b32 s6, s6, s14
	s_sub_i32 s83, s6, s14
	s_ashr_i32 s84, s82, 31
	s_ashr_i32 s85, s83, 31
	s_waitcnt lgkmcnt(0)
	s_mul_i32 s6, s54, s84
	s_mul_hi_u32 s7, s54, s82
	s_ashr_i32 s14, s2, 31
	s_add_i32 s6, s7, s6
	s_mul_i32 s7, s55, s82
	s_mul_i32 s14, s52, s14
	s_mul_hi_u32 s15, s52, s2
	s_mul_i32 s33, s46, s85
	s_mul_hi_u32 s34, s46, s83
	s_add_i32 s7, s6, s7
	s_mul_i32 s6, s54, s82
	s_add_i32 s14, s15, s14
	s_mul_i32 s15, s53, s2
	;; [unrolled: 2-line block ×3, first 2 shown]
	s_add_i32 s15, s14, s15
	s_add_i32 s35, s33, s34
	s_lshl_b64 s[6:7], s[6:7], 1
	s_mul_i32 s14, s52, s2
	s_add_u32 s6, s4, s6
	s_addc_u32 s7, s5, s7
	s_lshl_b64 s[4:5], s[14:15], 1
	s_mul_i32 s34, s46, s83
	s_add_u32 s6, s6, s4
	s_addc_u32 s7, s7, s5
	s_lshl_b64 s[4:5], s[34:35], 1
	s_add_u32 s6, s6, s4
	s_load_dword s33, s[0:1], 0x108
	s_addc_u32 s7, s7, s5
	s_cmp_lt_i32 s70, 1
	s_mul_i32 s2, s2, s17
	s_cselect_b64 s[14:15], -1, 0
	s_sub_i32 s23, s2, s23
	s_load_dword s2, s[0:1], 0x11c
	s_cmp_gt_i32 s71, 0
	s_cselect_b64 s[34:35], -1, 0
	s_waitcnt lgkmcnt(0)
	s_cmp_gt_i32 s33, 0
	s_cselect_b64 s[46:47], -1, 0
	s_cmp_gt_i32 s13, 0
	s_cselect_b64 s[72:73], -1, 0
	s_abs_i32 s78, s12
	s_abs_i32 s79, s16
	v_cvt_f32_u32_e32 v1, s78
	s_abs_i32 s81, s3
	v_cvt_f32_u32_e32 v3, s79
	v_cvt_f32_u32_e32 v5, s81
	v_cmp_neq_f64_e64 s[4:5], s[28:29], 1.0
	v_cmp_neq_f64_e64 s[52:53], s[30:31], 0
	v_rcp_iflag_f32_e32 v1, v1
	s_or_b64 s[74:75], s[4:5], s[52:53]
	s_and_b32 s76, s2, 0xffff
	s_ashr_i32 s80, s3, 31
	s_mul_i32 s2, s42, s85
	s_mul_hi_u32 s3, s42, s83
	s_load_dwordx16 s[52:67], s[0:1], 0x28
	v_rcp_iflag_f32_e32 v3, v3
	s_add_i32 s2, s3, s2
	s_mul_i32 s3, s43, s83
	v_rcp_iflag_f32_e32 v5, v5
	s_add_i32 s3, s2, s3
	s_mul_i32 s2, s42, s83
	s_ashr_i32 s77, s12, 31
	s_sub_i32 s4, 0, s78
	s_sub_i32 s5, 0, s79
	s_sub_i32 s86, 0, s81
	s_lshl_b64 s[2:3], s[2:3], 1
	v_mul_f32_e32 v1, 0x4f7ffffe, v1
	s_add_u32 s16, s26, s2
	v_cvt_u32_f32_e32 v1, v1
	v_mul_f32_e32 v3, 0x4f7ffffe, v3
	s_addc_u32 s17, s27, s3
	s_waitcnt lgkmcnt(0)
	s_mul_i32 s0, s54, s85
	s_mul_hi_u32 s1, s54, s83
	s_mul_i32 s2, s62, s84
	s_mul_hi_u32 s3, s62, s82
	v_cvt_u32_f32_e32 v3, v3
	v_mul_f32_e32 v5, 0x4f7ffffe, v5
	s_add_i32 s0, s1, s0
	s_mul_i32 s1, s55, s83
	s_add_i32 s2, s3, s2
	s_mul_i32 s3, s63, s82
	v_cvt_u32_f32_e32 v5, v5
	s_add_i32 s1, s0, s1
	s_mul_i32 s0, s54, s83
	s_add_i32 s3, s2, s3
	s_mul_i32 s2, s62, s82
	s_lshl_b64 s[0:1], s[0:1], 1
	s_lshl_b64 s[2:3], s[2:3], 1
	;; [unrolled: 1-line block ×7, first 2 shown]
	v_mul_lo_u32 v2, s4, v1
	s_add_u32 s0, s0, s2
	v_mul_lo_u32 v4, s5, v3
	v_mul_hi_u32 v2, v1, v2
	s_addc_u32 s1, s1, s3
	v_mul_lo_u32 v6, s86, v5
	v_add_u32_e32 v1, v1, v2
	v_mul_hi_u32 v2, v3, v4
	s_add_u32 s64, s24, s0
	v_add_u32_e32 v3, v3, v2
	v_mul_hi_u32 v2, v5, v6
	s_addc_u32 s65, s25, s1
	s_lshl_b64 s[24:25], s[60:61], 1
	s_lshl_b64 s[54:55], s[58:59], 1
	;; [unrolled: 1-line block ×4, first 2 shown]
	v_add_u32_e32 v20, v5, v2
	s_mov_b64 s[58:59], 0
	s_branch .LBB77_3
.LBB77_2:                               ;   in Loop: Header=BB77_3 Depth=1
	v_add_u32_e32 v0, s76, v0
	v_cmp_le_i32_e32 vcc, s11, v0
	s_or_b64 s[58:59], vcc, s[58:59]
	s_andn2_b64 exec, exec, s[58:59]
	s_cbranch_execz .LBB77_23
.LBB77_3:                               ; =>This Loop Header: Depth=1
                                        ;     Child Loop BB77_8 Depth 2
                                        ;       Child Loop BB77_11 Depth 3
                                        ;         Child Loop BB77_14 Depth 4
                                        ;           Child Loop BB77_17 Depth 5
	v_sub_u32_e32 v4, 0, v0
	v_max_i32_e32 v4, v0, v4
	v_mul_hi_u32 v5, v4, v1
	v_mul_lo_u32 v7, v5, s78
	v_sub_u32_e32 v7, v4, v7
	v_add_u32_e32 v8, 1, v5
	v_cmp_le_u32_e32 vcc, s78, v7
	v_ashrrev_i32_e32 v6, 31, v0
	v_xor_b32_e32 v2, s77, v6
	v_cndmask_b32_e32 v5, v5, v8, vcc
	v_subrev_u32_e32 v8, s78, v7
	v_cndmask_b32_e32 v7, v7, v8, vcc
	v_add_u32_e32 v8, 1, v5
	v_cmp_le_u32_e32 vcc, s78, v7
	s_mov_b64 s[62:63], -1
                                        ; implicit-def: $sgpr60_sgpr61
	s_nop 0
	v_cndmask_b32_e32 v5, v5, v8, vcc
	v_xor_b32_e32 v5, v5, v2
	v_sub_u32_e32 v7, v5, v2
	v_sub_u32_e32 v5, 0, v7
	v_max_i32_e32 v5, v7, v5
	v_mul_hi_u32 v8, v5, v3
	v_mul_lo_u32 v8, v8, s79
	v_sub_u32_e32 v5, v5, v8
	v_subrev_u32_e32 v8, s79, v5
	v_cmp_le_u32_e32 vcc, s79, v5
	v_mul_lo_u32 v2, v7, s12
	v_sub_u32_e32 v2, v0, v2
	v_cndmask_b32_e32 v9, v5, v8, vcc
	v_mul_hi_u32 v8, v4, v20
	v_mul_lo_u32 v5, v8, s81
	v_sub_u32_e32 v4, v4, v5
	v_subrev_u32_e32 v5, s81, v4
	v_cmp_le_u32_e64 s[2:3], s81, v4
	v_cmp_le_u32_e64 s[0:1], s79, v9
	s_andn2_b64 vcc, exec, s[14:15]
	v_cndmask_b32_e64 v4, v4, v5, s[2:3]
	v_cmp_le_u32_e64 s[4:5], s81, v4
                                        ; implicit-def: $vgpr4_vgpr5
	s_cbranch_vccnz .LBB77_5
; %bb.4:                                ;   in Loop: Header=BB77_3 Depth=1
	v_ashrrev_i32_e32 v5, 31, v2
	s_mov_b64 s[62:63], 0
	s_mov_b64 s[60:61], 0
.LBB77_5:                               ;   in Loop: Header=BB77_3 Depth=1
	v_ashrrev_i32_e32 v4, 31, v7
	v_subrev_u32_e32 v7, s79, v9
	v_cndmask_b32_e64 v7, v9, v7, s[0:1]
	v_xor_b32_e32 v7, v7, v4
	v_sub_u32_e32 v4, v7, v4
	v_add_u32_e32 v7, 1, v8
	v_cndmask_b32_e64 v7, v8, v7, s[2:3]
	v_add_u32_e32 v8, 1, v7
	v_xor_b32_e32 v6, s80, v6
	v_cndmask_b32_e64 v7, v7, v8, s[4:5]
	v_xor_b32_e32 v7, v7, v6
	v_sub_u32_e32 v21, v7, v6
	s_andn2_b64 vcc, exec, s[62:63]
	v_mov_b64_e32 v[6:7], s[60:61]
	s_cbranch_vccnz .LBB77_19
; %bb.6:                                ;   in Loop: Header=BB77_3 Depth=1
	v_mul_lo_u32 v5, v21, s18
	v_subrev_u32_e32 v22, s68, v5
	v_mul_lo_u32 v5, v4, s19
	v_subrev_u32_e32 v23, s69, v5
	v_ashrrev_i32_e32 v5, 31, v2
	v_mov_b64_e32 v[6:7], s[16:17]
	v_mad_u64_u32 v[8:9], s[0:1], s26, v2, v[6:7]
	v_mul_lo_u32 v6, s27, v2
	v_mul_lo_u32 v7, s26, v5
	v_add3_u32 v9, v6, v9, v7
	s_mov_b32 s66, 0
	v_mov_b64_e32 v[6:7], 0
	s_mov_b32 s67, s23
	s_branch .LBB77_8
.LBB77_7:                               ;   in Loop: Header=BB77_8 Depth=2
	s_add_i32 s66, s66, 1
	s_add_i32 s67, s67, s20
	s_cmp_eq_u32 s66, s70
	v_lshl_add_u64 v[8:9], v[8:9], 0, s[38:39]
	s_cbranch_scc1 .LBB77_19
.LBB77_8:                               ;   Parent Loop BB77_3 Depth=1
                                        ; =>  This Loop Header: Depth=2
                                        ;       Child Loop BB77_11 Depth 3
                                        ;         Child Loop BB77_14 Depth 4
                                        ;           Child Loop BB77_17 Depth 5
	s_andn2_b64 vcc, exec, s[34:35]
	s_cbranch_vccnz .LBB77_7
; %bb.9:                                ;   in Loop: Header=BB77_8 Depth=2
	s_mul_i32 s0, s25, s67
	s_mul_hi_u32 s1, s24, s67
	s_add_i32 s5, s1, s0
	s_mul_i32 s0, s66, s20
	s_add_i32 s2, s0, s23
	s_cmp_lt_i32 s2, 0
	s_cselect_b64 s[0:1], -1, 0
	s_cmp_ge_i32 s2, s8
	s_cselect_b64 s[2:3], -1, 0
	s_mul_i32 s4, s24, s67
	s_or_b64 s[2:3], s[0:1], s[2:3]
	s_add_u32 s4, s64, s4
	s_mov_b32 s82, 0
	s_addc_u32 s5, s65, s5
	v_mov_b32_e32 v24, v22
	v_mov_b64_e32 v[10:11], v[8:9]
	s_branch .LBB77_11
.LBB77_10:                              ;   in Loop: Header=BB77_11 Depth=3
	s_add_i32 s82, s82, 1
	v_lshl_add_u64 v[10:11], v[10:11], 0, s[36:37]
	s_cmp_eq_u32 s82, s71
	v_add_u32_e32 v24, s21, v24
	s_cbranch_scc1 .LBB77_7
.LBB77_11:                              ;   Parent Loop BB77_3 Depth=1
                                        ;     Parent Loop BB77_8 Depth=2
                                        ; =>    This Loop Header: Depth=3
                                        ;         Child Loop BB77_14 Depth 4
                                        ;           Child Loop BB77_17 Depth 5
	s_andn2_b64 vcc, exec, s[46:47]
	s_cbranch_vccnz .LBB77_10
; %bb.12:                               ;   in Loop: Header=BB77_11 Depth=3
	s_mul_i32 s0, s82, s21
	v_add_u32_e32 v12, s0, v22
	v_cmp_gt_i32_e32 vcc, 0, v12
	v_cmp_le_i32_e64 s[0:1], s9, v12
	v_mov_b64_e32 v[12:13], s[4:5]
	s_or_b64 s[60:61], vcc, s[0:1]
	v_mad_u64_u32 v[12:13], s[0:1], s54, v24, v[12:13]
	v_mov_b32_e32 v14, v13
	v_mad_u64_u32 v[14:15], s[0:1], s55, v24, v[14:15]
	s_mov_b32 s83, 0
	v_mov_b32_e32 v13, v14
	v_mov_b32_e32 v25, v23
	v_mov_b64_e32 v[14:15], v[10:11]
	s_branch .LBB77_14
.LBB77_13:                              ;   in Loop: Header=BB77_14 Depth=4
	s_add_i32 s83, s83, 1
	v_lshl_add_u64 v[14:15], v[14:15], 0, s[40:41]
	s_cmp_eq_u32 s83, s33
	v_add_u32_e32 v25, s22, v25
	s_cbranch_scc1 .LBB77_10
.LBB77_14:                              ;   Parent Loop BB77_3 Depth=1
                                        ;     Parent Loop BB77_8 Depth=2
                                        ;       Parent Loop BB77_11 Depth=3
                                        ; =>      This Loop Header: Depth=4
                                        ;           Child Loop BB77_17 Depth 5
	s_andn2_b64 vcc, exec, s[72:73]
	s_cbranch_vccnz .LBB77_13
; %bb.15:                               ;   in Loop: Header=BB77_14 Depth=4
	v_mad_u64_u32 v[16:17], s[0:1], s56, v25, v[12:13]
	v_mov_b32_e32 v18, v17
	v_mad_u64_u32 v[18:19], s[0:1], s57, v25, v[18:19]
	s_mul_i32 s0, s83, s22
	v_mov_b32_e32 v17, v18
	v_add_u32_e32 v18, s0, v23
	v_cmp_gt_i32_e32 vcc, 0, v18
	v_cmp_le_i32_e64 s[0:1], s10, v18
	s_or_b64 s[0:1], vcc, s[0:1]
	s_or_b64 s[0:1], s[2:3], s[0:1]
	s_or_b64 s[0:1], s[60:61], s[0:1]
	s_xor_b64 s[0:1], s[0:1], -1
	v_mov_b64_e32 v[18:19], v[14:15]
	s_mov_b32 s84, s13
	s_branch .LBB77_17
.LBB77_16:                              ;   in Loop: Header=BB77_17 Depth=5
	s_or_b64 exec, exec, s[62:63]
	s_add_i32 s84, s84, -1
	v_lshl_add_u64 v[18:19], v[18:19], 0, s[42:43]
	s_cmp_eq_u32 s84, 0
	v_lshl_add_u64 v[16:17], v[16:17], 0, s[52:53]
	s_cbranch_scc1 .LBB77_13
.LBB77_17:                              ;   Parent Loop BB77_3 Depth=1
                                        ;     Parent Loop BB77_8 Depth=2
                                        ;       Parent Loop BB77_11 Depth=3
                                        ;         Parent Loop BB77_14 Depth=4
                                        ; =>        This Inner Loop Header: Depth=5
	s_and_saveexec_b64 s[62:63], s[0:1]
	s_cbranch_execz .LBB77_16
; %bb.18:                               ;   in Loop: Header=BB77_17 Depth=5
	global_load_ushort v26, v[16:17], off
	global_load_ushort v27, v[18:19], off
	s_waitcnt vmcnt(1)
	v_cvt_f32_f16_e32 v26, v26
	s_waitcnt vmcnt(0)
	v_cvt_f32_f16_e32 v28, v27
	v_cvt_f64_f32_e32 v[26:27], v26
	v_cvt_f64_f32_e32 v[28:29], v28
	v_fmac_f64_e32 v[6:7], v[26:27], v[28:29]
	s_branch .LBB77_16
.LBB77_19:                              ;   in Loop: Header=BB77_3 Depth=1
	v_ashrrev_i32_e32 v8, 31, v4
	v_mul_lo_u32 v11, s49, v4
	v_mul_lo_u32 v12, s48, v8
	v_mad_u64_u32 v[8:9], s[0:1], s48, v4, 0
	v_ashrrev_i32_e32 v10, 31, v21
	v_add3_u32 v9, v9, v12, v11
	v_mad_u64_u32 v[8:9], s[0:1], s50, v21, v[8:9]
	v_mul_lo_u32 v4, s51, v21
	v_mul_lo_u32 v10, s50, v10
	v_add3_u32 v9, v4, v9, v10
	v_mad_u64_u32 v[8:9], s[0:1], v2, s44, v[8:9]
	v_mul_lo_u32 v2, v2, s45
	v_mul_lo_u32 v4, v5, s44
	v_add3_u32 v9, v4, v9, v2
	s_mov_b64 s[0:1], -1
	s_and_b64 vcc, exec, s[74:75]
	s_cbranch_vccz .LBB77_21
; %bb.20:                               ;   in Loop: Header=BB77_3 Depth=1
	v_lshl_add_u64 v[4:5], v[8:9], 1, s[6:7]
	global_load_ushort v2, v[4:5], off
	s_mov_b64 s[0:1], 0
	s_waitcnt vmcnt(0)
	v_cvt_f32_f16_e32 v2, v2
	v_cvt_f64_f32_e32 v[10:11], v2
	v_mul_f64 v[10:11], v[10:11], s[30:31]
	v_fmac_f64_e32 v[10:11], s[28:29], v[6:7]
	v_cvt_f32_f64_e32 v2, v[10:11]
	v_cvt_f16_f32_e32 v2, v2
	global_store_short v[4:5], v2, off
.LBB77_21:                              ;   in Loop: Header=BB77_3 Depth=1
	s_andn2_b64 vcc, exec, s[0:1]
	s_cbranch_vccnz .LBB77_2
; %bb.22:                               ;   in Loop: Header=BB77_3 Depth=1
	v_cvt_f32_f64_e32 v2, v[6:7]
	v_cvt_f16_f32_e32 v2, v2
	v_lshl_add_u64 v[4:5], v[8:9], 1, s[6:7]
	global_store_short v[4:5], v2, off
	s_branch .LBB77_2
.LBB77_23:
	s_endpgm
	.section	.rodata,"a",@progbits
	.p2align	6, 0x0
	.amdhsa_kernel naive_conv_ab_nonpacked_fwd_ndhwc_half_double_half_0
		.amdhsa_group_segment_fixed_size 0
		.amdhsa_private_segment_fixed_size 0
		.amdhsa_kernarg_size 528
		.amdhsa_user_sgpr_count 2
		.amdhsa_user_sgpr_dispatch_ptr 0
		.amdhsa_user_sgpr_queue_ptr 0
		.amdhsa_user_sgpr_kernarg_segment_ptr 1
		.amdhsa_user_sgpr_dispatch_id 0
		.amdhsa_user_sgpr_kernarg_preload_length 0
		.amdhsa_user_sgpr_kernarg_preload_offset 0
		.amdhsa_user_sgpr_private_segment_size 0
		.amdhsa_uses_dynamic_stack 0
		.amdhsa_enable_private_segment 0
		.amdhsa_system_sgpr_workgroup_id_x 1
		.amdhsa_system_sgpr_workgroup_id_y 0
		.amdhsa_system_sgpr_workgroup_id_z 0
		.amdhsa_system_sgpr_workgroup_info 0
		.amdhsa_system_vgpr_workitem_id 0
		.amdhsa_next_free_vgpr 30
		.amdhsa_next_free_sgpr 87
		.amdhsa_accum_offset 32
		.amdhsa_reserve_vcc 1
		.amdhsa_float_round_mode_32 0
		.amdhsa_float_round_mode_16_64 0
		.amdhsa_float_denorm_mode_32 3
		.amdhsa_float_denorm_mode_16_64 3
		.amdhsa_dx10_clamp 1
		.amdhsa_ieee_mode 1
		.amdhsa_fp16_overflow 0
		.amdhsa_tg_split 0
		.amdhsa_exception_fp_ieee_invalid_op 0
		.amdhsa_exception_fp_denorm_src 0
		.amdhsa_exception_fp_ieee_div_zero 0
		.amdhsa_exception_fp_ieee_overflow 0
		.amdhsa_exception_fp_ieee_underflow 0
		.amdhsa_exception_fp_ieee_inexact 0
		.amdhsa_exception_int_div_zero 0
	.end_amdhsa_kernel
	.text
.Lfunc_end77:
	.size	naive_conv_ab_nonpacked_fwd_ndhwc_half_double_half_0, .Lfunc_end77-naive_conv_ab_nonpacked_fwd_ndhwc_half_double_half_0
                                        ; -- End function
	.section	.AMDGPU.csdata,"",@progbits
; Kernel info:
; codeLenInByte = 1924
; NumSgprs: 93
; NumVgprs: 30
; NumAgprs: 0
; TotalNumVgprs: 30
; ScratchSize: 0
; MemoryBound: 0
; FloatMode: 240
; IeeeMode: 1
; LDSByteSize: 0 bytes/workgroup (compile time only)
; SGPRBlocks: 11
; VGPRBlocks: 3
; NumSGPRsForWavesPerEU: 93
; NumVGPRsForWavesPerEU: 30
; AccumOffset: 32
; Occupancy: 8
; WaveLimiterHint : 1
; COMPUTE_PGM_RSRC2:SCRATCH_EN: 0
; COMPUTE_PGM_RSRC2:USER_SGPR: 2
; COMPUTE_PGM_RSRC2:TRAP_HANDLER: 0
; COMPUTE_PGM_RSRC2:TGID_X_EN: 1
; COMPUTE_PGM_RSRC2:TGID_Y_EN: 0
; COMPUTE_PGM_RSRC2:TGID_Z_EN: 0
; COMPUTE_PGM_RSRC2:TIDIG_COMP_CNT: 0
; COMPUTE_PGM_RSRC3_GFX90A:ACCUM_OFFSET: 7
; COMPUTE_PGM_RSRC3_GFX90A:TG_SPLIT: 0
	.text
	.protected	naive_conv_ab_packed_fwd_ndhwc_ushort_double_ushort_0 ; -- Begin function naive_conv_ab_packed_fwd_ndhwc_ushort_double_ushort_0
	.globl	naive_conv_ab_packed_fwd_ndhwc_ushort_double_ushort_0
	.p2align	8
	.type	naive_conv_ab_packed_fwd_ndhwc_ushort_double_ushort_0,@function
naive_conv_ab_packed_fwd_ndhwc_ushort_double_ushort_0: ; @naive_conv_ab_packed_fwd_ndhwc_ushort_double_ushort_0
; %bb.0:
	s_load_dwordx16 s[8:23], s[0:1], 0xb8
	s_abs_i32 s34, s2
	s_waitcnt lgkmcnt(0)
	s_abs_i32 s3, s14
	v_cvt_f32_u32_e32 v1, s3
	s_sub_i32 s5, 0, s3
	s_mul_i32 s4, s14, s11
	v_rcp_iflag_f32_e32 v1, v1
	s_nop 0
	v_mul_f32_e32 v1, 0x4f7ffffe, v1
	v_cvt_u32_f32_e32 v1, v1
	s_nop 0
	v_readfirstlane_b32 s6, v1
	s_mul_i32 s5, s5, s6
	s_mul_hi_u32 s5, s6, s5
	s_add_i32 s6, s6, s5
	s_mul_hi_u32 s5, s34, s6
	s_mul_i32 s6, s5, s3
	s_sub_i32 s6, s34, s6
	s_add_i32 s7, s5, 1
	s_sub_i32 s24, s6, s3
	s_cmp_ge_u32 s6, s3
	s_cselect_b32 s5, s7, s5
	s_cselect_b32 s6, s24, s6
	s_add_i32 s7, s5, 1
	s_cmp_ge_u32 s6, s3
	s_cselect_b32 s5, s7, s5
	s_abs_i32 s40, s11
	s_abs_i32 s35, s4
	v_cvt_f32_u32_e32 v1, s40
	v_cvt_f32_u32_e32 v2, s35
	s_mul_i32 s3, s16, s12
	s_mul_i32 s11, s3, s15
	v_rcp_iflag_f32_e32 v1, v1
	v_rcp_iflag_f32_e32 v2, v2
	v_cmp_gt_i32_e32 vcc, s11, v0
	v_mul_f32_e32 v1, 0x4f7ffffe, v1
	v_mul_f32_e32 v2, 0x4f7ffffe, v2
	v_cvt_u32_f32_e32 v1, v1
	v_cvt_u32_f32_e32 v2, v2
	v_readfirstlane_b32 s7, v1
	v_readfirstlane_b32 s6, v2
	s_and_saveexec_b64 s[24:25], vcc
	s_cbranch_execz .LBB78_23
; %bb.1:
	s_ashr_i32 s41, s2, 31
	s_ashr_i32 s33, s14, 31
	s_xor_b32 s33, s41, s33
	s_xor_b32 s5, s5, s33
	s_sub_i32 s42, s5, s33
	s_sub_i32 s5, 0, s40
	s_mul_i32 s5, s5, s7
	s_mul_hi_u32 s5, s7, s5
	s_ashr_i32 s46, s4, 31
	s_sub_i32 s4, 0, s35
	s_abs_i32 s44, s42
	s_add_i32 s7, s7, s5
	s_mul_i32 s4, s4, s6
	s_mul_hi_u32 s45, s44, s7
	s_mul_hi_u32 s4, s6, s4
	s_add_i32 s4, s6, s4
	s_mul_i32 s45, s45, s40
	s_load_dwordx8 s[24:31], s[0:1], 0x0
	s_ashr_i32 s43, s42, 31
	s_load_dwordx2 s[6:7], s[0:1], 0x108
	s_mul_hi_u32 s47, s34, s4
	s_load_dwordx2 s[4:5], s[0:1], 0x20
	s_load_dwordx4 s[36:39], s[0:1], 0xf8
	s_load_dword s52, s[0:1], 0x11c
	s_mul_i32 s42, s42, s14
	s_sub_i32 s0, s44, s45
	s_sub_i32 s2, s2, s42
	s_sub_i32 s1, s0, s40
	s_cmp_ge_u32 s0, s40
	s_cselect_b32 s0, s1, s0
	s_sub_i32 s1, s0, s40
	s_cmp_ge_u32 s0, s40
	s_cselect_b32 s0, s1, s0
	s_mul_i32 s1, s47, s35
	s_xor_b32 s0, s0, s43
	s_sub_i32 s1, s34, s1
	s_sub_i32 s53, s0, s43
	s_xor_b32 s0, s41, s46
	s_add_i32 s34, s47, 1
	s_sub_i32 s40, s1, s35
	s_cmp_ge_u32 s1, s35
	s_cselect_b32 s34, s34, s47
	s_cselect_b32 s1, s40, s1
	s_add_i32 s40, s34, 1
	s_cmp_ge_u32 s1, s35
	s_cselect_b32 s1, s40, s34
	s_waitcnt lgkmcnt(0)
	s_mul_i32 s33, s7, s12
	s_mul_i32 s7, s7, s13
	s_xor_b32 s1, s1, s0
	s_sub_i32 s54, s1, s0
	s_ashr_i32 s55, s53, 31
	s_ashr_i32 s56, s8, 31
	;; [unrolled: 1-line block ×7, first 2 shown]
	s_mul_hi_i32 s40, s53, s14
	s_mul_i32 s14, s53, s14
	s_ashr_i32 s68, s33, 31
	s_ashr_i32 s41, s2, 31
	s_add_u32 s14, s14, s2
	s_addc_u32 s40, s40, s41
	s_mul_hi_i32 s41, s16, s15
	s_mul_i32 s15, s16, s15
	s_mul_hi_u32 s42, s15, s33
	s_mul_i32 s43, s15, s68
	s_add_i32 s42, s42, s43
	s_mul_i32 s41, s41, s33
	s_add_i32 s41, s42, s41
	s_mul_i32 s42, s15, s33
	s_mul_i32 s15, s42, s40
	s_mul_hi_u32 s40, s42, s14
	s_add_i32 s15, s40, s15
	s_mul_i32 s41, s41, s14
	s_add_i32 s15, s15, s41
	s_mul_i32 s14, s42, s14
	s_lshl_b64 s[14:15], s[14:15], 1
	s_mul_hi_i32 s35, s54, s12
	s_mul_i32 s34, s54, s12
	s_add_u32 s4, s4, s14
	s_addc_u32 s5, s5, s15
	s_lshl_b64 s[14:15], s[34:35], 1
	s_add_u32 s34, s4, s14
	s_addc_u32 s35, s5, s15
	s_cmp_lt_i32 s38, 1
	s_mul_i32 s2, s2, s17
	s_cselect_b64 s[40:41], -1, 0
	s_sub_i32 s17, s2, s23
	s_cmp_gt_i32 s39, 0
	s_cselect_b64 s[42:43], -1, 0
	s_cmp_gt_i32 s6, 0
	s_cselect_b64 s[44:45], -1, 0
	;; [unrolled: 2-line block ×3, first 2 shown]
	s_abs_i32 s23, s12
	v_cvt_f32_u32_e32 v1, s23
	s_abs_i32 s71, s16
	v_cvt_f32_u32_e32 v2, s71
	s_abs_i32 s73, s3
	v_rcp_iflag_f32_e32 v1, v1
	v_cvt_f32_u32_e32 v4, s73
	s_sub_i32 s2, 0, s23
	v_rcp_iflag_f32_e32 v2, v2
	v_mul_f32_e32 v1, 0x4f7ffffe, v1
	v_cvt_u32_f32_e32 v1, v1
	v_cmp_neq_f64_e64 s[4:5], s[28:29], 1.0
	v_mul_f32_e32 v2, 0x4f7ffffe, v2
	v_cvt_u32_f32_e32 v2, v2
	v_mul_lo_u32 v3, s2, v1
	v_mul_hi_u32 v3, v1, v3
	v_add_u32_e32 v1, v1, v3
	v_rcp_iflag_f32_e32 v3, v4
	s_sub_i32 s2, 0, s71
	v_mul_lo_u32 v4, s2, v2
	v_mul_hi_u32 v4, v2, v4
	v_mul_f32_e32 v3, 0x4f7ffffe, v3
	v_cvt_u32_f32_e32 v3, v3
	s_sub_i32 s2, 0, s73
	v_cmp_neq_f64_e64 s[50:51], s[30:31], 0
	v_add_u32_e32 v24, v2, v4
	s_ashr_i32 s74, s3, 31
	v_mul_lo_u32 v2, s2, v3
	s_mul_hi_i32 s3, s13, s54
	s_mul_i32 s2, s13, s54
	s_or_b64 s[50:51], s[4:5], s[50:51]
	s_and_b32 s70, s52, 0xffff
	s_ashr_i32 s72, s12, 31
	s_lshl_b64 s[2:3], s[2:3], 1
	s_add_u32 s24, s24, s2
	s_addc_u32 s25, s25, s3
	s_mul_i32 s3, s10, s9
	s_mul_hi_i32 s2, s10, s9
	s_mul_i32 s4, s3, s56
	s_mul_hi_u32 s5, s3, s8
	s_add_i32 s4, s5, s4
	s_mul_i32 s2, s2, s8
	s_add_i32 s2, s4, s2
	s_mul_i32 s4, s3, s8
	s_mul_i32 s3, s4, s55
	s_mul_hi_u32 s5, s4, s53
	s_add_i32 s3, s5, s3
	s_mul_i32 s2, s2, s53
	s_add_i32 s3, s3, s2
	s_mul_i32 s2, s4, s53
	s_mul_i32 s4, s6, s39
	s_lshl_b64 s[52:53], s[2:3], 1
	s_mul_i32 s2, s4, s13
	s_mov_b32 s65, s9
	s_mul_i32 s5, s2, s57
	s_mul_hi_u32 s9, s2, s38
	s_mul_hi_i32 s3, s6, s39
	s_add_i32 s5, s9, s5
	s_mul_i32 s9, s4, s1
	s_mul_hi_u32 s4, s4, s13
	s_add_i32 s4, s4, s9
	s_mul_i32 s3, s3, s13
	s_add_i32 s3, s4, s3
	s_mov_b32 s0, s13
	s_mov_b32 s69, s39
	v_mul_hi_u32 v2, v3, v2
	s_mul_i32 s4, s3, s38
	s_mul_i32 s39, s2, s38
	s_lshl_b64 s[54:55], s[2:3], 1
	s_mul_hi_i32 s3, s6, s13
	s_mul_i32 s2, s6, s13
	s_mov_b64 s[48:49], 0
	v_add_u32_e32 v25, v3, v2
	s_add_i32 s9, s5, s4
	s_lshl_b64 s[56:57], s[2:3], 1
	s_lshl_b64 s[58:59], s[0:1], 1
	v_mov_b32_e32 v3, 0
	s_mov_b32 s75, 0x7f800000
	s_branch .LBB78_3
.LBB78_2:                               ;   in Loop: Header=BB78_3 Depth=1
	v_add_u32_e32 v0, s70, v0
	v_cmp_le_i32_e32 vcc, s11, v0
	s_or_b64 s[48:49], vcc, s[48:49]
	s_andn2_b64 exec, exec, s[48:49]
	s_cbranch_execz .LBB78_23
.LBB78_3:                               ; =>This Loop Header: Depth=1
                                        ;     Child Loop BB78_8 Depth 2
                                        ;       Child Loop BB78_11 Depth 3
                                        ;         Child Loop BB78_14 Depth 4
                                        ;           Child Loop BB78_17 Depth 5
	v_sub_u32_e32 v5, 0, v0
	v_max_i32_e32 v5, v0, v5
	v_mul_hi_u32 v6, v5, v1
	v_mul_lo_u32 v7, v6, s23
	v_sub_u32_e32 v7, v5, v7
	v_add_u32_e32 v8, 1, v6
	v_cmp_le_u32_e32 vcc, s23, v7
	v_ashrrev_i32_e32 v2, 31, v0
	v_xor_b32_e32 v4, s72, v2
	v_cndmask_b32_e32 v6, v6, v8, vcc
	v_subrev_u32_e32 v8, s23, v7
	v_cndmask_b32_e32 v7, v7, v8, vcc
	v_add_u32_e32 v8, 1, v6
	v_cmp_le_u32_e32 vcc, s23, v7
	s_mov_b64 s[62:63], -1
                                        ; implicit-def: $sgpr60_sgpr61
	s_nop 0
	v_cndmask_b32_e32 v6, v6, v8, vcc
	v_xor_b32_e32 v6, v6, v4
	v_sub_u32_e32 v6, v6, v4
	v_sub_u32_e32 v7, 0, v6
	v_max_i32_e32 v7, v6, v7
	v_mul_hi_u32 v8, v7, v24
	v_mul_lo_u32 v8, v8, s71
	v_sub_u32_e32 v7, v7, v8
	v_subrev_u32_e32 v8, s71, v7
	v_cmp_le_u32_e32 vcc, s71, v7
	v_mul_lo_u32 v4, v6, s12
	v_sub_u32_e32 v4, v0, v4
	v_cndmask_b32_e32 v8, v7, v8, vcc
	v_mul_hi_u32 v7, v5, v25
	v_mul_lo_u32 v9, v7, s73
	v_sub_u32_e32 v5, v5, v9
	v_subrev_u32_e32 v9, s73, v5
	v_cmp_le_u32_e64 s[2:3], s73, v5
	v_cmp_le_u32_e64 s[0:1], s71, v8
	s_andn2_b64 vcc, exec, s[40:41]
	v_cndmask_b32_e64 v5, v5, v9, s[2:3]
	v_cmp_le_u32_e64 s[4:5], s73, v5
	s_cbranch_vccnz .LBB78_5
; %bb.4:                                ;   in Loop: Header=BB78_3 Depth=1
	v_ashrrev_i32_e32 v5, 31, v4
	s_mov_b64 s[62:63], 0
	s_mov_b64 s[60:61], 0
.LBB78_5:                               ;   in Loop: Header=BB78_3 Depth=1
	v_subrev_u32_e32 v9, s71, v8
	v_ashrrev_i32_e32 v6, 31, v6
	v_cndmask_b32_e64 v8, v8, v9, s[0:1]
	v_xor_b32_e32 v8, v8, v6
	v_sub_u32_e32 v8, v8, v6
	v_add_u32_e32 v6, 1, v7
	v_cndmask_b32_e64 v6, v7, v6, s[2:3]
	v_add_u32_e32 v7, 1, v6
	v_xor_b32_e32 v2, s74, v2
	v_cndmask_b32_e64 v6, v6, v7, s[4:5]
	v_xor_b32_e32 v6, v6, v2
	v_sub_u32_e32 v26, v6, v2
	s_andn2_b64 vcc, exec, s[62:63]
	v_mov_b64_e32 v[6:7], s[60:61]
	s_cbranch_vccnz .LBB78_19
; %bb.6:                                ;   in Loop: Header=BB78_3 Depth=1
	v_mul_lo_u32 v2, v26, s18
	v_ashrrev_i32_e32 v5, 31, v4
	v_subrev_u32_e32 v9, s36, v2
	v_mul_lo_u32 v2, v8, s19
	v_lshl_add_u64 v[6:7], v[4:5], 1, s[14:15]
	v_mov_b64_e32 v[10:11], s[26:27]
	v_subrev_u32_e32 v27, s37, v2
	v_mul_lo_u32 v2, s39, v7
	v_mul_lo_u32 v7, s9, v6
	v_mad_u64_u32 v[10:11], s[0:1], s39, v6, v[10:11]
	v_add3_u32 v11, v7, v11, v2
	s_mov_b32 s76, 0
	v_mov_b64_e32 v[6:7], 0
	s_mov_b32 s77, s17
	s_branch .LBB78_8
.LBB78_7:                               ;   in Loop: Header=BB78_8 Depth=2
	s_add_i32 s76, s76, 1
	s_add_i32 s77, s77, s20
	s_cmp_eq_u32 s76, s38
	v_lshl_add_u64 v[10:11], v[10:11], 0, s[54:55]
	s_cbranch_scc1 .LBB78_19
.LBB78_8:                               ;   Parent Loop BB78_3 Depth=1
                                        ; =>  This Loop Header: Depth=2
                                        ;       Child Loop BB78_11 Depth 3
                                        ;         Child Loop BB78_14 Depth 4
                                        ;           Child Loop BB78_17 Depth 5
	s_andn2_b64 vcc, exec, s[42:43]
	s_cbranch_vccnz .LBB78_7
; %bb.9:                                ;   in Loop: Header=BB78_8 Depth=2
	s_mul_i32 s0, s64, s77
	s_mul_hi_u32 s1, s65, s77
	s_add_i32 s3, s1, s0
	s_mul_i32 s0, s76, s20
	s_add_i32 s4, s0, s17
	s_cmp_lt_i32 s4, 0
	s_cselect_b64 s[0:1], -1, 0
	s_cmp_ge_i32 s4, s8
	s_cselect_b64 s[4:5], -1, 0
	s_mul_i32 s2, s65, s77
	s_mov_b32 s78, 0
	s_or_b64 s[4:5], s[0:1], s[4:5]
	v_mov_b64_e32 v[12:13], v[10:11]
	v_mov_b32_e32 v14, v9
	s_branch .LBB78_11
.LBB78_10:                              ;   in Loop: Header=BB78_11 Depth=3
	s_add_i32 s78, s78, 1
	v_add_u32_e32 v14, s21, v14
	s_cmp_eq_u32 s78, s69
	v_lshl_add_u64 v[12:13], v[12:13], 0, s[56:57]
	s_cbranch_scc1 .LBB78_7
.LBB78_11:                              ;   Parent Loop BB78_3 Depth=1
                                        ;     Parent Loop BB78_8 Depth=2
                                        ; =>    This Loop Header: Depth=3
                                        ;         Child Loop BB78_14 Depth 4
                                        ;           Child Loop BB78_17 Depth 5
	s_andn2_b64 vcc, exec, s[44:45]
	s_cbranch_vccnz .LBB78_10
; %bb.12:                               ;   in Loop: Header=BB78_11 Depth=3
	v_mov_b32_e32 v15, v3
	v_lshl_add_u64 v[16:17], s[2:3], 0, v[14:15]
	v_mul_lo_u32 v2, s66, v16
	v_mul_lo_u32 v15, s10, v17
	v_mad_u64_u32 v[16:17], s[0:1], s10, v16, 0
	s_mul_i32 s0, s78, s21
	v_add3_u32 v17, v17, v15, v2
	v_add_u32_e32 v2, s0, v9
	v_cmp_gt_i32_e32 vcc, 0, v2
	v_cmp_le_i32_e64 s[0:1], s65, v2
	s_mov_b32 s79, 0
	s_or_b64 s[60:61], vcc, s[0:1]
	v_mov_b64_e32 v[18:19], v[12:13]
	v_mov_b32_e32 v2, v27
	s_branch .LBB78_14
.LBB78_13:                              ;   in Loop: Header=BB78_14 Depth=4
	s_add_i32 s79, s79, 1
	v_add_u32_e32 v2, s22, v2
	s_cmp_eq_u32 s79, s6
	v_lshl_add_u64 v[18:19], v[18:19], 0, s[58:59]
	s_cbranch_scc1 .LBB78_10
.LBB78_14:                              ;   Parent Loop BB78_3 Depth=1
                                        ;     Parent Loop BB78_8 Depth=2
                                        ;       Parent Loop BB78_11 Depth=3
                                        ; =>      This Loop Header: Depth=4
                                        ;           Child Loop BB78_17 Depth 5
	s_andn2_b64 vcc, exec, s[46:47]
	s_cbranch_vccnz .LBB78_13
; %bb.15:                               ;   in Loop: Header=BB78_14 Depth=4
	v_lshl_add_u64 v[20:21], v[16:17], 0, v[2:3]
	v_lshl_add_u64 v[20:21], v[20:21], 1, s[52:53]
	v_mov_b64_e32 v[22:23], s[24:25]
	v_mul_lo_u32 v15, s7, v21
	v_mul_lo_u32 v28, s67, v20
	v_mad_u64_u32 v[20:21], s[0:1], s7, v20, v[22:23]
	s_mul_i32 s0, s79, s22
	v_add3_u32 v21, v28, v21, v15
	v_add_u32_e32 v15, s0, v27
	v_cmp_gt_i32_e32 vcc, 0, v15
	v_cmp_le_i32_e64 s[0:1], s10, v15
	s_or_b64 s[0:1], vcc, s[0:1]
	s_or_b64 s[0:1], s[4:5], s[0:1]
	s_or_b64 s[0:1], s[60:61], s[0:1]
	s_xor_b64 s[0:1], s[0:1], -1
	v_mov_b64_e32 v[22:23], v[18:19]
	s_mov_b32 s80, s13
	s_branch .LBB78_17
.LBB78_16:                              ;   in Loop: Header=BB78_17 Depth=5
	s_or_b64 exec, exec, s[62:63]
	s_add_i32 s80, s80, -1
	v_lshl_add_u64 v[20:21], v[20:21], 0, 2
	s_cmp_eq_u32 s80, 0
	v_lshl_add_u64 v[22:23], v[22:23], 0, 2
	s_cbranch_scc1 .LBB78_13
.LBB78_17:                              ;   Parent Loop BB78_3 Depth=1
                                        ;     Parent Loop BB78_8 Depth=2
                                        ;       Parent Loop BB78_11 Depth=3
                                        ;         Parent Loop BB78_14 Depth=4
                                        ; =>        This Inner Loop Header: Depth=5
	s_and_saveexec_b64 s[62:63], s[0:1]
	s_cbranch_execz .LBB78_16
; %bb.18:                               ;   in Loop: Header=BB78_17 Depth=5
	global_load_ushort v15, v[20:21], off
	global_load_ushort v28, v[22:23], off
	s_waitcnt vmcnt(1)
	v_lshlrev_b32_e32 v15, 16, v15
	s_waitcnt vmcnt(0)
	v_lshlrev_b32_e32 v30, 16, v28
	v_cvt_f64_f32_e32 v[28:29], v15
	v_cvt_f64_f32_e32 v[30:31], v30
	v_fmac_f64_e32 v[6:7], v[28:29], v[30:31]
	s_branch .LBB78_16
.LBB78_19:                              ;   in Loop: Header=BB78_3 Depth=1
	v_ashrrev_i32_e32 v9, 31, v8
	v_mad_i64_i32 v[8:9], s[0:1], v26, s16, v[8:9]
	v_mul_lo_u32 v2, v8, s68
	v_mul_lo_u32 v9, v9, s33
	v_mad_u64_u32 v[4:5], s[0:1], v8, s33, v[4:5]
	v_add3_u32 v5, v9, v5, v2
	s_mov_b64 s[0:1], -1
	s_and_b64 vcc, exec, s[50:51]
	s_cbranch_vccz .LBB78_21
; %bb.20:                               ;   in Loop: Header=BB78_3 Depth=1
	v_lshl_add_u64 v[8:9], v[4:5], 1, s[34:35]
	global_load_ushort v2, v[8:9], off
	s_waitcnt vmcnt(0)
	v_lshlrev_b32_e32 v2, 16, v2
	v_cvt_f64_f32_e32 v[10:11], v2
	v_mul_f64 v[10:11], v[10:11], s[30:31]
	v_fmac_f64_e32 v[10:11], s[28:29], v[6:7]
	v_cvt_f32_f64_e32 v2, v[10:11]
	v_and_b32_e32 v10, 0x7f800000, v2
	v_cmp_ne_u32_sdwa s[0:1], v2, v3 src0_sel:WORD_0 src1_sel:DWORD
	v_cmp_eq_u32_e32 vcc, s75, v10
	s_and_b64 s[0:1], vcc, s[0:1]
	v_cndmask_b32_e64 v10, 0, 1, s[0:1]
	v_or_b32_sdwa v2, v2, v10 dst_sel:DWORD dst_unused:UNUSED_PAD src0_sel:WORD_1 src1_sel:DWORD
	global_store_short v[8:9], v2, off
	s_mov_b64 s[0:1], 0
.LBB78_21:                              ;   in Loop: Header=BB78_3 Depth=1
	s_andn2_b64 vcc, exec, s[0:1]
	s_cbranch_vccnz .LBB78_2
; %bb.22:                               ;   in Loop: Header=BB78_3 Depth=1
	v_cvt_f32_f64_e32 v2, v[6:7]
	v_and_b32_e32 v6, 0x7f800000, v2
	v_cmp_eq_u32_e32 vcc, s75, v6
	v_cmp_ne_u32_sdwa s[0:1], v2, v3 src0_sel:WORD_0 src1_sel:DWORD
	s_and_b64 s[0:1], vcc, s[0:1]
	v_lshl_add_u64 v[4:5], v[4:5], 1, s[34:35]
	v_cndmask_b32_e64 v6, 0, 1, s[0:1]
	v_or_b32_sdwa v2, v2, v6 dst_sel:DWORD dst_unused:UNUSED_PAD src0_sel:WORD_1 src1_sel:DWORD
	global_store_short v[4:5], v2, off
	s_branch .LBB78_2
.LBB78_23:
	s_endpgm
	.section	.rodata,"a",@progbits
	.p2align	6, 0x0
	.amdhsa_kernel naive_conv_ab_packed_fwd_ndhwc_ushort_double_ushort_0
		.amdhsa_group_segment_fixed_size 0
		.amdhsa_private_segment_fixed_size 0
		.amdhsa_kernarg_size 528
		.amdhsa_user_sgpr_count 2
		.amdhsa_user_sgpr_dispatch_ptr 0
		.amdhsa_user_sgpr_queue_ptr 0
		.amdhsa_user_sgpr_kernarg_segment_ptr 1
		.amdhsa_user_sgpr_dispatch_id 0
		.amdhsa_user_sgpr_kernarg_preload_length 0
		.amdhsa_user_sgpr_kernarg_preload_offset 0
		.amdhsa_user_sgpr_private_segment_size 0
		.amdhsa_uses_dynamic_stack 0
		.amdhsa_enable_private_segment 0
		.amdhsa_system_sgpr_workgroup_id_x 1
		.amdhsa_system_sgpr_workgroup_id_y 0
		.amdhsa_system_sgpr_workgroup_id_z 0
		.amdhsa_system_sgpr_workgroup_info 0
		.amdhsa_system_vgpr_workitem_id 0
		.amdhsa_next_free_vgpr 32
		.amdhsa_next_free_sgpr 81
		.amdhsa_accum_offset 32
		.amdhsa_reserve_vcc 1
		.amdhsa_float_round_mode_32 0
		.amdhsa_float_round_mode_16_64 0
		.amdhsa_float_denorm_mode_32 3
		.amdhsa_float_denorm_mode_16_64 3
		.amdhsa_dx10_clamp 1
		.amdhsa_ieee_mode 1
		.amdhsa_fp16_overflow 0
		.amdhsa_tg_split 0
		.amdhsa_exception_fp_ieee_invalid_op 0
		.amdhsa_exception_fp_denorm_src 0
		.amdhsa_exception_fp_ieee_div_zero 0
		.amdhsa_exception_fp_ieee_overflow 0
		.amdhsa_exception_fp_ieee_underflow 0
		.amdhsa_exception_fp_ieee_inexact 0
		.amdhsa_exception_int_div_zero 0
	.end_amdhsa_kernel
	.text
.Lfunc_end78:
	.size	naive_conv_ab_packed_fwd_ndhwc_ushort_double_ushort_0, .Lfunc_end78-naive_conv_ab_packed_fwd_ndhwc_ushort_double_ushort_0
                                        ; -- End function
	.section	.AMDGPU.csdata,"",@progbits
; Kernel info:
; codeLenInByte = 2012
; NumSgprs: 87
; NumVgprs: 32
; NumAgprs: 0
; TotalNumVgprs: 32
; ScratchSize: 0
; MemoryBound: 0
; FloatMode: 240
; IeeeMode: 1
; LDSByteSize: 0 bytes/workgroup (compile time only)
; SGPRBlocks: 10
; VGPRBlocks: 3
; NumSGPRsForWavesPerEU: 87
; NumVGPRsForWavesPerEU: 32
; AccumOffset: 32
; Occupancy: 8
; WaveLimiterHint : 1
; COMPUTE_PGM_RSRC2:SCRATCH_EN: 0
; COMPUTE_PGM_RSRC2:USER_SGPR: 2
; COMPUTE_PGM_RSRC2:TRAP_HANDLER: 0
; COMPUTE_PGM_RSRC2:TGID_X_EN: 1
; COMPUTE_PGM_RSRC2:TGID_Y_EN: 0
; COMPUTE_PGM_RSRC2:TGID_Z_EN: 0
; COMPUTE_PGM_RSRC2:TIDIG_COMP_CNT: 0
; COMPUTE_PGM_RSRC3_GFX90A:ACCUM_OFFSET: 7
; COMPUTE_PGM_RSRC3_GFX90A:TG_SPLIT: 0
	.text
	.protected	naive_conv_ab_nonpacked_fwd_ndhwc_ushort_double_ushort_0 ; -- Begin function naive_conv_ab_nonpacked_fwd_ndhwc_ushort_double_ushort_0
	.globl	naive_conv_ab_nonpacked_fwd_ndhwc_ushort_double_ushort_0
	.p2align	8
	.type	naive_conv_ab_nonpacked_fwd_ndhwc_ushort_double_ushort_0,@function
naive_conv_ab_nonpacked_fwd_ndhwc_ushort_double_ushort_0: ; @naive_conv_ab_nonpacked_fwd_ndhwc_ushort_double_ushort_0
; %bb.0:
	s_load_dwordx16 s[8:23], s[0:1], 0xb8
	s_abs_i32 s6, s2
	s_waitcnt lgkmcnt(0)
	s_abs_i32 s3, s14
	v_cvt_f32_u32_e32 v1, s3
	s_sub_i32 s4, 0, s3
	s_mul_i32 s34, s14, s11
	v_rcp_iflag_f32_e32 v1, v1
	s_nop 0
	v_mul_f32_e32 v1, 0x4f7ffffe, v1
	v_cvt_u32_f32_e32 v1, v1
	s_nop 0
	v_readfirstlane_b32 s5, v1
	s_mul_i32 s4, s4, s5
	s_mul_hi_u32 s4, s5, s4
	s_add_i32 s5, s5, s4
	s_mul_hi_u32 s4, s6, s5
	s_mul_i32 s5, s4, s3
	s_sub_i32 s5, s6, s5
	s_add_i32 s7, s4, 1
	s_sub_i32 s24, s5, s3
	s_cmp_ge_u32 s5, s3
	s_cselect_b32 s4, s7, s4
	s_cselect_b32 s5, s24, s5
	s_add_i32 s7, s4, 1
	s_cmp_ge_u32 s5, s3
	s_cselect_b32 s35, s7, s4
	s_abs_i32 s33, s11
	s_abs_i32 s7, s34
	v_cvt_f32_u32_e32 v1, s33
	v_cvt_f32_u32_e32 v2, s7
	s_mul_i32 s3, s16, s12
	s_mul_i32 s11, s3, s15
	v_rcp_iflag_f32_e32 v1, v1
	v_rcp_iflag_f32_e32 v2, v2
	v_cmp_gt_i32_e32 vcc, s11, v0
	v_mul_f32_e32 v1, 0x4f7ffffe, v1
	v_mul_f32_e32 v2, 0x4f7ffffe, v2
	v_cvt_u32_f32_e32 v1, v1
	v_cvt_u32_f32_e32 v2, v2
	v_readfirstlane_b32 s36, v1
	v_readfirstlane_b32 s15, v2
	s_and_saveexec_b64 s[4:5], vcc
	s_cbranch_execz .LBB79_23
; %bb.1:
	s_ashr_i32 s56, s2, 31
	s_ashr_i32 s37, s14, 31
	s_xor_b32 s37, s56, s37
	s_xor_b32 s35, s35, s37
	s_sub_i32 s35, s35, s37
	s_sub_i32 s37, 0, s33
	s_mul_i32 s37, s37, s36
	s_mul_hi_u32 s37, s36, s37
	s_abs_i32 s58, s35
	s_add_i32 s36, s36, s37
	s_mul_hi_u32 s59, s58, s36
	s_sub_i32 s36, 0, s7
	s_mul_i32 s36, s36, s15
	s_mul_i32 s59, s59, s33
	s_ashr_i32 s57, s35, 31
	s_mul_hi_u32 s36, s15, s36
	s_mul_i32 s35, s35, s14
	s_sub_i32 s14, s58, s59
	s_ashr_i32 s34, s34, 31
	s_add_i32 s15, s15, s36
	s_sub_i32 s2, s2, s35
	s_sub_i32 s35, s14, s33
	s_cmp_ge_u32 s14, s33
	s_cselect_b32 s14, s35, s14
	s_sub_i32 s35, s14, s33
	s_mul_hi_u32 s15, s6, s15
	s_cmp_ge_u32 s14, s33
	s_cselect_b32 s14, s35, s14
	s_mul_i32 s33, s15, s7
	s_xor_b32 s14, s14, s57
	s_sub_i32 s6, s6, s33
	s_sub_i32 s82, s14, s57
	s_xor_b32 s14, s56, s34
	s_add_i32 s33, s15, 1
	s_sub_i32 s34, s6, s7
	s_cmp_ge_u32 s6, s7
	s_cselect_b32 s15, s33, s15
	s_load_dwordx8 s[24:31], s[0:1], 0x0
	s_load_dwordx2 s[4:5], s[0:1], 0x20
	s_load_dwordx16 s[36:51], s[0:1], 0x68
	s_load_dwordx4 s[68:71], s[0:1], 0xf8
	s_load_dwordx4 s[52:55], s[0:1], 0xa8
	s_cselect_b32 s6, s34, s6
	s_add_i32 s33, s15, 1
	s_cmp_ge_u32 s6, s7
	s_cselect_b32 s6, s33, s15
	s_xor_b32 s6, s6, s14
	s_sub_i32 s83, s6, s14
	s_ashr_i32 s84, s82, 31
	s_ashr_i32 s85, s83, 31
	s_waitcnt lgkmcnt(0)
	s_mul_i32 s6, s54, s84
	s_mul_hi_u32 s7, s54, s82
	s_ashr_i32 s14, s2, 31
	s_add_i32 s6, s7, s6
	s_mul_i32 s7, s55, s82
	s_mul_i32 s14, s52, s14
	s_mul_hi_u32 s15, s52, s2
	s_mul_i32 s33, s46, s85
	s_mul_hi_u32 s34, s46, s83
	s_add_i32 s7, s6, s7
	s_mul_i32 s6, s54, s82
	s_add_i32 s14, s15, s14
	s_mul_i32 s15, s53, s2
	;; [unrolled: 2-line block ×3, first 2 shown]
	s_add_i32 s15, s14, s15
	s_add_i32 s35, s33, s34
	s_lshl_b64 s[6:7], s[6:7], 1
	s_mul_i32 s14, s52, s2
	s_add_u32 s6, s4, s6
	s_addc_u32 s7, s5, s7
	s_lshl_b64 s[4:5], s[14:15], 1
	s_mul_i32 s34, s46, s83
	s_add_u32 s6, s6, s4
	s_addc_u32 s7, s7, s5
	s_lshl_b64 s[4:5], s[34:35], 1
	s_add_u32 s6, s6, s4
	s_load_dword s33, s[0:1], 0x108
	s_addc_u32 s7, s7, s5
	s_cmp_lt_i32 s70, 1
	s_mul_i32 s2, s2, s17
	s_cselect_b64 s[14:15], -1, 0
	s_sub_i32 s23, s2, s23
	s_load_dword s2, s[0:1], 0x11c
	s_cmp_gt_i32 s71, 0
	s_cselect_b64 s[34:35], -1, 0
	s_waitcnt lgkmcnt(0)
	s_cmp_gt_i32 s33, 0
	s_cselect_b64 s[46:47], -1, 0
	s_cmp_gt_i32 s13, 0
	s_cselect_b64 s[72:73], -1, 0
	s_abs_i32 s78, s12
	s_abs_i32 s79, s16
	v_cvt_f32_u32_e32 v1, s78
	s_abs_i32 s81, s3
	v_cvt_f32_u32_e32 v3, s79
	v_cvt_f32_u32_e32 v5, s81
	v_cmp_neq_f64_e64 s[4:5], s[28:29], 1.0
	v_cmp_neq_f64_e64 s[52:53], s[30:31], 0
	v_rcp_iflag_f32_e32 v1, v1
	s_or_b64 s[74:75], s[4:5], s[52:53]
	s_and_b32 s76, s2, 0xffff
	s_ashr_i32 s80, s3, 31
	s_mul_i32 s2, s42, s85
	s_mul_hi_u32 s3, s42, s83
	s_load_dwordx16 s[52:67], s[0:1], 0x28
	v_rcp_iflag_f32_e32 v3, v3
	s_add_i32 s2, s3, s2
	s_mul_i32 s3, s43, s83
	v_rcp_iflag_f32_e32 v5, v5
	s_add_i32 s3, s2, s3
	s_mul_i32 s2, s42, s83
	s_ashr_i32 s77, s12, 31
	s_sub_i32 s4, 0, s78
	s_sub_i32 s5, 0, s79
	;; [unrolled: 1-line block ×3, first 2 shown]
	s_lshl_b64 s[2:3], s[2:3], 1
	v_mul_f32_e32 v1, 0x4f7ffffe, v1
	s_add_u32 s16, s26, s2
	v_cvt_u32_f32_e32 v1, v1
	v_mul_f32_e32 v3, 0x4f7ffffe, v3
	s_addc_u32 s17, s27, s3
	s_waitcnt lgkmcnt(0)
	s_mul_i32 s0, s54, s85
	s_mul_hi_u32 s1, s54, s83
	s_mul_i32 s2, s62, s84
	s_mul_hi_u32 s3, s62, s82
	v_cvt_u32_f32_e32 v3, v3
	v_mul_f32_e32 v5, 0x4f7ffffe, v5
	s_add_i32 s0, s1, s0
	s_mul_i32 s1, s55, s83
	s_add_i32 s2, s3, s2
	s_mul_i32 s3, s63, s82
	v_cvt_u32_f32_e32 v5, v5
	s_add_i32 s1, s0, s1
	s_mul_i32 s0, s54, s83
	s_add_i32 s3, s2, s3
	s_mul_i32 s2, s62, s82
	s_lshl_b64 s[0:1], s[0:1], 1
	s_lshl_b64 s[2:3], s[2:3], 1
	;; [unrolled: 1-line block ×7, first 2 shown]
	v_mul_lo_u32 v2, s4, v1
	s_add_u32 s0, s0, s2
	v_mul_lo_u32 v4, s5, v3
	v_mul_hi_u32 v2, v1, v2
	s_addc_u32 s1, s1, s3
	v_mul_lo_u32 v6, s86, v5
	v_add_u32_e32 v1, v1, v2
	v_mul_hi_u32 v2, v3, v4
	s_add_u32 s64, s24, s0
	v_add_u32_e32 v3, v3, v2
	v_mul_hi_u32 v2, v5, v6
	s_addc_u32 s65, s25, s1
	s_lshl_b64 s[24:25], s[60:61], 1
	s_lshl_b64 s[54:55], s[58:59], 1
	;; [unrolled: 1-line block ×4, first 2 shown]
	v_add_u32_e32 v20, v5, v2
	v_mov_b32_e32 v21, 0
	s_mov_b32 s66, 0x7f800000
	s_mov_b64 s[58:59], 0
	s_branch .LBB79_3
.LBB79_2:                               ;   in Loop: Header=BB79_3 Depth=1
	v_add_u32_e32 v0, s76, v0
	v_cmp_le_i32_e32 vcc, s11, v0
	s_or_b64 s[58:59], vcc, s[58:59]
	s_andn2_b64 exec, exec, s[58:59]
	s_cbranch_execz .LBB79_23
.LBB79_3:                               ; =>This Loop Header: Depth=1
                                        ;     Child Loop BB79_8 Depth 2
                                        ;       Child Loop BB79_11 Depth 3
                                        ;         Child Loop BB79_14 Depth 4
                                        ;           Child Loop BB79_17 Depth 5
	v_sub_u32_e32 v4, 0, v0
	v_max_i32_e32 v4, v0, v4
	v_mul_hi_u32 v5, v4, v1
	v_mul_lo_u32 v7, v5, s78
	v_sub_u32_e32 v7, v4, v7
	v_add_u32_e32 v8, 1, v5
	v_cmp_le_u32_e32 vcc, s78, v7
	v_ashrrev_i32_e32 v6, 31, v0
	v_xor_b32_e32 v2, s77, v6
	v_cndmask_b32_e32 v5, v5, v8, vcc
	v_subrev_u32_e32 v8, s78, v7
	v_cndmask_b32_e32 v7, v7, v8, vcc
	v_add_u32_e32 v8, 1, v5
	v_cmp_le_u32_e32 vcc, s78, v7
	s_mov_b64 s[62:63], -1
                                        ; implicit-def: $sgpr60_sgpr61
	s_nop 0
	v_cndmask_b32_e32 v5, v5, v8, vcc
	v_xor_b32_e32 v5, v5, v2
	v_sub_u32_e32 v7, v5, v2
	v_sub_u32_e32 v5, 0, v7
	v_max_i32_e32 v5, v7, v5
	v_mul_hi_u32 v8, v5, v3
	v_mul_lo_u32 v8, v8, s79
	v_sub_u32_e32 v5, v5, v8
	v_subrev_u32_e32 v8, s79, v5
	v_cmp_le_u32_e32 vcc, s79, v5
	v_mul_lo_u32 v2, v7, s12
	v_sub_u32_e32 v2, v0, v2
	v_cndmask_b32_e32 v9, v5, v8, vcc
	v_mul_hi_u32 v8, v4, v20
	v_mul_lo_u32 v5, v8, s81
	v_sub_u32_e32 v4, v4, v5
	v_subrev_u32_e32 v5, s81, v4
	v_cmp_le_u32_e64 s[2:3], s81, v4
	v_cmp_le_u32_e64 s[0:1], s79, v9
	s_andn2_b64 vcc, exec, s[14:15]
	v_cndmask_b32_e64 v4, v4, v5, s[2:3]
	v_cmp_le_u32_e64 s[4:5], s81, v4
                                        ; implicit-def: $vgpr4_vgpr5
	s_cbranch_vccnz .LBB79_5
; %bb.4:                                ;   in Loop: Header=BB79_3 Depth=1
	v_ashrrev_i32_e32 v5, 31, v2
	s_mov_b64 s[62:63], 0
	s_mov_b64 s[60:61], 0
.LBB79_5:                               ;   in Loop: Header=BB79_3 Depth=1
	v_ashrrev_i32_e32 v4, 31, v7
	v_subrev_u32_e32 v7, s79, v9
	v_cndmask_b32_e64 v7, v9, v7, s[0:1]
	v_xor_b32_e32 v7, v7, v4
	v_sub_u32_e32 v4, v7, v4
	v_add_u32_e32 v7, 1, v8
	v_cndmask_b32_e64 v7, v8, v7, s[2:3]
	v_add_u32_e32 v8, 1, v7
	v_xor_b32_e32 v6, s80, v6
	v_cndmask_b32_e64 v7, v7, v8, s[4:5]
	v_xor_b32_e32 v7, v7, v6
	v_sub_u32_e32 v22, v7, v6
	s_andn2_b64 vcc, exec, s[62:63]
	v_mov_b64_e32 v[6:7], s[60:61]
	s_cbranch_vccnz .LBB79_19
; %bb.6:                                ;   in Loop: Header=BB79_3 Depth=1
	v_mul_lo_u32 v5, v22, s18
	v_subrev_u32_e32 v23, s68, v5
	v_mul_lo_u32 v5, v4, s19
	v_subrev_u32_e32 v24, s69, v5
	v_ashrrev_i32_e32 v5, 31, v2
	v_mov_b64_e32 v[6:7], s[16:17]
	v_mad_u64_u32 v[8:9], s[0:1], s26, v2, v[6:7]
	v_mul_lo_u32 v6, s27, v2
	v_mul_lo_u32 v7, s26, v5
	v_add3_u32 v9, v6, v9, v7
	s_mov_b32 s67, 0
	v_mov_b64_e32 v[6:7], 0
	s_mov_b32 s82, s23
	s_branch .LBB79_8
.LBB79_7:                               ;   in Loop: Header=BB79_8 Depth=2
	s_add_i32 s67, s67, 1
	s_add_i32 s82, s82, s20
	s_cmp_eq_u32 s67, s70
	v_lshl_add_u64 v[8:9], v[8:9], 0, s[38:39]
	s_cbranch_scc1 .LBB79_19
.LBB79_8:                               ;   Parent Loop BB79_3 Depth=1
                                        ; =>  This Loop Header: Depth=2
                                        ;       Child Loop BB79_11 Depth 3
                                        ;         Child Loop BB79_14 Depth 4
                                        ;           Child Loop BB79_17 Depth 5
	s_andn2_b64 vcc, exec, s[34:35]
	s_cbranch_vccnz .LBB79_7
; %bb.9:                                ;   in Loop: Header=BB79_8 Depth=2
	s_mul_i32 s0, s25, s82
	s_mul_hi_u32 s1, s24, s82
	s_add_i32 s5, s1, s0
	s_mul_i32 s0, s67, s20
	s_add_i32 s2, s0, s23
	s_cmp_lt_i32 s2, 0
	s_cselect_b64 s[0:1], -1, 0
	s_cmp_ge_i32 s2, s8
	s_cselect_b64 s[2:3], -1, 0
	s_mul_i32 s4, s24, s82
	s_or_b64 s[2:3], s[0:1], s[2:3]
	s_add_u32 s4, s64, s4
	s_mov_b32 s83, 0
	s_addc_u32 s5, s65, s5
	v_mov_b32_e32 v25, v23
	v_mov_b64_e32 v[10:11], v[8:9]
	s_branch .LBB79_11
.LBB79_10:                              ;   in Loop: Header=BB79_11 Depth=3
	s_add_i32 s83, s83, 1
	v_lshl_add_u64 v[10:11], v[10:11], 0, s[36:37]
	s_cmp_eq_u32 s83, s71
	v_add_u32_e32 v25, s21, v25
	s_cbranch_scc1 .LBB79_7
.LBB79_11:                              ;   Parent Loop BB79_3 Depth=1
                                        ;     Parent Loop BB79_8 Depth=2
                                        ; =>    This Loop Header: Depth=3
                                        ;         Child Loop BB79_14 Depth 4
                                        ;           Child Loop BB79_17 Depth 5
	s_andn2_b64 vcc, exec, s[46:47]
	s_cbranch_vccnz .LBB79_10
; %bb.12:                               ;   in Loop: Header=BB79_11 Depth=3
	s_mul_i32 s0, s83, s21
	v_add_u32_e32 v12, s0, v23
	v_cmp_gt_i32_e32 vcc, 0, v12
	v_cmp_le_i32_e64 s[0:1], s9, v12
	v_mov_b64_e32 v[12:13], s[4:5]
	s_or_b64 s[60:61], vcc, s[0:1]
	v_mad_u64_u32 v[12:13], s[0:1], s54, v25, v[12:13]
	v_mov_b32_e32 v14, v13
	v_mad_u64_u32 v[14:15], s[0:1], s55, v25, v[14:15]
	s_mov_b32 s84, 0
	v_mov_b32_e32 v13, v14
	v_mov_b32_e32 v26, v24
	v_mov_b64_e32 v[14:15], v[10:11]
	s_branch .LBB79_14
.LBB79_13:                              ;   in Loop: Header=BB79_14 Depth=4
	s_add_i32 s84, s84, 1
	v_lshl_add_u64 v[14:15], v[14:15], 0, s[40:41]
	s_cmp_eq_u32 s84, s33
	v_add_u32_e32 v26, s22, v26
	s_cbranch_scc1 .LBB79_10
.LBB79_14:                              ;   Parent Loop BB79_3 Depth=1
                                        ;     Parent Loop BB79_8 Depth=2
                                        ;       Parent Loop BB79_11 Depth=3
                                        ; =>      This Loop Header: Depth=4
                                        ;           Child Loop BB79_17 Depth 5
	s_andn2_b64 vcc, exec, s[72:73]
	s_cbranch_vccnz .LBB79_13
; %bb.15:                               ;   in Loop: Header=BB79_14 Depth=4
	v_mad_u64_u32 v[16:17], s[0:1], s56, v26, v[12:13]
	v_mov_b32_e32 v18, v17
	v_mad_u64_u32 v[18:19], s[0:1], s57, v26, v[18:19]
	s_mul_i32 s0, s84, s22
	v_mov_b32_e32 v17, v18
	v_add_u32_e32 v18, s0, v24
	v_cmp_gt_i32_e32 vcc, 0, v18
	v_cmp_le_i32_e64 s[0:1], s10, v18
	s_or_b64 s[0:1], vcc, s[0:1]
	s_or_b64 s[0:1], s[2:3], s[0:1]
	s_or_b64 s[0:1], s[60:61], s[0:1]
	s_xor_b64 s[0:1], s[0:1], -1
	v_mov_b64_e32 v[18:19], v[14:15]
	s_mov_b32 s85, s13
	s_branch .LBB79_17
.LBB79_16:                              ;   in Loop: Header=BB79_17 Depth=5
	s_or_b64 exec, exec, s[62:63]
	s_add_i32 s85, s85, -1
	v_lshl_add_u64 v[18:19], v[18:19], 0, s[42:43]
	s_cmp_eq_u32 s85, 0
	v_lshl_add_u64 v[16:17], v[16:17], 0, s[52:53]
	s_cbranch_scc1 .LBB79_13
.LBB79_17:                              ;   Parent Loop BB79_3 Depth=1
                                        ;     Parent Loop BB79_8 Depth=2
                                        ;       Parent Loop BB79_11 Depth=3
                                        ;         Parent Loop BB79_14 Depth=4
                                        ; =>        This Inner Loop Header: Depth=5
	s_and_saveexec_b64 s[62:63], s[0:1]
	s_cbranch_execz .LBB79_16
; %bb.18:                               ;   in Loop: Header=BB79_17 Depth=5
	global_load_ushort v27, v[16:17], off
	global_load_ushort v28, v[18:19], off
	s_waitcnt vmcnt(1)
	v_lshlrev_b32_e32 v27, 16, v27
	s_waitcnt vmcnt(0)
	v_lshlrev_b32_e32 v30, 16, v28
	v_cvt_f64_f32_e32 v[28:29], v27
	v_cvt_f64_f32_e32 v[30:31], v30
	v_fmac_f64_e32 v[6:7], v[28:29], v[30:31]
	s_branch .LBB79_16
.LBB79_19:                              ;   in Loop: Header=BB79_3 Depth=1
	v_ashrrev_i32_e32 v8, 31, v4
	v_mul_lo_u32 v11, s49, v4
	v_mul_lo_u32 v12, s48, v8
	v_mad_u64_u32 v[8:9], s[0:1], s48, v4, 0
	v_ashrrev_i32_e32 v10, 31, v22
	v_add3_u32 v9, v9, v12, v11
	v_mad_u64_u32 v[8:9], s[0:1], s50, v22, v[8:9]
	v_mul_lo_u32 v4, s51, v22
	v_mul_lo_u32 v10, s50, v10
	v_add3_u32 v9, v4, v9, v10
	v_mad_u64_u32 v[8:9], s[0:1], v2, s44, v[8:9]
	v_mul_lo_u32 v2, v2, s45
	v_mul_lo_u32 v4, v5, s44
	v_add3_u32 v9, v4, v9, v2
	s_mov_b64 s[0:1], -1
	s_and_b64 vcc, exec, s[74:75]
	s_cbranch_vccz .LBB79_21
; %bb.20:                               ;   in Loop: Header=BB79_3 Depth=1
	v_lshl_add_u64 v[4:5], v[8:9], 1, s[6:7]
	global_load_ushort v2, v[4:5], off
	s_waitcnt vmcnt(0)
	v_lshlrev_b32_e32 v2, 16, v2
	v_cvt_f64_f32_e32 v[10:11], v2
	v_mul_f64 v[10:11], v[10:11], s[30:31]
	v_fmac_f64_e32 v[10:11], s[28:29], v[6:7]
	v_cvt_f32_f64_e32 v2, v[10:11]
	v_and_b32_e32 v10, 0x7f800000, v2
	v_cmp_ne_u32_sdwa s[0:1], v2, v21 src0_sel:WORD_0 src1_sel:DWORD
	v_cmp_eq_u32_e32 vcc, s66, v10
	s_and_b64 s[0:1], vcc, s[0:1]
	v_cndmask_b32_e64 v10, 0, 1, s[0:1]
	v_or_b32_sdwa v2, v2, v10 dst_sel:DWORD dst_unused:UNUSED_PAD src0_sel:WORD_1 src1_sel:DWORD
	global_store_short v[4:5], v2, off
	s_mov_b64 s[0:1], 0
.LBB79_21:                              ;   in Loop: Header=BB79_3 Depth=1
	s_andn2_b64 vcc, exec, s[0:1]
	s_cbranch_vccnz .LBB79_2
; %bb.22:                               ;   in Loop: Header=BB79_3 Depth=1
	v_cvt_f32_f64_e32 v2, v[6:7]
	v_and_b32_e32 v4, 0x7f800000, v2
	v_cmp_eq_u32_e32 vcc, s66, v4
	v_cmp_ne_u32_sdwa s[0:1], v2, v21 src0_sel:WORD_0 src1_sel:DWORD
	s_and_b64 s[0:1], vcc, s[0:1]
	s_nop 0
	v_cndmask_b32_e64 v4, 0, 1, s[0:1]
	v_or_b32_sdwa v2, v2, v4 dst_sel:DWORD dst_unused:UNUSED_PAD src0_sel:WORD_1 src1_sel:DWORD
	v_lshl_add_u64 v[4:5], v[8:9], 1, s[6:7]
	global_store_short v[4:5], v2, off
	s_branch .LBB79_2
.LBB79_23:
	s_endpgm
	.section	.rodata,"a",@progbits
	.p2align	6, 0x0
	.amdhsa_kernel naive_conv_ab_nonpacked_fwd_ndhwc_ushort_double_ushort_0
		.amdhsa_group_segment_fixed_size 0
		.amdhsa_private_segment_fixed_size 0
		.amdhsa_kernarg_size 528
		.amdhsa_user_sgpr_count 2
		.amdhsa_user_sgpr_dispatch_ptr 0
		.amdhsa_user_sgpr_queue_ptr 0
		.amdhsa_user_sgpr_kernarg_segment_ptr 1
		.amdhsa_user_sgpr_dispatch_id 0
		.amdhsa_user_sgpr_kernarg_preload_length 0
		.amdhsa_user_sgpr_kernarg_preload_offset 0
		.amdhsa_user_sgpr_private_segment_size 0
		.amdhsa_uses_dynamic_stack 0
		.amdhsa_enable_private_segment 0
		.amdhsa_system_sgpr_workgroup_id_x 1
		.amdhsa_system_sgpr_workgroup_id_y 0
		.amdhsa_system_sgpr_workgroup_id_z 0
		.amdhsa_system_sgpr_workgroup_info 0
		.amdhsa_system_vgpr_workitem_id 0
		.amdhsa_next_free_vgpr 32
		.amdhsa_next_free_sgpr 87
		.amdhsa_accum_offset 32
		.amdhsa_reserve_vcc 1
		.amdhsa_float_round_mode_32 0
		.amdhsa_float_round_mode_16_64 0
		.amdhsa_float_denorm_mode_32 3
		.amdhsa_float_denorm_mode_16_64 3
		.amdhsa_dx10_clamp 1
		.amdhsa_ieee_mode 1
		.amdhsa_fp16_overflow 0
		.amdhsa_tg_split 0
		.amdhsa_exception_fp_ieee_invalid_op 0
		.amdhsa_exception_fp_denorm_src 0
		.amdhsa_exception_fp_ieee_div_zero 0
		.amdhsa_exception_fp_ieee_overflow 0
		.amdhsa_exception_fp_ieee_underflow 0
		.amdhsa_exception_fp_ieee_inexact 0
		.amdhsa_exception_int_div_zero 0
	.end_amdhsa_kernel
	.text
.Lfunc_end79:
	.size	naive_conv_ab_nonpacked_fwd_ndhwc_ushort_double_ushort_0, .Lfunc_end79-naive_conv_ab_nonpacked_fwd_ndhwc_ushort_double_ushort_0
                                        ; -- End function
	.section	.AMDGPU.csdata,"",@progbits
; Kernel info:
; codeLenInByte = 2012
; NumSgprs: 93
; NumVgprs: 32
; NumAgprs: 0
; TotalNumVgprs: 32
; ScratchSize: 0
; MemoryBound: 0
; FloatMode: 240
; IeeeMode: 1
; LDSByteSize: 0 bytes/workgroup (compile time only)
; SGPRBlocks: 11
; VGPRBlocks: 3
; NumSGPRsForWavesPerEU: 93
; NumVGPRsForWavesPerEU: 32
; AccumOffset: 32
; Occupancy: 8
; WaveLimiterHint : 1
; COMPUTE_PGM_RSRC2:SCRATCH_EN: 0
; COMPUTE_PGM_RSRC2:USER_SGPR: 2
; COMPUTE_PGM_RSRC2:TRAP_HANDLER: 0
; COMPUTE_PGM_RSRC2:TGID_X_EN: 1
; COMPUTE_PGM_RSRC2:TGID_Y_EN: 0
; COMPUTE_PGM_RSRC2:TGID_Z_EN: 0
; COMPUTE_PGM_RSRC2:TIDIG_COMP_CNT: 0
; COMPUTE_PGM_RSRC3_GFX90A:ACCUM_OFFSET: 7
; COMPUTE_PGM_RSRC3_GFX90A:TG_SPLIT: 0
	.text
	.protected	naive_conv_ab_packed_fwd_ndhwc_int8_t_int32_t_int32_t_0 ; -- Begin function naive_conv_ab_packed_fwd_ndhwc_int8_t_int32_t_int32_t_0
	.globl	naive_conv_ab_packed_fwd_ndhwc_int8_t_int32_t_int32_t_0
	.p2align	8
	.type	naive_conv_ab_packed_fwd_ndhwc_int8_t_int32_t_int32_t_0,@function
naive_conv_ab_packed_fwd_ndhwc_int8_t_int32_t_int32_t_0: ; @naive_conv_ab_packed_fwd_ndhwc_int8_t_int32_t_int32_t_0
; %bb.0:
	s_load_dwordx16 s[8:23], s[0:1], 0xb8
	s_abs_i32 s34, s2
	s_waitcnt lgkmcnt(0)
	s_abs_i32 s3, s14
	v_cvt_f32_u32_e32 v1, s3
	s_sub_i32 s5, 0, s3
	s_mul_i32 s4, s14, s11
	v_rcp_iflag_f32_e32 v1, v1
	s_nop 0
	v_mul_f32_e32 v1, 0x4f7ffffe, v1
	v_cvt_u32_f32_e32 v1, v1
	s_nop 0
	v_readfirstlane_b32 s6, v1
	s_mul_i32 s5, s5, s6
	s_mul_hi_u32 s5, s6, s5
	s_add_i32 s6, s6, s5
	s_mul_hi_u32 s5, s34, s6
	s_mul_i32 s6, s5, s3
	s_sub_i32 s6, s34, s6
	s_add_i32 s7, s5, 1
	s_sub_i32 s24, s6, s3
	s_cmp_ge_u32 s6, s3
	s_cselect_b32 s5, s7, s5
	s_cselect_b32 s6, s24, s6
	s_add_i32 s7, s5, 1
	s_cmp_ge_u32 s6, s3
	s_cselect_b32 s5, s7, s5
	s_abs_i32 s40, s11
	s_abs_i32 s35, s4
	v_cvt_f32_u32_e32 v1, s40
	v_cvt_f32_u32_e32 v2, s35
	s_mul_i32 s3, s16, s12
	s_mul_i32 s11, s3, s15
	v_rcp_iflag_f32_e32 v1, v1
	v_rcp_iflag_f32_e32 v2, v2
	v_cmp_gt_i32_e32 vcc, s11, v0
	v_mul_f32_e32 v1, 0x4f7ffffe, v1
	v_mul_f32_e32 v2, 0x4f7ffffe, v2
	v_cvt_u32_f32_e32 v1, v1
	v_cvt_u32_f32_e32 v2, v2
	v_readfirstlane_b32 s7, v1
	v_readfirstlane_b32 s6, v2
	s_and_saveexec_b64 s[24:25], vcc
	s_cbranch_execz .LBB80_23
; %bb.1:
	s_ashr_i32 s41, s2, 31
	s_ashr_i32 s33, s14, 31
	s_xor_b32 s33, s41, s33
	s_xor_b32 s5, s5, s33
	s_sub_i32 s42, s5, s33
	s_sub_i32 s5, 0, s40
	s_mul_i32 s5, s5, s7
	s_mul_hi_u32 s5, s7, s5
	s_ashr_i32 s46, s4, 31
	s_sub_i32 s4, 0, s35
	s_abs_i32 s44, s42
	s_add_i32 s7, s7, s5
	s_mul_i32 s4, s4, s6
	s_mul_hi_u32 s45, s44, s7
	s_mul_hi_u32 s4, s6, s4
	s_add_i32 s4, s6, s4
	s_mul_i32 s45, s45, s40
	s_load_dwordx8 s[24:31], s[0:1], 0x0
	s_ashr_i32 s43, s42, 31
	s_load_dwordx2 s[6:7], s[0:1], 0x108
	s_mul_hi_u32 s47, s34, s4
	s_load_dwordx2 s[4:5], s[0:1], 0x20
	s_load_dwordx4 s[36:39], s[0:1], 0xf8
	s_load_dword s54, s[0:1], 0x11c
	s_mul_i32 s42, s42, s14
	s_sub_i32 s0, s44, s45
	s_sub_i32 s2, s2, s42
	;; [unrolled: 1-line block ×3, first 2 shown]
	s_cmp_ge_u32 s0, s40
	s_cselect_b32 s0, s1, s0
	s_sub_i32 s1, s0, s40
	s_cmp_ge_u32 s0, s40
	s_cselect_b32 s0, s1, s0
	s_mul_i32 s1, s47, s35
	s_xor_b32 s0, s0, s43
	s_sub_i32 s1, s34, s1
	s_sub_i32 s55, s0, s43
	s_xor_b32 s0, s41, s46
	s_add_i32 s34, s47, 1
	s_sub_i32 s40, s1, s35
	s_cmp_ge_u32 s1, s35
	s_cselect_b32 s34, s34, s47
	s_cselect_b32 s1, s40, s1
	s_add_i32 s40, s34, 1
	s_cmp_ge_u32 s1, s35
	s_cselect_b32 s1, s40, s34
	s_xor_b32 s1, s1, s0
	s_waitcnt lgkmcnt(0)
	s_mul_i32 s33, s7, s12
	s_mul_i32 s7, s7, s13
	s_sub_i32 s0, s1, s0
	s_ashr_i32 s58, s9, 31
	s_ashr_i32 s59, s10, 31
	;; [unrolled: 1-line block ×4, first 2 shown]
	s_mul_hi_i32 s56, s0, s13
	s_mul_i32 s57, s0, s13
	s_mul_hi_i32 s41, s0, s12
	s_mul_i32 s40, s0, s12
	s_ashr_i32 s70, s38, 31
	s_mul_hi_i32 s0, s55, s14
	s_mul_i32 s1, s55, s14
	s_ashr_i32 s62, s33, 31
	s_ashr_i32 s14, s2, 31
	s_add_u32 s42, s1, s2
	s_addc_u32 s0, s0, s14
	s_mul_i32 s14, s16, s15
	s_mul_hi_i32 s1, s16, s15
	s_mul_hi_u32 s15, s14, s33
	s_mul_i32 s43, s14, s62
	s_add_i32 s15, s15, s43
	s_mul_i32 s1, s1, s33
	s_mul_i32 s14, s14, s33
	s_add_i32 s1, s15, s1
	s_mul_i32 s0, s14, s0
	s_mul_hi_u32 s15, s14, s42
	s_add_i32 s0, s15, s0
	s_mul_i32 s1, s1, s42
	s_add_i32 s1, s0, s1
	s_mul_i32 s0, s14, s42
	s_lshl_b64 s[0:1], s[0:1], 2
	s_add_u32 s4, s4, s0
	s_addc_u32 s5, s5, s1
	s_lshl_b64 s[0:1], s[40:41], 2
	s_add_u32 s14, s4, s0
	s_addc_u32 s15, s5, s1
	s_cmp_lt_i32 s38, 1
	s_mul_i32 s2, s2, s17
	s_cselect_b64 s[42:43], -1, 0
	s_sub_i32 s17, s2, s23
	s_cmp_gt_i32 s39, 0
	s_cselect_b64 s[44:45], -1, 0
	s_cmp_gt_i32 s6, 0
	s_cselect_b64 s[46:47], -1, 0
	;; [unrolled: 2-line block ×3, first 2 shown]
	s_abs_i32 s23, s12
	v_cvt_f32_u32_e32 v1, s23
	s_abs_i32 s64, s16
	v_cvt_f32_u32_e32 v3, s64
	s_abs_i32 s66, s3
	v_rcp_iflag_f32_e32 v2, v1
	v_cmp_neq_f64_e64 s[0:1], s[28:29], 1.0
	v_cmp_neq_f64_e64 s[4:5], s[30:31], 0
	v_cvt_f32_u32_e32 v5, s66
	v_mul_f32_e32 v2, 0x4f7ffffe, v2
	v_cvt_u32_f32_e32 v2, v2
	s_or_b64 s[52:53], s[0:1], s[4:5]
	s_sub_i32 s0, 0, s23
	v_rcp_iflag_f32_e32 v3, v3
	v_mul_lo_u32 v4, s0, v2
	v_mul_hi_u32 v4, v2, v4
	v_add_u32_e32 v23, v2, v4
	v_rcp_iflag_f32_e32 v2, v5
	v_mul_f32_e32 v3, 0x4f7ffffe, v3
	v_cvt_u32_f32_e32 v3, v3
	s_sub_i32 s0, 0, s64
	v_mul_f32_e32 v2, 0x4f7ffffe, v2
	v_cvt_u32_f32_e32 v2, v2
	s_mul_i32 s1, s6, s39
	v_cvt_i32_f64_e32 v1, s[28:29]
	s_and_b32 s63, s54, 0xffff
	s_ashr_i32 s65, s12, 31
	v_mul_lo_u32 v4, s0, v3
	s_ashr_i32 s67, s3, 31
	s_sub_i32 s0, 0, s66
	s_mul_i32 s28, s1, s13
	v_mul_hi_u32 v4, v3, v4
	s_add_u32 s24, s24, s57
	s_mul_i32 s2, s28, s70
	s_mul_hi_u32 s3, s28, s38
	v_add_u32_e32 v24, v3, v4
	v_mul_lo_u32 v3, s0, v2
	s_addc_u32 s25, s25, s56
	s_mul_hi_i32 s0, s6, s39
	s_add_i32 s2, s3, s2
	s_mul_i32 s3, s1, s35
	s_mul_hi_u32 s1, s1, s13
	s_add_i32 s1, s1, s3
	s_mul_i32 s0, s0, s13
	s_add_i32 s29, s1, s0
	v_mul_hi_u32 v3, v2, v3
	s_mul_i32 s0, s29, s38
	s_mov_b32 s34, s13
	s_mov_b32 s61, s39
	s_mov_b64 s[50:51], 0
	v_cvt_i32_f64_e32 v22, s[30:31]
	v_add_u32_e32 v25, v2, v3
	s_mul_hi_i32 s68, s8, s55
	s_mul_i32 s69, s8, s55
	s_add_i32 s39, s2, s0
	s_mul_i32 s70, s28, s38
	s_mul_hi_i32 s31, s6, s13
	s_mul_i32 s30, s6, s13
	v_mov_b32_e32 v3, 0
	s_branch .LBB80_3
.LBB80_2:                               ;   in Loop: Header=BB80_3 Depth=1
	v_add_u32_e32 v0, s63, v0
	v_cmp_le_i32_e32 vcc, s11, v0
	s_or_b64 s[50:51], vcc, s[50:51]
	s_andn2_b64 exec, exec, s[50:51]
	s_cbranch_execz .LBB80_23
.LBB80_3:                               ; =>This Loop Header: Depth=1
                                        ;     Child Loop BB80_8 Depth 2
                                        ;       Child Loop BB80_11 Depth 3
                                        ;         Child Loop BB80_14 Depth 4
                                        ;           Child Loop BB80_17 Depth 5
	v_sub_u32_e32 v5, 0, v0
	v_max_i32_e32 v5, v0, v5
	v_mul_hi_u32 v6, v5, v23
	v_mul_lo_u32 v7, v6, s23
	v_sub_u32_e32 v7, v5, v7
	v_add_u32_e32 v8, 1, v6
	v_cmp_le_u32_e32 vcc, s23, v7
	v_ashrrev_i32_e32 v2, 31, v0
	v_xor_b32_e32 v4, s65, v2
	v_cndmask_b32_e32 v6, v6, v8, vcc
	v_subrev_u32_e32 v8, s23, v7
	v_cndmask_b32_e32 v7, v7, v8, vcc
	v_add_u32_e32 v8, 1, v6
	v_cmp_le_u32_e32 vcc, s23, v7
	s_mov_b64 s[54:55], -1
                                        ; implicit-def: $sgpr56
	s_nop 0
	v_cndmask_b32_e32 v6, v6, v8, vcc
	v_xor_b32_e32 v6, v6, v4
	v_sub_u32_e32 v6, v6, v4
	v_sub_u32_e32 v7, 0, v6
	v_max_i32_e32 v7, v6, v7
	v_mul_hi_u32 v8, v7, v24
	v_mul_lo_u32 v8, v8, s64
	v_sub_u32_e32 v7, v7, v8
	v_subrev_u32_e32 v8, s64, v7
	v_cmp_le_u32_e32 vcc, s64, v7
	v_mul_lo_u32 v4, v6, s12
	v_sub_u32_e32 v4, v0, v4
	v_cndmask_b32_e32 v8, v7, v8, vcc
	v_mul_hi_u32 v7, v5, v25
	v_mul_lo_u32 v9, v7, s66
	v_sub_u32_e32 v5, v5, v9
	v_subrev_u32_e32 v9, s66, v5
	v_cmp_le_u32_e64 s[2:3], s66, v5
	v_cmp_le_u32_e64 s[0:1], s64, v8
	s_andn2_b64 vcc, exec, s[42:43]
	v_cndmask_b32_e64 v5, v5, v9, s[2:3]
	v_cmp_le_u32_e64 s[4:5], s66, v5
	s_cbranch_vccnz .LBB80_5
; %bb.4:                                ;   in Loop: Header=BB80_3 Depth=1
	v_ashrrev_i32_e32 v5, 31, v4
	s_mov_b64 s[54:55], 0
	s_mov_b32 s56, 0
.LBB80_5:                               ;   in Loop: Header=BB80_3 Depth=1
	v_subrev_u32_e32 v9, s64, v8
	v_ashrrev_i32_e32 v6, 31, v6
	v_cndmask_b32_e64 v8, v8, v9, s[0:1]
	v_xor_b32_e32 v8, v8, v6
	v_sub_u32_e32 v6, v8, v6
	v_add_u32_e32 v8, 1, v7
	v_cndmask_b32_e64 v7, v7, v8, s[2:3]
	v_add_u32_e32 v8, 1, v7
	v_xor_b32_e32 v2, s67, v2
	v_cndmask_b32_e64 v7, v7, v8, s[4:5]
	v_xor_b32_e32 v7, v7, v2
	v_sub_u32_e32 v27, v7, v2
	s_andn2_b64 vcc, exec, s[54:55]
	v_mov_b32_e32 v26, s56
	s_cbranch_vccnz .LBB80_19
; %bb.6:                                ;   in Loop: Header=BB80_3 Depth=1
	v_mul_lo_u32 v2, v27, s18
	v_ashrrev_i32_e32 v5, 31, v4
	v_subrev_u32_e32 v7, s36, v2
	v_mul_lo_u32 v2, v6, s19
	v_lshl_add_u64 v[8:9], s[40:41], 0, v[4:5]
	v_mov_b64_e32 v[10:11], s[26:27]
	v_subrev_u32_e32 v28, s37, v2
	v_mul_lo_u32 v2, s70, v9
	v_mul_lo_u32 v12, s39, v8
	v_mad_u64_u32 v[8:9], s[0:1], s70, v8, v[10:11]
	v_add3_u32 v9, v12, v9, v2
	s_mov_b32 s71, 0
	v_mov_b32_e32 v26, 0
	s_mov_b32 s72, s17
	s_branch .LBB80_8
.LBB80_7:                               ;   in Loop: Header=BB80_8 Depth=2
	s_add_i32 s71, s71, 1
	s_add_i32 s72, s72, s20
	s_cmp_eq_u32 s71, s38
	v_lshl_add_u64 v[8:9], v[8:9], 0, s[28:29]
	s_cbranch_scc1 .LBB80_19
.LBB80_8:                               ;   Parent Loop BB80_3 Depth=1
                                        ; =>  This Loop Header: Depth=2
                                        ;       Child Loop BB80_11 Depth 3
                                        ;         Child Loop BB80_14 Depth 4
                                        ;           Child Loop BB80_17 Depth 5
	s_andn2_b64 vcc, exec, s[44:45]
	s_cbranch_vccnz .LBB80_7
; %bb.9:                                ;   in Loop: Header=BB80_8 Depth=2
	s_add_u32 s0, s69, s72
	s_addc_u32 s1, s68, 0
	s_mul_i32 s1, s9, s1
	s_mul_hi_u32 s2, s9, s0
	s_add_i32 s1, s2, s1
	s_mul_i32 s2, s58, s0
	s_add_i32 s3, s1, s2
	s_mul_i32 s2, s9, s0
	s_mul_i32 s0, s71, s20
	s_add_i32 s4, s0, s17
	s_cmp_lt_i32 s4, 0
	s_cselect_b64 s[0:1], -1, 0
	s_cmp_ge_i32 s4, s8
	s_cselect_b64 s[4:5], -1, 0
	s_mov_b32 s73, 0
	s_or_b64 s[4:5], s[0:1], s[4:5]
	v_mov_b64_e32 v[10:11], v[8:9]
	v_mov_b32_e32 v12, v7
	s_branch .LBB80_11
.LBB80_10:                              ;   in Loop: Header=BB80_11 Depth=3
	s_add_i32 s73, s73, 1
	v_add_u32_e32 v12, s21, v12
	s_cmp_eq_u32 s73, s61
	v_lshl_add_u64 v[10:11], v[10:11], 0, s[30:31]
	s_cbranch_scc1 .LBB80_7
.LBB80_11:                              ;   Parent Loop BB80_3 Depth=1
                                        ;     Parent Loop BB80_8 Depth=2
                                        ; =>    This Loop Header: Depth=3
                                        ;         Child Loop BB80_14 Depth 4
                                        ;           Child Loop BB80_17 Depth 5
	s_andn2_b64 vcc, exec, s[46:47]
	s_cbranch_vccnz .LBB80_10
; %bb.12:                               ;   in Loop: Header=BB80_11 Depth=3
	v_mov_b32_e32 v13, v3
	v_lshl_add_u64 v[14:15], s[2:3], 0, v[12:13]
	v_mul_lo_u32 v2, s59, v14
	v_mul_lo_u32 v13, s10, v15
	v_mad_u64_u32 v[14:15], s[0:1], s10, v14, 0
	s_mul_i32 s0, s73, s21
	v_add3_u32 v15, v15, v13, v2
	v_add_u32_e32 v2, s0, v7
	v_cmp_gt_i32_e32 vcc, 0, v2
	v_cmp_le_i32_e64 s[0:1], s9, v2
	s_mov_b32 s74, 0
	s_or_b64 s[54:55], vcc, s[0:1]
	v_mov_b64_e32 v[16:17], v[10:11]
	v_mov_b32_e32 v2, v28
	s_branch .LBB80_14
.LBB80_13:                              ;   in Loop: Header=BB80_14 Depth=4
	s_add_i32 s74, s74, 1
	v_add_u32_e32 v2, s22, v2
	s_cmp_eq_u32 s74, s6
	v_lshl_add_u64 v[16:17], v[16:17], 0, s[34:35]
	s_cbranch_scc1 .LBB80_10
.LBB80_14:                              ;   Parent Loop BB80_3 Depth=1
                                        ;     Parent Loop BB80_8 Depth=2
                                        ;       Parent Loop BB80_11 Depth=3
                                        ; =>      This Loop Header: Depth=4
                                        ;           Child Loop BB80_17 Depth 5
	s_andn2_b64 vcc, exec, s[48:49]
	s_cbranch_vccnz .LBB80_13
; %bb.15:                               ;   in Loop: Header=BB80_14 Depth=4
	v_lshl_add_u64 v[18:19], v[14:15], 0, v[2:3]
	v_mov_b64_e32 v[20:21], s[24:25]
	v_mul_lo_u32 v13, s7, v19
	v_mul_lo_u32 v29, s60, v18
	v_mad_u64_u32 v[18:19], s[0:1], s7, v18, v[20:21]
	s_mul_i32 s0, s74, s22
	v_add3_u32 v19, v29, v19, v13
	v_add_u32_e32 v13, s0, v28
	v_cmp_gt_i32_e32 vcc, 0, v13
	v_cmp_le_i32_e64 s[0:1], s10, v13
	s_or_b64 s[0:1], vcc, s[0:1]
	s_or_b64 s[0:1], s[4:5], s[0:1]
	s_or_b64 s[0:1], s[54:55], s[0:1]
	s_xor_b64 s[0:1], s[0:1], -1
	v_mov_b64_e32 v[20:21], v[16:17]
	s_mov_b32 s75, s13
	s_branch .LBB80_17
.LBB80_16:                              ;   in Loop: Header=BB80_17 Depth=5
	s_or_b64 exec, exec, s[56:57]
	s_add_i32 s75, s75, -1
	v_lshl_add_u64 v[18:19], v[18:19], 0, 1
	s_cmp_eq_u32 s75, 0
	v_lshl_add_u64 v[20:21], v[20:21], 0, 1
	s_cbranch_scc1 .LBB80_13
.LBB80_17:                              ;   Parent Loop BB80_3 Depth=1
                                        ;     Parent Loop BB80_8 Depth=2
                                        ;       Parent Loop BB80_11 Depth=3
                                        ;         Parent Loop BB80_14 Depth=4
                                        ; =>        This Inner Loop Header: Depth=5
	s_and_saveexec_b64 s[56:57], s[0:1]
	s_cbranch_execz .LBB80_16
; %bb.18:                               ;   in Loop: Header=BB80_17 Depth=5
	global_load_sbyte v13, v[18:19], off
	global_load_sbyte v29, v[20:21], off
	s_waitcnt vmcnt(0)
	v_mad_i32_i24 v26, v29, v13, v26
	s_branch .LBB80_16
.LBB80_19:                              ;   in Loop: Header=BB80_3 Depth=1
	v_ashrrev_i32_e32 v7, 31, v6
	v_mad_i64_i32 v[6:7], s[0:1], v27, s16, v[6:7]
	v_mul_lo_u32 v2, v6, s62
	v_mul_lo_u32 v7, v7, s33
	v_mad_u64_u32 v[4:5], s[0:1], v6, s33, v[4:5]
	v_add3_u32 v5, v7, v5, v2
	s_mov_b64 s[0:1], -1
	s_and_b64 vcc, exec, s[52:53]
	s_cbranch_vccz .LBB80_21
; %bb.20:                               ;   in Loop: Header=BB80_3 Depth=1
	v_lshl_add_u64 v[6:7], v[4:5], 2, s[14:15]
	global_load_dword v8, v[6:7], off
	v_mul_lo_u32 v2, v26, v1
	s_waitcnt vmcnt(0)
	v_mad_u64_u32 v[8:9], s[0:1], v8, v22, v[2:3]
	global_store_dword v[6:7], v8, off
	s_mov_b64 s[0:1], 0
.LBB80_21:                              ;   in Loop: Header=BB80_3 Depth=1
	s_andn2_b64 vcc, exec, s[0:1]
	s_cbranch_vccnz .LBB80_2
; %bb.22:                               ;   in Loop: Header=BB80_3 Depth=1
	v_lshl_add_u64 v[4:5], v[4:5], 2, s[14:15]
	global_store_dword v[4:5], v26, off
	s_branch .LBB80_2
.LBB80_23:
	s_endpgm
	.section	.rodata,"a",@progbits
	.p2align	6, 0x0
	.amdhsa_kernel naive_conv_ab_packed_fwd_ndhwc_int8_t_int32_t_int32_t_0
		.amdhsa_group_segment_fixed_size 0
		.amdhsa_private_segment_fixed_size 0
		.amdhsa_kernarg_size 528
		.amdhsa_user_sgpr_count 2
		.amdhsa_user_sgpr_dispatch_ptr 0
		.amdhsa_user_sgpr_queue_ptr 0
		.amdhsa_user_sgpr_kernarg_segment_ptr 1
		.amdhsa_user_sgpr_dispatch_id 0
		.amdhsa_user_sgpr_kernarg_preload_length 0
		.amdhsa_user_sgpr_kernarg_preload_offset 0
		.amdhsa_user_sgpr_private_segment_size 0
		.amdhsa_uses_dynamic_stack 0
		.amdhsa_enable_private_segment 0
		.amdhsa_system_sgpr_workgroup_id_x 1
		.amdhsa_system_sgpr_workgroup_id_y 0
		.amdhsa_system_sgpr_workgroup_id_z 0
		.amdhsa_system_sgpr_workgroup_info 0
		.amdhsa_system_vgpr_workitem_id 0
		.amdhsa_next_free_vgpr 30
		.amdhsa_next_free_sgpr 76
		.amdhsa_accum_offset 32
		.amdhsa_reserve_vcc 1
		.amdhsa_float_round_mode_32 0
		.amdhsa_float_round_mode_16_64 0
		.amdhsa_float_denorm_mode_32 3
		.amdhsa_float_denorm_mode_16_64 3
		.amdhsa_dx10_clamp 1
		.amdhsa_ieee_mode 1
		.amdhsa_fp16_overflow 0
		.amdhsa_tg_split 0
		.amdhsa_exception_fp_ieee_invalid_op 0
		.amdhsa_exception_fp_denorm_src 0
		.amdhsa_exception_fp_ieee_div_zero 0
		.amdhsa_exception_fp_ieee_overflow 0
		.amdhsa_exception_fp_ieee_underflow 0
		.amdhsa_exception_fp_ieee_inexact 0
		.amdhsa_exception_int_div_zero 0
	.end_amdhsa_kernel
	.text
.Lfunc_end80:
	.size	naive_conv_ab_packed_fwd_ndhwc_int8_t_int32_t_int32_t_0, .Lfunc_end80-naive_conv_ab_packed_fwd_ndhwc_int8_t_int32_t_int32_t_0
                                        ; -- End function
	.section	.AMDGPU.csdata,"",@progbits
; Kernel info:
; codeLenInByte = 1832
; NumSgprs: 82
; NumVgprs: 30
; NumAgprs: 0
; TotalNumVgprs: 30
; ScratchSize: 0
; MemoryBound: 0
; FloatMode: 240
; IeeeMode: 1
; LDSByteSize: 0 bytes/workgroup (compile time only)
; SGPRBlocks: 10
; VGPRBlocks: 3
; NumSGPRsForWavesPerEU: 82
; NumVGPRsForWavesPerEU: 30
; AccumOffset: 32
; Occupancy: 8
; WaveLimiterHint : 1
; COMPUTE_PGM_RSRC2:SCRATCH_EN: 0
; COMPUTE_PGM_RSRC2:USER_SGPR: 2
; COMPUTE_PGM_RSRC2:TRAP_HANDLER: 0
; COMPUTE_PGM_RSRC2:TGID_X_EN: 1
; COMPUTE_PGM_RSRC2:TGID_Y_EN: 0
; COMPUTE_PGM_RSRC2:TGID_Z_EN: 0
; COMPUTE_PGM_RSRC2:TIDIG_COMP_CNT: 0
; COMPUTE_PGM_RSRC3_GFX90A:ACCUM_OFFSET: 7
; COMPUTE_PGM_RSRC3_GFX90A:TG_SPLIT: 0
	.text
	.protected	naive_conv_ab_nonpacked_fwd_ndhwc_int8_t_int32_t_int32_t_0 ; -- Begin function naive_conv_ab_nonpacked_fwd_ndhwc_int8_t_int32_t_int32_t_0
	.globl	naive_conv_ab_nonpacked_fwd_ndhwc_int8_t_int32_t_int32_t_0
	.p2align	8
	.type	naive_conv_ab_nonpacked_fwd_ndhwc_int8_t_int32_t_int32_t_0,@function
naive_conv_ab_nonpacked_fwd_ndhwc_int8_t_int32_t_int32_t_0: ; @naive_conv_ab_nonpacked_fwd_ndhwc_int8_t_int32_t_int32_t_0
; %bb.0:
	s_load_dwordx16 s[8:23], s[0:1], 0xb8
	s_abs_i32 s3, s2
	s_waitcnt lgkmcnt(0)
	s_abs_i32 s5, s14
	v_cvt_f32_u32_e32 v1, s5
	s_sub_i32 s6, 0, s5
	s_mul_i32 s4, s14, s11
	s_mul_i32 s71, s16, s12
	v_rcp_iflag_f32_e32 v1, v1
	s_nop 0
	v_mul_f32_e32 v1, 0x4f7ffffe, v1
	v_cvt_u32_f32_e32 v1, v1
	s_nop 0
	v_readfirstlane_b32 s7, v1
	s_mul_i32 s6, s6, s7
	s_mul_hi_u32 s6, s7, s6
	s_add_i32 s7, s7, s6
	s_mul_hi_u32 s6, s3, s7
	s_mul_i32 s7, s6, s5
	s_sub_i32 s7, s3, s7
	s_add_i32 s24, s6, 1
	s_sub_i32 s25, s7, s5
	s_cmp_ge_u32 s7, s5
	s_cselect_b32 s6, s24, s6
	s_cselect_b32 s7, s25, s7
	s_add_i32 s24, s6, 1
	s_cmp_ge_u32 s7, s5
	s_cselect_b32 s5, s24, s6
	s_abs_i32 s31, s11
	s_abs_i32 s30, s4
	v_cvt_f32_u32_e32 v1, s31
	v_cvt_f32_u32_e32 v2, s30
	s_mul_i32 s11, s71, s15
	v_cmp_gt_i32_e32 vcc, s11, v0
	v_rcp_iflag_f32_e32 v1, v1
	v_rcp_iflag_f32_e32 v2, v2
	v_mul_f32_e32 v1, 0x4f7ffffe, v1
	v_mul_f32_e32 v2, 0x4f7ffffe, v2
	v_cvt_u32_f32_e32 v1, v1
	v_cvt_u32_f32_e32 v2, v2
	v_readfirstlane_b32 s7, v1
	v_readfirstlane_b32 s6, v2
	s_and_saveexec_b64 s[24:25], vcc
	s_cbranch_execz .LBB81_23
; %bb.1:
	s_ashr_i32 s15, s2, 31
	s_ashr_i32 s24, s14, 31
	s_xor_b32 s24, s15, s24
	s_xor_b32 s5, s5, s24
	s_sub_i32 s33, s5, s24
	s_sub_i32 s5, 0, s31
	s_mul_i32 s5, s5, s7
	s_mul_hi_u32 s5, s7, s5
	s_abs_i32 s35, s33
	s_add_i32 s7, s7, s5
	s_mul_hi_u32 s68, s35, s7
	s_ashr_i32 s69, s4, 31
	s_sub_i32 s4, 0, s30
	s_ashr_i32 s34, s33, 31
	s_mul_i32 s4, s4, s6
	s_mul_i32 s33, s33, s14
	;; [unrolled: 1-line block ×3, first 2 shown]
	s_mul_hi_u32 s4, s6, s4
	s_sub_i32 s33, s2, s33
	s_sub_i32 s2, s35, s68
	s_add_i32 s6, s6, s4
	s_sub_i32 s14, s2, s31
	s_cmp_ge_u32 s2, s31
	s_cselect_b32 s2, s14, s2
	s_sub_i32 s14, s2, s31
	s_mul_hi_u32 s70, s3, s6
	s_cmp_ge_u32 s2, s31
	s_cselect_b32 s2, s14, s2
	s_mul_i32 s14, s70, s30
	s_xor_b32 s2, s2, s34
	s_sub_i32 s3, s3, s14
	s_sub_i32 s74, s2, s34
	s_xor_b32 s2, s15, s69
	s_add_i32 s14, s70, 1
	s_sub_i32 s15, s3, s30
	s_cmp_ge_u32 s3, s30
	s_cselect_b32 s14, s14, s70
	s_cselect_b32 s3, s15, s3
	s_add_i32 s15, s14, 1
	s_cmp_ge_u32 s3, s30
	s_cselect_b32 s3, s15, s14
	s_load_dwordx16 s[36:51], s[0:1], 0x28
	s_load_dwordx16 s[52:67], s[0:1], 0x68
	s_load_dwordx4 s[24:27], s[0:1], 0xf8
	s_load_dwordx4 s[4:7], s[0:1], 0xa8
	s_xor_b32 s3, s3, s2
	s_sub_i32 s75, s3, s2
	s_ashr_i32 s2, s74, 31
	s_waitcnt lgkmcnt(0)
	s_mul_i32 s3, s46, s2
	s_mul_hi_u32 s14, s46, s74
	s_add_i32 s3, s14, s3
	s_mul_i32 s14, s47, s74
	s_add_i32 s47, s3, s14
	s_ashr_i32 s14, s75, 31
	s_mul_i32 s3, s38, s14
	s_mul_hi_u32 s15, s38, s75
	s_add_i32 s3, s15, s3
	s_mul_i32 s15, s39, s75
	s_add_i32 s39, s3, s15
	s_mul_i32 s3, s58, s14
	s_mul_hi_u32 s15, s58, s75
	s_add_i32 s3, s15, s3
	s_mul_i32 s15, s59, s75
	s_add_i32 s76, s3, s15
	;; [unrolled: 5-line block ×3, first 2 shown]
	s_mul_i32 s2, s6, s74
	s_ashr_i32 s6, s33, 31
	s_load_dwordx2 s[28:29], s[0:1], 0x20
	s_mul_i32 s6, s4, s6
	s_mul_hi_u32 s7, s4, s33
	s_add_i32 s6, s7, s6
	s_mul_i32 s5, s5, s33
	s_add_i32 s5, s6, s5
	s_mul_i32 s6, s62, s14
	s_mul_hi_u32 s7, s62, s75
	s_add_i32 s6, s7, s6
	s_mul_i32 s7, s63, s75
	s_add_i32 s7, s6, s7
	s_lshl_b64 s[2:3], s[2:3], 2
	s_mul_i32 s4, s4, s33
	s_waitcnt lgkmcnt(0)
	s_add_u32 s14, s28, s2
	s_addc_u32 s15, s29, s3
	s_lshl_b64 s[2:3], s[4:5], 2
	s_mul_i32 s6, s62, s75
	s_add_u32 s4, s14, s2
	s_addc_u32 s5, s15, s3
	s_lshl_b64 s[2:3], s[6:7], 2
	s_add_u32 s14, s4, s2
	s_addc_u32 s15, s5, s3
	s_cmp_lt_i32 s26, 1
	s_mul_i32 s2, s33, s17
	s_load_dword s33, s[0:1], 0x108
	s_load_dword s17, s[0:1], 0x11c
	s_cselect_b64 s[28:29], -1, 0
	s_sub_i32 s23, s2, s23
	s_load_dwordx8 s[0:7], s[0:1], 0x0
	s_cmp_gt_i32 s27, 0
	s_cselect_b64 s[30:31], -1, 0
	s_waitcnt lgkmcnt(0)
	s_cmp_gt_i32 s33, 0
	s_cselect_b64 s[34:35], -1, 0
	s_cmp_gt_i32 s13, 0
	v_cmp_neq_f64_e64 s[68:69], s[4:5], 1.0
	v_cmp_neq_f64_e64 s[72:73], s[6:7], 0
	s_cselect_b64 s[62:63], -1, 0
	s_or_b64 s[68:69], s[68:69], s[72:73]
	s_abs_i32 s72, s12
	s_abs_i32 s73, s16
	v_cvt_f32_u32_e32 v2, s72
	s_ashr_i32 s70, s71, 31
	s_abs_i32 s71, s71
	v_cvt_f32_u32_e32 v5, s73
	v_cvt_f32_u32_e32 v7, s71
	v_rcp_iflag_f32_e32 v2, v2
	s_and_b32 s59, s17, 0xffff
	v_rcp_iflag_f32_e32 v5, v5
	v_rcp_iflag_f32_e32 v7, v7
	v_mul_f32_e32 v2, 0x4f7ffffe, v2
	v_cvt_u32_f32_e32 v2, v2
	v_mul_f32_e32 v5, 0x4f7ffffe, v5
	v_cvt_u32_f32_e32 v5, v5
	v_mul_f32_e32 v7, 0x4f7ffffe, v7
	s_mul_i32 s17, s58, s75
	s_ashr_i32 s58, s12, 31
	s_sub_i32 s77, 0, s72
	s_sub_i32 s78, 0, s73
	;; [unrolled: 1-line block ×3, first 2 shown]
	v_cvt_u32_f32_e32 v7, v7
	s_add_u32 s16, s2, s17
	s_addc_u32 s17, s3, s76
	s_mul_i32 s2, s46, s74
	s_mul_i32 s3, s38, s75
	v_mul_lo_u32 v4, s77, v2
	s_add_u32 s2, s3, s2
	v_mul_lo_u32 v6, s78, v5
	v_mul_hi_u32 v4, v2, v4
	s_addc_u32 s3, s39, s47
	v_mul_lo_u32 v8, s79, v7
	v_add_u32_e32 v18, v2, v4
	v_mul_hi_u32 v2, v5, v6
	s_add_u32 s74, s0, s2
	v_add_u32_e32 v19, v5, v2
	v_mul_hi_u32 v2, v7, v8
	v_cvt_i32_f64_e32 v1, s[4:5]
	v_cvt_i32_f64_e32 v3, s[6:7]
	s_addc_u32 s75, s1, s3
	s_mov_b64 s[6:7], 0
	v_add_u32_e32 v20, v7, v2
	s_branch .LBB81_3
.LBB81_2:                               ;   in Loop: Header=BB81_3 Depth=1
	v_add_u32_e32 v0, s59, v0
	v_cmp_le_i32_e32 vcc, s11, v0
	s_or_b64 s[6:7], vcc, s[6:7]
	s_andn2_b64 exec, exec, s[6:7]
	s_cbranch_execz .LBB81_23
.LBB81_3:                               ; =>This Loop Header: Depth=1
                                        ;     Child Loop BB81_8 Depth 2
                                        ;       Child Loop BB81_11 Depth 3
                                        ;         Child Loop BB81_14 Depth 4
                                        ;           Child Loop BB81_17 Depth 5
	v_sub_u32_e32 v4, 0, v0
	v_max_i32_e32 v4, v0, v4
	v_mul_hi_u32 v5, v4, v18
	v_mul_lo_u32 v7, v5, s72
	v_sub_u32_e32 v7, v4, v7
	v_add_u32_e32 v8, 1, v5
	v_cmp_le_u32_e32 vcc, s72, v7
	v_ashrrev_i32_e32 v6, 31, v0
	v_xor_b32_e32 v2, s58, v6
	v_cndmask_b32_e32 v5, v5, v8, vcc
	v_subrev_u32_e32 v8, s72, v7
	v_cndmask_b32_e32 v7, v7, v8, vcc
	v_add_u32_e32 v8, 1, v5
	v_cmp_le_u32_e32 vcc, s72, v7
	s_mov_b64 s[38:39], -1
                                        ; implicit-def: $sgpr46
	s_nop 0
	v_cndmask_b32_e32 v5, v5, v8, vcc
	v_xor_b32_e32 v5, v5, v2
	v_sub_u32_e32 v7, v5, v2
	v_sub_u32_e32 v5, 0, v7
	v_max_i32_e32 v5, v7, v5
	v_mul_hi_u32 v8, v5, v19
	v_mul_lo_u32 v8, v8, s73
	v_sub_u32_e32 v5, v5, v8
	v_subrev_u32_e32 v8, s73, v5
	v_cmp_le_u32_e32 vcc, s73, v5
	v_mul_lo_u32 v2, v7, s12
	v_sub_u32_e32 v2, v0, v2
	v_cndmask_b32_e32 v9, v5, v8, vcc
	v_mul_hi_u32 v8, v4, v20
	v_mul_lo_u32 v5, v8, s71
	v_sub_u32_e32 v4, v4, v5
	v_subrev_u32_e32 v5, s71, v4
	v_cmp_le_u32_e64 s[2:3], s71, v4
	v_cmp_le_u32_e64 s[0:1], s73, v9
	s_andn2_b64 vcc, exec, s[28:29]
	v_cndmask_b32_e64 v4, v4, v5, s[2:3]
	v_cmp_le_u32_e64 s[4:5], s71, v4
                                        ; implicit-def: $vgpr4_vgpr5
	s_cbranch_vccnz .LBB81_5
; %bb.4:                                ;   in Loop: Header=BB81_3 Depth=1
	v_ashrrev_i32_e32 v5, 31, v2
	s_mov_b64 s[38:39], 0
	s_mov_b32 s46, 0
.LBB81_5:                               ;   in Loop: Header=BB81_3 Depth=1
	v_ashrrev_i32_e32 v4, 31, v7
	v_subrev_u32_e32 v7, s73, v9
	v_cndmask_b32_e64 v7, v9, v7, s[0:1]
	v_xor_b32_e32 v7, v7, v4
	v_sub_u32_e32 v21, v7, v4
	v_xor_b32_e32 v4, s70, v6
	v_add_u32_e32 v6, 1, v8
	v_cndmask_b32_e64 v6, v8, v6, s[2:3]
	v_add_u32_e32 v7, 1, v6
	v_cndmask_b32_e64 v6, v6, v7, s[4:5]
	v_xor_b32_e32 v6, v6, v4
	v_sub_u32_e32 v22, v6, v4
	s_andn2_b64 vcc, exec, s[38:39]
	v_mov_b32_e32 v4, s46
	s_cbranch_vccnz .LBB81_19
; %bb.6:                                ;   in Loop: Header=BB81_3 Depth=1
	v_mul_lo_u32 v4, v22, s18
	v_subrev_u32_e32 v23, s24, v4
	v_mul_lo_u32 v4, v21, s19
	v_ashrrev_i32_e32 v5, 31, v2
	v_mov_b64_e32 v[6:7], s[16:17]
	v_subrev_u32_e32 v24, s25, v4
	v_mad_u64_u32 v[6:7], s[0:1], s56, v2, v[6:7]
	v_mul_lo_u32 v4, s57, v2
	v_mul_lo_u32 v8, s56, v5
	v_add3_u32 v7, v4, v7, v8
	s_mov_b32 s76, 0
	v_mov_b32_e32 v4, 0
	s_mov_b32 s77, s23
	s_branch .LBB81_8
.LBB81_7:                               ;   in Loop: Header=BB81_8 Depth=2
	s_add_i32 s76, s76, 1
	s_add_i32 s77, s77, s20
	s_cmp_eq_u32 s76, s26
	v_lshl_add_u64 v[6:7], v[6:7], 0, s[54:55]
	s_cbranch_scc1 .LBB81_19
.LBB81_8:                               ;   Parent Loop BB81_3 Depth=1
                                        ; =>  This Loop Header: Depth=2
                                        ;       Child Loop BB81_11 Depth 3
                                        ;         Child Loop BB81_14 Depth 4
                                        ;           Child Loop BB81_17 Depth 5
	s_andn2_b64 vcc, exec, s[30:31]
	s_cbranch_vccnz .LBB81_7
; %bb.9:                                ;   in Loop: Header=BB81_8 Depth=2
	s_mul_i32 s0, s45, s77
	s_mul_hi_u32 s1, s44, s77
	s_add_i32 s5, s1, s0
	s_mul_i32 s0, s76, s20
	s_add_i32 s2, s0, s23
	s_cmp_lt_i32 s2, 0
	s_cselect_b64 s[0:1], -1, 0
	s_cmp_ge_i32 s2, s8
	s_cselect_b64 s[2:3], -1, 0
	s_mul_i32 s4, s44, s77
	s_or_b64 s[2:3], s[0:1], s[2:3]
	s_add_u32 s4, s74, s4
	s_mov_b32 s78, 0
	s_addc_u32 s5, s75, s5
	v_mov_b32_e32 v25, v23
	v_mov_b64_e32 v[8:9], v[6:7]
	s_branch .LBB81_11
.LBB81_10:                              ;   in Loop: Header=BB81_11 Depth=3
	s_add_i32 s78, s78, 1
	v_lshl_add_u64 v[8:9], v[8:9], 0, s[52:53]
	s_cmp_eq_u32 s78, s27
	v_add_u32_e32 v25, s21, v25
	s_cbranch_scc1 .LBB81_7
.LBB81_11:                              ;   Parent Loop BB81_3 Depth=1
                                        ;     Parent Loop BB81_8 Depth=2
                                        ; =>    This Loop Header: Depth=3
                                        ;         Child Loop BB81_14 Depth 4
                                        ;           Child Loop BB81_17 Depth 5
	s_andn2_b64 vcc, exec, s[34:35]
	s_cbranch_vccnz .LBB81_10
; %bb.12:                               ;   in Loop: Header=BB81_11 Depth=3
	s_mul_i32 s0, s78, s21
	v_add_u32_e32 v10, s0, v23
	v_cmp_gt_i32_e32 vcc, 0, v10
	v_cmp_le_i32_e64 s[0:1], s9, v10
	v_mov_b64_e32 v[10:11], s[4:5]
	s_or_b64 s[38:39], vcc, s[0:1]
	v_mad_u64_u32 v[10:11], s[0:1], s42, v25, v[10:11]
	v_mov_b32_e32 v12, v11
	v_mad_u64_u32 v[12:13], s[0:1], s43, v25, v[12:13]
	s_mov_b32 s79, 0
	v_mov_b32_e32 v11, v12
	v_mov_b32_e32 v26, v24
	v_mov_b64_e32 v[12:13], v[8:9]
	s_branch .LBB81_14
.LBB81_13:                              ;   in Loop: Header=BB81_14 Depth=4
	s_add_i32 s79, s79, 1
	v_lshl_add_u64 v[12:13], v[12:13], 0, s[50:51]
	s_cmp_eq_u32 s79, s33
	v_add_u32_e32 v26, s22, v26
	s_cbranch_scc1 .LBB81_10
.LBB81_14:                              ;   Parent Loop BB81_3 Depth=1
                                        ;     Parent Loop BB81_8 Depth=2
                                        ;       Parent Loop BB81_11 Depth=3
                                        ; =>      This Loop Header: Depth=4
                                        ;           Child Loop BB81_17 Depth 5
	s_andn2_b64 vcc, exec, s[62:63]
	s_cbranch_vccnz .LBB81_13
; %bb.15:                               ;   in Loop: Header=BB81_14 Depth=4
	v_mad_u64_u32 v[14:15], s[0:1], s40, v26, v[10:11]
	v_mov_b32_e32 v16, v15
	v_mad_u64_u32 v[16:17], s[0:1], s41, v26, v[16:17]
	s_mul_i32 s0, s79, s22
	v_mov_b32_e32 v15, v16
	v_add_u32_e32 v16, s0, v24
	v_cmp_gt_i32_e32 vcc, 0, v16
	v_cmp_le_i32_e64 s[0:1], s10, v16
	s_or_b64 s[0:1], vcc, s[0:1]
	s_or_b64 s[0:1], s[2:3], s[0:1]
	s_or_b64 s[0:1], s[38:39], s[0:1]
	s_xor_b64 s[0:1], s[0:1], -1
	v_mov_b64_e32 v[16:17], v[12:13]
	s_mov_b32 s80, s13
	s_branch .LBB81_17
.LBB81_16:                              ;   in Loop: Header=BB81_17 Depth=5
	s_or_b64 exec, exec, s[46:47]
	s_add_i32 s80, s80, -1
	v_lshl_add_u64 v[16:17], v[16:17], 0, s[48:49]
	s_cmp_eq_u32 s80, 0
	v_lshl_add_u64 v[14:15], v[14:15], 0, s[36:37]
	s_cbranch_scc1 .LBB81_13
.LBB81_17:                              ;   Parent Loop BB81_3 Depth=1
                                        ;     Parent Loop BB81_8 Depth=2
                                        ;       Parent Loop BB81_11 Depth=3
                                        ;         Parent Loop BB81_14 Depth=4
                                        ; =>        This Inner Loop Header: Depth=5
	s_and_saveexec_b64 s[46:47], s[0:1]
	s_cbranch_execz .LBB81_16
; %bb.18:                               ;   in Loop: Header=BB81_17 Depth=5
	global_load_sbyte v27, v[14:15], off
	global_load_sbyte v28, v[16:17], off
	s_waitcnt vmcnt(0)
	v_mad_i32_i24 v4, v28, v27, v4
	s_branch .LBB81_16
.LBB81_19:                              ;   in Loop: Header=BB81_3 Depth=1
	v_ashrrev_i32_e32 v6, 31, v21
	v_mul_lo_u32 v9, s65, v21
	v_mul_lo_u32 v10, s64, v6
	v_mad_u64_u32 v[6:7], s[0:1], s64, v21, 0
	v_ashrrev_i32_e32 v8, 31, v22
	v_add3_u32 v7, v7, v10, v9
	v_mad_u64_u32 v[6:7], s[0:1], s66, v22, v[6:7]
	v_mul_lo_u32 v9, s67, v22
	v_mul_lo_u32 v8, s66, v8
	v_add3_u32 v7, v9, v7, v8
	v_mad_u64_u32 v[6:7], s[0:1], v2, s60, v[6:7]
	v_mul_lo_u32 v2, v2, s61
	v_mul_lo_u32 v5, v5, s60
	v_add3_u32 v7, v5, v7, v2
	s_mov_b64 s[0:1], -1
	s_and_b64 vcc, exec, s[68:69]
	s_cbranch_vccz .LBB81_21
; %bb.20:                               ;   in Loop: Header=BB81_3 Depth=1
	v_lshl_add_u64 v[8:9], v[6:7], 2, s[14:15]
	global_load_dword v5, v[8:9], off
	v_mul_lo_u32 v2, v4, v1
	s_waitcnt vmcnt(0)
	v_mad_u64_u32 v[10:11], s[0:1], v5, v3, v[2:3]
	global_store_dword v[8:9], v10, off
	s_mov_b64 s[0:1], 0
.LBB81_21:                              ;   in Loop: Header=BB81_3 Depth=1
	s_andn2_b64 vcc, exec, s[0:1]
	s_cbranch_vccnz .LBB81_2
; %bb.22:                               ;   in Loop: Header=BB81_3 Depth=1
	v_lshl_add_u64 v[6:7], v[6:7], 2, s[14:15]
	global_store_dword v[6:7], v4, off
	s_branch .LBB81_2
.LBB81_23:
	s_endpgm
	.section	.rodata,"a",@progbits
	.p2align	6, 0x0
	.amdhsa_kernel naive_conv_ab_nonpacked_fwd_ndhwc_int8_t_int32_t_int32_t_0
		.amdhsa_group_segment_fixed_size 0
		.amdhsa_private_segment_fixed_size 0
		.amdhsa_kernarg_size 528
		.amdhsa_user_sgpr_count 2
		.amdhsa_user_sgpr_dispatch_ptr 0
		.amdhsa_user_sgpr_queue_ptr 0
		.amdhsa_user_sgpr_kernarg_segment_ptr 1
		.amdhsa_user_sgpr_dispatch_id 0
		.amdhsa_user_sgpr_kernarg_preload_length 0
		.amdhsa_user_sgpr_kernarg_preload_offset 0
		.amdhsa_user_sgpr_private_segment_size 0
		.amdhsa_uses_dynamic_stack 0
		.amdhsa_enable_private_segment 0
		.amdhsa_system_sgpr_workgroup_id_x 1
		.amdhsa_system_sgpr_workgroup_id_y 0
		.amdhsa_system_sgpr_workgroup_id_z 0
		.amdhsa_system_sgpr_workgroup_info 0
		.amdhsa_system_vgpr_workitem_id 0
		.amdhsa_next_free_vgpr 29
		.amdhsa_next_free_sgpr 81
		.amdhsa_accum_offset 32
		.amdhsa_reserve_vcc 1
		.amdhsa_float_round_mode_32 0
		.amdhsa_float_round_mode_16_64 0
		.amdhsa_float_denorm_mode_32 3
		.amdhsa_float_denorm_mode_16_64 3
		.amdhsa_dx10_clamp 1
		.amdhsa_ieee_mode 1
		.amdhsa_fp16_overflow 0
		.amdhsa_tg_split 0
		.amdhsa_exception_fp_ieee_invalid_op 0
		.amdhsa_exception_fp_denorm_src 0
		.amdhsa_exception_fp_ieee_div_zero 0
		.amdhsa_exception_fp_ieee_overflow 0
		.amdhsa_exception_fp_ieee_underflow 0
		.amdhsa_exception_fp_ieee_inexact 0
		.amdhsa_exception_int_div_zero 0
	.end_amdhsa_kernel
	.text
.Lfunc_end81:
	.size	naive_conv_ab_nonpacked_fwd_ndhwc_int8_t_int32_t_int32_t_0, .Lfunc_end81-naive_conv_ab_nonpacked_fwd_ndhwc_int8_t_int32_t_int32_t_0
                                        ; -- End function
	.section	.AMDGPU.csdata,"",@progbits
; Kernel info:
; codeLenInByte = 1848
; NumSgprs: 87
; NumVgprs: 29
; NumAgprs: 0
; TotalNumVgprs: 29
; ScratchSize: 0
; MemoryBound: 0
; FloatMode: 240
; IeeeMode: 1
; LDSByteSize: 0 bytes/workgroup (compile time only)
; SGPRBlocks: 10
; VGPRBlocks: 3
; NumSGPRsForWavesPerEU: 87
; NumVGPRsForWavesPerEU: 29
; AccumOffset: 32
; Occupancy: 8
; WaveLimiterHint : 1
; COMPUTE_PGM_RSRC2:SCRATCH_EN: 0
; COMPUTE_PGM_RSRC2:USER_SGPR: 2
; COMPUTE_PGM_RSRC2:TRAP_HANDLER: 0
; COMPUTE_PGM_RSRC2:TGID_X_EN: 1
; COMPUTE_PGM_RSRC2:TGID_Y_EN: 0
; COMPUTE_PGM_RSRC2:TGID_Z_EN: 0
; COMPUTE_PGM_RSRC2:TIDIG_COMP_CNT: 0
; COMPUTE_PGM_RSRC3_GFX90A:ACCUM_OFFSET: 7
; COMPUTE_PGM_RSRC3_GFX90A:TG_SPLIT: 0
	.text
	.protected	naive_conv_ab_packed_fwd_ndhwc_int8_t_int32_t_float_0 ; -- Begin function naive_conv_ab_packed_fwd_ndhwc_int8_t_int32_t_float_0
	.globl	naive_conv_ab_packed_fwd_ndhwc_int8_t_int32_t_float_0
	.p2align	8
	.type	naive_conv_ab_packed_fwd_ndhwc_int8_t_int32_t_float_0,@function
naive_conv_ab_packed_fwd_ndhwc_int8_t_int32_t_float_0: ; @naive_conv_ab_packed_fwd_ndhwc_int8_t_int32_t_float_0
; %bb.0:
	s_load_dwordx16 s[8:23], s[0:1], 0xb8
	s_abs_i32 s34, s2
	s_waitcnt lgkmcnt(0)
	s_abs_i32 s3, s14
	v_cvt_f32_u32_e32 v1, s3
	s_sub_i32 s5, 0, s3
	s_mul_i32 s4, s14, s11
	v_rcp_iflag_f32_e32 v1, v1
	s_nop 0
	v_mul_f32_e32 v1, 0x4f7ffffe, v1
	v_cvt_u32_f32_e32 v1, v1
	s_nop 0
	v_readfirstlane_b32 s6, v1
	s_mul_i32 s5, s5, s6
	s_mul_hi_u32 s5, s6, s5
	s_add_i32 s6, s6, s5
	s_mul_hi_u32 s5, s34, s6
	s_mul_i32 s6, s5, s3
	s_sub_i32 s6, s34, s6
	s_add_i32 s7, s5, 1
	s_sub_i32 s24, s6, s3
	s_cmp_ge_u32 s6, s3
	s_cselect_b32 s5, s7, s5
	s_cselect_b32 s6, s24, s6
	s_add_i32 s7, s5, 1
	s_cmp_ge_u32 s6, s3
	s_cselect_b32 s5, s7, s5
	s_abs_i32 s40, s11
	s_abs_i32 s35, s4
	v_cvt_f32_u32_e32 v1, s40
	v_cvt_f32_u32_e32 v2, s35
	s_mul_i32 s3, s16, s12
	s_mul_i32 s11, s3, s15
	v_rcp_iflag_f32_e32 v1, v1
	v_rcp_iflag_f32_e32 v2, v2
	v_cmp_gt_i32_e32 vcc, s11, v0
	v_mul_f32_e32 v1, 0x4f7ffffe, v1
	v_mul_f32_e32 v2, 0x4f7ffffe, v2
	v_cvt_u32_f32_e32 v1, v1
	v_cvt_u32_f32_e32 v2, v2
	v_readfirstlane_b32 s7, v1
	v_readfirstlane_b32 s6, v2
	s_and_saveexec_b64 s[24:25], vcc
	s_cbranch_execz .LBB82_21
; %bb.1:
	s_ashr_i32 s41, s2, 31
	s_ashr_i32 s33, s14, 31
	s_xor_b32 s33, s41, s33
	s_xor_b32 s5, s5, s33
	s_sub_i32 s42, s5, s33
	s_sub_i32 s5, 0, s40
	s_mul_i32 s5, s5, s7
	s_mul_hi_u32 s5, s7, s5
	s_ashr_i32 s46, s4, 31
	s_sub_i32 s4, 0, s35
	s_abs_i32 s44, s42
	s_add_i32 s7, s7, s5
	s_mul_i32 s4, s4, s6
	s_mul_hi_u32 s45, s44, s7
	s_mul_hi_u32 s4, s6, s4
	s_add_i32 s4, s6, s4
	s_mul_i32 s45, s45, s40
	s_load_dwordx8 s[24:31], s[0:1], 0x0
	s_ashr_i32 s43, s42, 31
	s_load_dwordx2 s[6:7], s[0:1], 0x108
	s_mul_hi_u32 s47, s34, s4
	s_load_dwordx2 s[4:5], s[0:1], 0x20
	s_load_dwordx4 s[36:39], s[0:1], 0xf8
	s_load_dword s54, s[0:1], 0x11c
	s_mul_i32 s42, s42, s14
	s_sub_i32 s0, s44, s45
	s_sub_i32 s2, s2, s42
	;; [unrolled: 1-line block ×3, first 2 shown]
	s_cmp_ge_u32 s0, s40
	s_cselect_b32 s0, s1, s0
	s_sub_i32 s1, s0, s40
	s_cmp_ge_u32 s0, s40
	s_cselect_b32 s0, s1, s0
	s_mul_i32 s1, s47, s35
	s_xor_b32 s0, s0, s43
	s_sub_i32 s1, s34, s1
	s_sub_i32 s55, s0, s43
	s_xor_b32 s0, s41, s46
	s_add_i32 s34, s47, 1
	s_sub_i32 s40, s1, s35
	s_cmp_ge_u32 s1, s35
	s_cselect_b32 s34, s34, s47
	s_cselect_b32 s1, s40, s1
	s_add_i32 s40, s34, 1
	s_cmp_ge_u32 s1, s35
	s_cselect_b32 s1, s40, s34
	s_xor_b32 s1, s1, s0
	s_waitcnt lgkmcnt(0)
	s_mul_i32 s33, s7, s12
	s_mul_i32 s7, s7, s13
	s_sub_i32 s0, s1, s0
	s_ashr_i32 s58, s9, 31
	s_ashr_i32 s59, s10, 31
	;; [unrolled: 1-line block ×4, first 2 shown]
	s_mul_hi_i32 s56, s0, s13
	s_mul_i32 s57, s0, s13
	s_mul_hi_i32 s41, s0, s12
	s_mul_i32 s40, s0, s12
	s_ashr_i32 s70, s38, 31
	s_mul_hi_i32 s0, s55, s14
	s_mul_i32 s1, s55, s14
	s_ashr_i32 s62, s33, 31
	s_ashr_i32 s14, s2, 31
	s_add_u32 s42, s1, s2
	s_addc_u32 s0, s0, s14
	s_mul_i32 s14, s16, s15
	s_mul_hi_i32 s1, s16, s15
	s_mul_hi_u32 s15, s14, s33
	s_mul_i32 s43, s14, s62
	s_add_i32 s15, s15, s43
	s_mul_i32 s1, s1, s33
	s_mul_i32 s14, s14, s33
	s_add_i32 s1, s15, s1
	s_mul_i32 s0, s14, s0
	s_mul_hi_u32 s15, s14, s42
	s_add_i32 s0, s15, s0
	s_mul_i32 s1, s1, s42
	s_add_i32 s1, s0, s1
	s_mul_i32 s0, s14, s42
	s_lshl_b64 s[0:1], s[0:1], 2
	s_add_u32 s4, s4, s0
	s_addc_u32 s5, s5, s1
	s_lshl_b64 s[0:1], s[40:41], 2
	s_add_u32 s14, s4, s0
	s_addc_u32 s15, s5, s1
	s_cmp_lt_i32 s38, 1
	s_mul_i32 s2, s2, s17
	s_cselect_b64 s[42:43], -1, 0
	s_sub_i32 s17, s2, s23
	s_cmp_gt_i32 s39, 0
	s_cselect_b64 s[44:45], -1, 0
	s_cmp_gt_i32 s6, 0
	s_cselect_b64 s[46:47], -1, 0
	;; [unrolled: 2-line block ×3, first 2 shown]
	s_abs_i32 s23, s12
	v_cvt_f32_u32_e32 v1, s23
	s_abs_i32 s64, s16
	v_cvt_f32_u32_e32 v3, s64
	s_abs_i32 s66, s3
	v_rcp_iflag_f32_e32 v2, v1
	v_cmp_neq_f64_e64 s[0:1], s[28:29], 1.0
	v_cmp_neq_f64_e64 s[4:5], s[30:31], 0
	v_cvt_f32_u32_e32 v5, s66
	v_mul_f32_e32 v2, 0x4f7ffffe, v2
	v_cvt_u32_f32_e32 v2, v2
	s_or_b64 s[52:53], s[0:1], s[4:5]
	s_sub_i32 s0, 0, s23
	v_rcp_iflag_f32_e32 v3, v3
	v_mul_lo_u32 v4, s0, v2
	v_mul_hi_u32 v4, v2, v4
	v_add_u32_e32 v25, v2, v4
	v_rcp_iflag_f32_e32 v2, v5
	v_mul_f32_e32 v3, 0x4f7ffffe, v3
	v_cvt_u32_f32_e32 v3, v3
	s_sub_i32 s0, 0, s64
	v_mul_f32_e32 v2, 0x4f7ffffe, v2
	v_cvt_u32_f32_e32 v2, v2
	s_mul_i32 s1, s6, s39
	v_cvt_i32_f64_e32 v1, s[28:29]
	s_and_b32 s63, s54, 0xffff
	s_ashr_i32 s65, s12, 31
	v_mul_lo_u32 v4, s0, v3
	s_ashr_i32 s67, s3, 31
	s_sub_i32 s0, 0, s66
	s_mul_i32 s28, s1, s13
	v_mul_hi_u32 v4, v3, v4
	s_add_u32 s24, s24, s57
	s_mul_i32 s2, s28, s70
	s_mul_hi_u32 s3, s28, s38
	v_add_u32_e32 v26, v3, v4
	v_mul_lo_u32 v3, s0, v2
	s_addc_u32 s25, s25, s56
	s_mul_hi_i32 s0, s6, s39
	s_add_i32 s2, s3, s2
	s_mul_i32 s3, s1, s35
	s_mul_hi_u32 s1, s1, s13
	s_add_i32 s1, s1, s3
	s_mul_i32 s0, s0, s13
	s_add_i32 s29, s1, s0
	v_mul_hi_u32 v3, v2, v3
	s_mul_i32 s0, s29, s38
	s_mov_b32 s34, s13
	s_mov_b32 s61, s39
	s_mov_b64 s[50:51], 0
	v_cvt_i32_f64_e32 v24, s[30:31]
	v_add_u32_e32 v27, v2, v3
	s_mul_hi_i32 s68, s8, s55
	s_mul_i32 s69, s8, s55
	s_add_i32 s39, s2, s0
	s_mul_i32 s70, s28, s38
	s_mul_hi_i32 s31, s6, s13
	s_mul_i32 s30, s6, s13
	v_mov_b32_e32 v3, 0
	s_branch .LBB82_3
.LBB82_2:                               ;   in Loop: Header=BB82_3 Depth=1
	v_cvt_f32_i32_e32 v2, v8
	v_add_u32_e32 v0, s63, v0
	v_cmp_le_i32_e32 vcc, s11, v0
	s_or_b64 s[50:51], vcc, s[50:51]
	global_store_dword v[4:5], v2, off
	s_andn2_b64 exec, exec, s[50:51]
	s_cbranch_execz .LBB82_21
.LBB82_3:                               ; =>This Loop Header: Depth=1
                                        ;     Child Loop BB82_8 Depth 2
                                        ;       Child Loop BB82_11 Depth 3
                                        ;         Child Loop BB82_14 Depth 4
                                        ;           Child Loop BB82_17 Depth 5
	v_sub_u32_e32 v5, 0, v0
	v_max_i32_e32 v5, v0, v5
	v_mul_hi_u32 v6, v5, v25
	v_mul_lo_u32 v7, v6, s23
	v_sub_u32_e32 v7, v5, v7
	v_add_u32_e32 v8, 1, v6
	v_cmp_le_u32_e32 vcc, s23, v7
	v_ashrrev_i32_e32 v2, 31, v0
	v_xor_b32_e32 v4, s65, v2
	v_cndmask_b32_e32 v6, v6, v8, vcc
	v_subrev_u32_e32 v8, s23, v7
	v_cndmask_b32_e32 v7, v7, v8, vcc
	v_add_u32_e32 v8, 1, v6
	v_cmp_le_u32_e32 vcc, s23, v7
	s_mov_b64 s[54:55], -1
                                        ; implicit-def: $sgpr56
	s_nop 0
	v_cndmask_b32_e32 v6, v6, v8, vcc
	v_xor_b32_e32 v6, v6, v4
	v_sub_u32_e32 v6, v6, v4
	v_sub_u32_e32 v7, 0, v6
	v_max_i32_e32 v7, v6, v7
	v_mul_hi_u32 v8, v7, v26
	v_mul_lo_u32 v8, v8, s64
	v_sub_u32_e32 v7, v7, v8
	v_subrev_u32_e32 v8, s64, v7
	v_cmp_le_u32_e32 vcc, s64, v7
	v_mul_lo_u32 v4, v6, s12
	v_sub_u32_e32 v4, v0, v4
	v_cndmask_b32_e32 v8, v7, v8, vcc
	v_mul_hi_u32 v7, v5, v27
	v_mul_lo_u32 v9, v7, s66
	v_sub_u32_e32 v5, v5, v9
	v_subrev_u32_e32 v9, s66, v5
	v_cmp_le_u32_e64 s[2:3], s66, v5
	v_cmp_le_u32_e64 s[0:1], s64, v8
	s_andn2_b64 vcc, exec, s[42:43]
	v_cndmask_b32_e64 v5, v5, v9, s[2:3]
	v_cmp_le_u32_e64 s[4:5], s66, v5
	s_cbranch_vccnz .LBB82_5
; %bb.4:                                ;   in Loop: Header=BB82_3 Depth=1
	v_ashrrev_i32_e32 v5, 31, v4
	s_mov_b64 s[54:55], 0
	s_mov_b32 s56, 0
.LBB82_5:                               ;   in Loop: Header=BB82_3 Depth=1
	v_subrev_u32_e32 v9, s64, v8
	v_ashrrev_i32_e32 v6, 31, v6
	v_cndmask_b32_e64 v8, v8, v9, s[0:1]
	v_xor_b32_e32 v8, v8, v6
	v_sub_u32_e32 v6, v8, v6
	v_add_u32_e32 v8, 1, v7
	v_cndmask_b32_e64 v7, v7, v8, s[2:3]
	v_add_u32_e32 v8, 1, v7
	v_xor_b32_e32 v2, s67, v2
	v_cndmask_b32_e64 v7, v7, v8, s[4:5]
	v_xor_b32_e32 v7, v7, v2
	v_sub_u32_e32 v9, v7, v2
	s_andn2_b64 vcc, exec, s[54:55]
	v_mov_b32_e32 v8, s56
	s_cbranch_vccnz .LBB82_19
; %bb.6:                                ;   in Loop: Header=BB82_3 Depth=1
	v_mul_lo_u32 v2, v9, s18
	v_ashrrev_i32_e32 v5, 31, v4
	v_subrev_u32_e32 v7, s36, v2
	v_mul_lo_u32 v2, v6, s19
	v_lshl_add_u64 v[10:11], s[40:41], 0, v[4:5]
	v_mov_b64_e32 v[12:13], s[26:27]
	v_subrev_u32_e32 v28, s37, v2
	v_mul_lo_u32 v2, s70, v11
	v_mul_lo_u32 v8, s39, v10
	v_mad_u64_u32 v[10:11], s[0:1], s70, v10, v[12:13]
	v_add3_u32 v11, v8, v11, v2
	s_mov_b32 s71, 0
	v_mov_b32_e32 v8, 0
	s_mov_b32 s72, s17
	s_branch .LBB82_8
.LBB82_7:                               ;   in Loop: Header=BB82_8 Depth=2
	s_add_i32 s71, s71, 1
	s_add_i32 s72, s72, s20
	s_cmp_eq_u32 s71, s38
	v_lshl_add_u64 v[10:11], v[10:11], 0, s[28:29]
	s_cbranch_scc1 .LBB82_19
.LBB82_8:                               ;   Parent Loop BB82_3 Depth=1
                                        ; =>  This Loop Header: Depth=2
                                        ;       Child Loop BB82_11 Depth 3
                                        ;         Child Loop BB82_14 Depth 4
                                        ;           Child Loop BB82_17 Depth 5
	s_andn2_b64 vcc, exec, s[44:45]
	s_cbranch_vccnz .LBB82_7
; %bb.9:                                ;   in Loop: Header=BB82_8 Depth=2
	s_add_u32 s0, s69, s72
	s_addc_u32 s1, s68, 0
	s_mul_i32 s1, s9, s1
	s_mul_hi_u32 s2, s9, s0
	s_add_i32 s1, s2, s1
	s_mul_i32 s2, s58, s0
	s_add_i32 s3, s1, s2
	s_mul_i32 s2, s9, s0
	s_mul_i32 s0, s71, s20
	s_add_i32 s4, s0, s17
	s_cmp_lt_i32 s4, 0
	s_cselect_b64 s[0:1], -1, 0
	s_cmp_ge_i32 s4, s8
	s_cselect_b64 s[4:5], -1, 0
	s_mov_b32 s73, 0
	s_or_b64 s[4:5], s[0:1], s[4:5]
	v_mov_b64_e32 v[12:13], v[10:11]
	v_mov_b32_e32 v14, v7
	s_branch .LBB82_11
.LBB82_10:                              ;   in Loop: Header=BB82_11 Depth=3
	s_add_i32 s73, s73, 1
	v_add_u32_e32 v14, s21, v14
	s_cmp_eq_u32 s73, s61
	v_lshl_add_u64 v[12:13], v[12:13], 0, s[30:31]
	s_cbranch_scc1 .LBB82_7
.LBB82_11:                              ;   Parent Loop BB82_3 Depth=1
                                        ;     Parent Loop BB82_8 Depth=2
                                        ; =>    This Loop Header: Depth=3
                                        ;         Child Loop BB82_14 Depth 4
                                        ;           Child Loop BB82_17 Depth 5
	s_andn2_b64 vcc, exec, s[46:47]
	s_cbranch_vccnz .LBB82_10
; %bb.12:                               ;   in Loop: Header=BB82_11 Depth=3
	v_mov_b32_e32 v15, v3
	v_lshl_add_u64 v[16:17], s[2:3], 0, v[14:15]
	v_mul_lo_u32 v2, s59, v16
	v_mul_lo_u32 v15, s10, v17
	v_mad_u64_u32 v[16:17], s[0:1], s10, v16, 0
	s_mul_i32 s0, s73, s21
	v_add3_u32 v17, v17, v15, v2
	v_add_u32_e32 v2, s0, v7
	v_cmp_gt_i32_e32 vcc, 0, v2
	v_cmp_le_i32_e64 s[0:1], s9, v2
	s_mov_b32 s74, 0
	s_or_b64 s[54:55], vcc, s[0:1]
	v_mov_b64_e32 v[18:19], v[12:13]
	v_mov_b32_e32 v2, v28
	s_branch .LBB82_14
.LBB82_13:                              ;   in Loop: Header=BB82_14 Depth=4
	s_add_i32 s74, s74, 1
	v_add_u32_e32 v2, s22, v2
	s_cmp_eq_u32 s74, s6
	v_lshl_add_u64 v[18:19], v[18:19], 0, s[34:35]
	s_cbranch_scc1 .LBB82_10
.LBB82_14:                              ;   Parent Loop BB82_3 Depth=1
                                        ;     Parent Loop BB82_8 Depth=2
                                        ;       Parent Loop BB82_11 Depth=3
                                        ; =>      This Loop Header: Depth=4
                                        ;           Child Loop BB82_17 Depth 5
	s_andn2_b64 vcc, exec, s[48:49]
	s_cbranch_vccnz .LBB82_13
; %bb.15:                               ;   in Loop: Header=BB82_14 Depth=4
	v_lshl_add_u64 v[20:21], v[16:17], 0, v[2:3]
	v_mov_b64_e32 v[22:23], s[24:25]
	v_mul_lo_u32 v15, s7, v21
	v_mul_lo_u32 v29, s60, v20
	v_mad_u64_u32 v[20:21], s[0:1], s7, v20, v[22:23]
	s_mul_i32 s0, s74, s22
	v_add3_u32 v21, v29, v21, v15
	v_add_u32_e32 v15, s0, v28
	v_cmp_gt_i32_e32 vcc, 0, v15
	v_cmp_le_i32_e64 s[0:1], s10, v15
	s_or_b64 s[0:1], vcc, s[0:1]
	s_or_b64 s[0:1], s[4:5], s[0:1]
	s_or_b64 s[0:1], s[54:55], s[0:1]
	s_xor_b64 s[0:1], s[0:1], -1
	v_mov_b64_e32 v[22:23], v[18:19]
	s_mov_b32 s75, s13
	s_branch .LBB82_17
.LBB82_16:                              ;   in Loop: Header=BB82_17 Depth=5
	s_or_b64 exec, exec, s[56:57]
	s_add_i32 s75, s75, -1
	v_lshl_add_u64 v[20:21], v[20:21], 0, 1
	s_cmp_eq_u32 s75, 0
	v_lshl_add_u64 v[22:23], v[22:23], 0, 1
	s_cbranch_scc1 .LBB82_13
.LBB82_17:                              ;   Parent Loop BB82_3 Depth=1
                                        ;     Parent Loop BB82_8 Depth=2
                                        ;       Parent Loop BB82_11 Depth=3
                                        ;         Parent Loop BB82_14 Depth=4
                                        ; =>        This Inner Loop Header: Depth=5
	s_and_saveexec_b64 s[56:57], s[0:1]
	s_cbranch_execz .LBB82_16
; %bb.18:                               ;   in Loop: Header=BB82_17 Depth=5
	global_load_sbyte v15, v[20:21], off
	global_load_sbyte v29, v[22:23], off
	s_waitcnt vmcnt(0)
	v_mad_i32_i24 v8, v29, v15, v8
	s_branch .LBB82_16
.LBB82_19:                              ;   in Loop: Header=BB82_3 Depth=1
	v_ashrrev_i32_e32 v7, 31, v6
	v_mad_i64_i32 v[6:7], s[0:1], v9, s16, v[6:7]
	v_mul_lo_u32 v2, v7, s33
	v_mul_lo_u32 v9, v6, s62
	v_mad_u64_u32 v[6:7], s[0:1], v6, s33, 0
	v_add3_u32 v7, v7, v9, v2
	v_lshl_add_u64 v[6:7], v[6:7], 2, s[14:15]
	s_andn2_b64 vcc, exec, s[52:53]
	v_lshl_add_u64 v[4:5], v[4:5], 2, v[6:7]
	s_cbranch_vccnz .LBB82_2
; %bb.20:                               ;   in Loop: Header=BB82_3 Depth=1
	global_load_dword v2, v[4:5], off
	s_waitcnt vmcnt(0)
	v_cvt_i32_f32_e32 v6, v2
	v_mul_lo_u32 v2, v8, v1
	v_mad_u64_u32 v[8:9], s[0:1], v6, v24, v[2:3]
	s_branch .LBB82_2
.LBB82_21:
	s_endpgm
	.section	.rodata,"a",@progbits
	.p2align	6, 0x0
	.amdhsa_kernel naive_conv_ab_packed_fwd_ndhwc_int8_t_int32_t_float_0
		.amdhsa_group_segment_fixed_size 0
		.amdhsa_private_segment_fixed_size 0
		.amdhsa_kernarg_size 528
		.amdhsa_user_sgpr_count 2
		.amdhsa_user_sgpr_dispatch_ptr 0
		.amdhsa_user_sgpr_queue_ptr 0
		.amdhsa_user_sgpr_kernarg_segment_ptr 1
		.amdhsa_user_sgpr_dispatch_id 0
		.amdhsa_user_sgpr_kernarg_preload_length 0
		.amdhsa_user_sgpr_kernarg_preload_offset 0
		.amdhsa_user_sgpr_private_segment_size 0
		.amdhsa_uses_dynamic_stack 0
		.amdhsa_enable_private_segment 0
		.amdhsa_system_sgpr_workgroup_id_x 1
		.amdhsa_system_sgpr_workgroup_id_y 0
		.amdhsa_system_sgpr_workgroup_id_z 0
		.amdhsa_system_sgpr_workgroup_info 0
		.amdhsa_system_vgpr_workitem_id 0
		.amdhsa_next_free_vgpr 30
		.amdhsa_next_free_sgpr 76
		.amdhsa_accum_offset 32
		.amdhsa_reserve_vcc 1
		.amdhsa_float_round_mode_32 0
		.amdhsa_float_round_mode_16_64 0
		.amdhsa_float_denorm_mode_32 3
		.amdhsa_float_denorm_mode_16_64 3
		.amdhsa_dx10_clamp 1
		.amdhsa_ieee_mode 1
		.amdhsa_fp16_overflow 0
		.amdhsa_tg_split 0
		.amdhsa_exception_fp_ieee_invalid_op 0
		.amdhsa_exception_fp_denorm_src 0
		.amdhsa_exception_fp_ieee_div_zero 0
		.amdhsa_exception_fp_ieee_overflow 0
		.amdhsa_exception_fp_ieee_underflow 0
		.amdhsa_exception_fp_ieee_inexact 0
		.amdhsa_exception_int_div_zero 0
	.end_amdhsa_kernel
	.text
.Lfunc_end82:
	.size	naive_conv_ab_packed_fwd_ndhwc_int8_t_int32_t_float_0, .Lfunc_end82-naive_conv_ab_packed_fwd_ndhwc_int8_t_int32_t_float_0
                                        ; -- End function
	.section	.AMDGPU.csdata,"",@progbits
; Kernel info:
; codeLenInByte = 1816
; NumSgprs: 82
; NumVgprs: 30
; NumAgprs: 0
; TotalNumVgprs: 30
; ScratchSize: 0
; MemoryBound: 0
; FloatMode: 240
; IeeeMode: 1
; LDSByteSize: 0 bytes/workgroup (compile time only)
; SGPRBlocks: 10
; VGPRBlocks: 3
; NumSGPRsForWavesPerEU: 82
; NumVGPRsForWavesPerEU: 30
; AccumOffset: 32
; Occupancy: 8
; WaveLimiterHint : 1
; COMPUTE_PGM_RSRC2:SCRATCH_EN: 0
; COMPUTE_PGM_RSRC2:USER_SGPR: 2
; COMPUTE_PGM_RSRC2:TRAP_HANDLER: 0
; COMPUTE_PGM_RSRC2:TGID_X_EN: 1
; COMPUTE_PGM_RSRC2:TGID_Y_EN: 0
; COMPUTE_PGM_RSRC2:TGID_Z_EN: 0
; COMPUTE_PGM_RSRC2:TIDIG_COMP_CNT: 0
; COMPUTE_PGM_RSRC3_GFX90A:ACCUM_OFFSET: 7
; COMPUTE_PGM_RSRC3_GFX90A:TG_SPLIT: 0
	.text
	.protected	naive_conv_ab_nonpacked_fwd_ndhwc_int8_t_int32_t_float_0 ; -- Begin function naive_conv_ab_nonpacked_fwd_ndhwc_int8_t_int32_t_float_0
	.globl	naive_conv_ab_nonpacked_fwd_ndhwc_int8_t_int32_t_float_0
	.p2align	8
	.type	naive_conv_ab_nonpacked_fwd_ndhwc_int8_t_int32_t_float_0,@function
naive_conv_ab_nonpacked_fwd_ndhwc_int8_t_int32_t_float_0: ; @naive_conv_ab_nonpacked_fwd_ndhwc_int8_t_int32_t_float_0
; %bb.0:
	s_load_dwordx16 s[8:23], s[0:1], 0xb8
	s_abs_i32 s3, s2
	s_waitcnt lgkmcnt(0)
	s_abs_i32 s5, s14
	v_cvt_f32_u32_e32 v1, s5
	s_sub_i32 s6, 0, s5
	s_mul_i32 s4, s14, s11
	s_mul_i32 s71, s16, s12
	v_rcp_iflag_f32_e32 v1, v1
	s_nop 0
	v_mul_f32_e32 v1, 0x4f7ffffe, v1
	v_cvt_u32_f32_e32 v1, v1
	s_nop 0
	v_readfirstlane_b32 s7, v1
	s_mul_i32 s6, s6, s7
	s_mul_hi_u32 s6, s7, s6
	s_add_i32 s7, s7, s6
	s_mul_hi_u32 s6, s3, s7
	s_mul_i32 s7, s6, s5
	s_sub_i32 s7, s3, s7
	s_add_i32 s24, s6, 1
	s_sub_i32 s25, s7, s5
	s_cmp_ge_u32 s7, s5
	s_cselect_b32 s6, s24, s6
	s_cselect_b32 s7, s25, s7
	s_add_i32 s24, s6, 1
	s_cmp_ge_u32 s7, s5
	s_cselect_b32 s5, s24, s6
	s_abs_i32 s31, s11
	s_abs_i32 s30, s4
	v_cvt_f32_u32_e32 v1, s31
	v_cvt_f32_u32_e32 v2, s30
	s_mul_i32 s11, s71, s15
	v_cmp_gt_i32_e32 vcc, s11, v0
	v_rcp_iflag_f32_e32 v1, v1
	v_rcp_iflag_f32_e32 v2, v2
	v_mul_f32_e32 v1, 0x4f7ffffe, v1
	v_mul_f32_e32 v2, 0x4f7ffffe, v2
	v_cvt_u32_f32_e32 v1, v1
	v_cvt_u32_f32_e32 v2, v2
	v_readfirstlane_b32 s7, v1
	v_readfirstlane_b32 s6, v2
	s_and_saveexec_b64 s[24:25], vcc
	s_cbranch_execz .LBB83_21
; %bb.1:
	s_ashr_i32 s15, s2, 31
	s_ashr_i32 s24, s14, 31
	s_xor_b32 s24, s15, s24
	s_xor_b32 s5, s5, s24
	s_sub_i32 s33, s5, s24
	s_sub_i32 s5, 0, s31
	s_mul_i32 s5, s5, s7
	s_mul_hi_u32 s5, s7, s5
	s_abs_i32 s35, s33
	s_add_i32 s7, s7, s5
	s_mul_hi_u32 s68, s35, s7
	s_ashr_i32 s69, s4, 31
	s_sub_i32 s4, 0, s30
	s_ashr_i32 s34, s33, 31
	s_mul_i32 s4, s4, s6
	s_mul_i32 s33, s33, s14
	;; [unrolled: 1-line block ×3, first 2 shown]
	s_mul_hi_u32 s4, s6, s4
	s_sub_i32 s33, s2, s33
	s_sub_i32 s2, s35, s68
	s_add_i32 s6, s6, s4
	s_sub_i32 s14, s2, s31
	s_cmp_ge_u32 s2, s31
	s_cselect_b32 s2, s14, s2
	s_sub_i32 s14, s2, s31
	s_mul_hi_u32 s70, s3, s6
	s_cmp_ge_u32 s2, s31
	s_cselect_b32 s2, s14, s2
	s_mul_i32 s14, s70, s30
	s_xor_b32 s2, s2, s34
	s_sub_i32 s3, s3, s14
	s_sub_i32 s74, s2, s34
	s_xor_b32 s2, s15, s69
	s_add_i32 s14, s70, 1
	s_sub_i32 s15, s3, s30
	s_cmp_ge_u32 s3, s30
	s_cselect_b32 s14, s14, s70
	s_cselect_b32 s3, s15, s3
	s_add_i32 s15, s14, 1
	s_cmp_ge_u32 s3, s30
	s_cselect_b32 s3, s15, s14
	s_load_dwordx16 s[36:51], s[0:1], 0x28
	s_load_dwordx16 s[52:67], s[0:1], 0x68
	s_load_dwordx4 s[24:27], s[0:1], 0xf8
	s_load_dwordx4 s[4:7], s[0:1], 0xa8
	s_xor_b32 s3, s3, s2
	s_sub_i32 s75, s3, s2
	s_ashr_i32 s2, s74, 31
	s_waitcnt lgkmcnt(0)
	s_mul_i32 s3, s46, s2
	s_mul_hi_u32 s14, s46, s74
	s_add_i32 s3, s14, s3
	s_mul_i32 s14, s47, s74
	s_add_i32 s47, s3, s14
	s_ashr_i32 s14, s75, 31
	s_mul_i32 s3, s38, s14
	s_mul_hi_u32 s15, s38, s75
	s_add_i32 s3, s15, s3
	s_mul_i32 s15, s39, s75
	s_add_i32 s39, s3, s15
	s_mul_i32 s3, s58, s14
	s_mul_hi_u32 s15, s58, s75
	s_add_i32 s3, s15, s3
	s_mul_i32 s15, s59, s75
	s_add_i32 s76, s3, s15
	;; [unrolled: 5-line block ×3, first 2 shown]
	s_mul_i32 s2, s6, s74
	s_ashr_i32 s6, s33, 31
	s_load_dwordx2 s[28:29], s[0:1], 0x20
	s_mul_i32 s6, s4, s6
	s_mul_hi_u32 s7, s4, s33
	s_add_i32 s6, s7, s6
	s_mul_i32 s5, s5, s33
	s_add_i32 s5, s6, s5
	s_mul_i32 s6, s62, s14
	s_mul_hi_u32 s7, s62, s75
	s_add_i32 s6, s7, s6
	s_mul_i32 s7, s63, s75
	s_add_i32 s7, s6, s7
	s_lshl_b64 s[2:3], s[2:3], 2
	s_mul_i32 s4, s4, s33
	s_waitcnt lgkmcnt(0)
	s_add_u32 s14, s28, s2
	s_addc_u32 s15, s29, s3
	s_lshl_b64 s[2:3], s[4:5], 2
	s_mul_i32 s6, s62, s75
	s_add_u32 s4, s14, s2
	s_addc_u32 s5, s15, s3
	s_lshl_b64 s[2:3], s[6:7], 2
	s_add_u32 s14, s4, s2
	s_addc_u32 s15, s5, s3
	s_cmp_lt_i32 s26, 1
	s_mul_i32 s2, s33, s17
	s_load_dword s33, s[0:1], 0x108
	s_load_dword s17, s[0:1], 0x11c
	s_cselect_b64 s[28:29], -1, 0
	s_sub_i32 s23, s2, s23
	s_load_dwordx8 s[0:7], s[0:1], 0x0
	s_cmp_gt_i32 s27, 0
	s_cselect_b64 s[30:31], -1, 0
	s_waitcnt lgkmcnt(0)
	s_cmp_gt_i32 s33, 0
	s_cselect_b64 s[34:35], -1, 0
	s_cmp_gt_i32 s13, 0
	v_cmp_neq_f64_e64 s[68:69], s[4:5], 1.0
	v_cmp_neq_f64_e64 s[72:73], s[6:7], 0
	s_cselect_b64 s[62:63], -1, 0
	s_or_b64 s[68:69], s[68:69], s[72:73]
	s_abs_i32 s72, s12
	s_abs_i32 s73, s16
	v_cvt_f32_u32_e32 v2, s72
	s_ashr_i32 s70, s71, 31
	s_abs_i32 s71, s71
	v_cvt_f32_u32_e32 v4, s73
	v_cvt_f32_u32_e32 v6, s71
	v_rcp_iflag_f32_e32 v2, v2
	s_and_b32 s59, s17, 0xffff
	v_rcp_iflag_f32_e32 v4, v4
	v_rcp_iflag_f32_e32 v6, v6
	v_mul_f32_e32 v2, 0x4f7ffffe, v2
	v_cvt_u32_f32_e32 v2, v2
	v_mul_f32_e32 v4, 0x4f7ffffe, v4
	v_cvt_u32_f32_e32 v4, v4
	v_mul_f32_e32 v6, 0x4f7ffffe, v6
	s_mul_i32 s17, s58, s75
	s_ashr_i32 s58, s12, 31
	s_sub_i32 s77, 0, s72
	s_sub_i32 s78, 0, s73
	;; [unrolled: 1-line block ×3, first 2 shown]
	v_cvt_u32_f32_e32 v6, v6
	s_add_u32 s16, s2, s17
	s_addc_u32 s17, s3, s76
	s_mul_i32 s2, s46, s74
	s_mul_i32 s3, s38, s75
	v_mul_lo_u32 v3, s77, v2
	s_add_u32 s2, s3, s2
	v_mul_lo_u32 v5, s78, v4
	v_mul_hi_u32 v3, v2, v3
	s_addc_u32 s3, s39, s47
	v_mul_lo_u32 v7, s79, v6
	v_add_u32_e32 v19, v2, v3
	v_mul_hi_u32 v2, v4, v5
	s_add_u32 s74, s0, s2
	v_add_u32_e32 v20, v4, v2
	v_mul_hi_u32 v2, v6, v7
	v_cvt_i32_f64_e32 v1, s[4:5]
	v_cvt_i32_f64_e32 v18, s[6:7]
	s_addc_u32 s75, s1, s3
	s_mov_b64 s[6:7], 0
	v_add_u32_e32 v21, v6, v2
	s_branch .LBB83_3
.LBB83_2:                               ;   in Loop: Header=BB83_3 Depth=1
	v_cvt_f32_i32_e32 v4, v4
	v_add_u32_e32 v0, s59, v0
	v_cmp_le_i32_e32 vcc, s11, v0
	s_or_b64 s[6:7], vcc, s[6:7]
	global_store_dword v[2:3], v4, off
	s_andn2_b64 exec, exec, s[6:7]
	s_cbranch_execz .LBB83_21
.LBB83_3:                               ; =>This Loop Header: Depth=1
                                        ;     Child Loop BB83_8 Depth 2
                                        ;       Child Loop BB83_11 Depth 3
                                        ;         Child Loop BB83_14 Depth 4
                                        ;           Child Loop BB83_17 Depth 5
	v_sub_u32_e32 v3, 0, v0
	v_max_i32_e32 v4, v0, v3
	v_mul_hi_u32 v3, v4, v19
	v_mul_lo_u32 v5, v3, s72
	v_sub_u32_e32 v5, v4, v5
	v_add_u32_e32 v7, 1, v3
	v_cmp_le_u32_e32 vcc, s72, v5
	v_ashrrev_i32_e32 v6, 31, v0
	v_xor_b32_e32 v2, s58, v6
	v_cndmask_b32_e32 v3, v3, v7, vcc
	v_subrev_u32_e32 v7, s72, v5
	v_cndmask_b32_e32 v5, v5, v7, vcc
	v_add_u32_e32 v7, 1, v3
	v_cmp_le_u32_e32 vcc, s72, v5
	s_mov_b64 s[38:39], -1
                                        ; implicit-def: $sgpr46
	s_nop 0
	v_cndmask_b32_e32 v3, v3, v7, vcc
	v_xor_b32_e32 v3, v3, v2
	v_sub_u32_e32 v3, v3, v2
	v_sub_u32_e32 v5, 0, v3
	v_max_i32_e32 v5, v3, v5
	v_mul_hi_u32 v7, v5, v20
	v_mul_lo_u32 v7, v7, s73
	v_sub_u32_e32 v5, v5, v7
	v_subrev_u32_e32 v7, s73, v5
	v_cmp_le_u32_e32 vcc, s73, v5
	v_mul_lo_u32 v2, v3, s12
	v_sub_u32_e32 v2, v0, v2
	v_cndmask_b32_e32 v8, v5, v7, vcc
	v_mul_hi_u32 v7, v4, v21
	v_mul_lo_u32 v5, v7, s71
	v_sub_u32_e32 v4, v4, v5
	v_subrev_u32_e32 v5, s71, v4
	v_cmp_le_u32_e64 s[2:3], s71, v4
	v_cmp_le_u32_e64 s[0:1], s73, v8
	s_andn2_b64 vcc, exec, s[28:29]
	v_cndmask_b32_e64 v4, v4, v5, s[2:3]
	v_cmp_le_u32_e64 s[4:5], s71, v4
                                        ; implicit-def: $vgpr4_vgpr5
	s_cbranch_vccnz .LBB83_5
; %bb.4:                                ;   in Loop: Header=BB83_3 Depth=1
	v_ashrrev_i32_e32 v5, 31, v2
	s_mov_b64 s[38:39], 0
	s_mov_b32 s46, 0
.LBB83_5:                               ;   in Loop: Header=BB83_3 Depth=1
	v_subrev_u32_e32 v4, s73, v8
	v_ashrrev_i32_e32 v3, 31, v3
	v_cndmask_b32_e64 v4, v8, v4, s[0:1]
	v_xor_b32_e32 v4, v4, v3
	v_sub_u32_e32 v3, v4, v3
	v_xor_b32_e32 v4, s70, v6
	v_add_u32_e32 v6, 1, v7
	v_cndmask_b32_e64 v6, v7, v6, s[2:3]
	v_add_u32_e32 v7, 1, v6
	v_cndmask_b32_e64 v6, v6, v7, s[4:5]
	v_xor_b32_e32 v6, v6, v4
	v_sub_u32_e32 v22, v6, v4
	s_andn2_b64 vcc, exec, s[38:39]
	v_mov_b32_e32 v4, s46
	s_cbranch_vccnz .LBB83_19
; %bb.6:                                ;   in Loop: Header=BB83_3 Depth=1
	v_mul_lo_u32 v4, v22, s18
	v_subrev_u32_e32 v23, s24, v4
	v_mul_lo_u32 v4, v3, s19
	v_ashrrev_i32_e32 v5, 31, v2
	v_mov_b64_e32 v[6:7], s[16:17]
	v_subrev_u32_e32 v24, s25, v4
	v_mad_u64_u32 v[6:7], s[0:1], s56, v2, v[6:7]
	v_mul_lo_u32 v4, s57, v2
	v_mul_lo_u32 v8, s56, v5
	v_add3_u32 v7, v4, v7, v8
	s_mov_b32 s76, 0
	v_mov_b32_e32 v4, 0
	s_mov_b32 s77, s23
	s_branch .LBB83_8
.LBB83_7:                               ;   in Loop: Header=BB83_8 Depth=2
	s_add_i32 s76, s76, 1
	s_add_i32 s77, s77, s20
	s_cmp_eq_u32 s76, s26
	v_lshl_add_u64 v[6:7], v[6:7], 0, s[54:55]
	s_cbranch_scc1 .LBB83_19
.LBB83_8:                               ;   Parent Loop BB83_3 Depth=1
                                        ; =>  This Loop Header: Depth=2
                                        ;       Child Loop BB83_11 Depth 3
                                        ;         Child Loop BB83_14 Depth 4
                                        ;           Child Loop BB83_17 Depth 5
	s_andn2_b64 vcc, exec, s[30:31]
	s_cbranch_vccnz .LBB83_7
; %bb.9:                                ;   in Loop: Header=BB83_8 Depth=2
	s_mul_i32 s0, s45, s77
	s_mul_hi_u32 s1, s44, s77
	s_add_i32 s5, s1, s0
	s_mul_i32 s0, s76, s20
	s_add_i32 s2, s0, s23
	s_cmp_lt_i32 s2, 0
	s_cselect_b64 s[0:1], -1, 0
	s_cmp_ge_i32 s2, s8
	s_cselect_b64 s[2:3], -1, 0
	s_mul_i32 s4, s44, s77
	s_or_b64 s[2:3], s[0:1], s[2:3]
	s_add_u32 s4, s74, s4
	s_mov_b32 s78, 0
	s_addc_u32 s5, s75, s5
	v_mov_b32_e32 v25, v23
	v_mov_b64_e32 v[8:9], v[6:7]
	s_branch .LBB83_11
.LBB83_10:                              ;   in Loop: Header=BB83_11 Depth=3
	s_add_i32 s78, s78, 1
	v_lshl_add_u64 v[8:9], v[8:9], 0, s[52:53]
	s_cmp_eq_u32 s78, s27
	v_add_u32_e32 v25, s21, v25
	s_cbranch_scc1 .LBB83_7
.LBB83_11:                              ;   Parent Loop BB83_3 Depth=1
                                        ;     Parent Loop BB83_8 Depth=2
                                        ; =>    This Loop Header: Depth=3
                                        ;         Child Loop BB83_14 Depth 4
                                        ;           Child Loop BB83_17 Depth 5
	s_andn2_b64 vcc, exec, s[34:35]
	s_cbranch_vccnz .LBB83_10
; %bb.12:                               ;   in Loop: Header=BB83_11 Depth=3
	s_mul_i32 s0, s78, s21
	v_add_u32_e32 v10, s0, v23
	v_cmp_gt_i32_e32 vcc, 0, v10
	v_cmp_le_i32_e64 s[0:1], s9, v10
	v_mov_b64_e32 v[10:11], s[4:5]
	s_or_b64 s[38:39], vcc, s[0:1]
	v_mad_u64_u32 v[10:11], s[0:1], s42, v25, v[10:11]
	v_mov_b32_e32 v12, v11
	v_mad_u64_u32 v[12:13], s[0:1], s43, v25, v[12:13]
	s_mov_b32 s79, 0
	v_mov_b32_e32 v11, v12
	v_mov_b32_e32 v26, v24
	v_mov_b64_e32 v[12:13], v[8:9]
	s_branch .LBB83_14
.LBB83_13:                              ;   in Loop: Header=BB83_14 Depth=4
	s_add_i32 s79, s79, 1
	v_lshl_add_u64 v[12:13], v[12:13], 0, s[50:51]
	s_cmp_eq_u32 s79, s33
	v_add_u32_e32 v26, s22, v26
	s_cbranch_scc1 .LBB83_10
.LBB83_14:                              ;   Parent Loop BB83_3 Depth=1
                                        ;     Parent Loop BB83_8 Depth=2
                                        ;       Parent Loop BB83_11 Depth=3
                                        ; =>      This Loop Header: Depth=4
                                        ;           Child Loop BB83_17 Depth 5
	s_andn2_b64 vcc, exec, s[62:63]
	s_cbranch_vccnz .LBB83_13
; %bb.15:                               ;   in Loop: Header=BB83_14 Depth=4
	v_mad_u64_u32 v[14:15], s[0:1], s40, v26, v[10:11]
	v_mov_b32_e32 v16, v15
	v_mad_u64_u32 v[16:17], s[0:1], s41, v26, v[16:17]
	s_mul_i32 s0, s79, s22
	v_mov_b32_e32 v15, v16
	v_add_u32_e32 v16, s0, v24
	v_cmp_gt_i32_e32 vcc, 0, v16
	v_cmp_le_i32_e64 s[0:1], s10, v16
	s_or_b64 s[0:1], vcc, s[0:1]
	s_or_b64 s[0:1], s[2:3], s[0:1]
	s_or_b64 s[0:1], s[38:39], s[0:1]
	s_xor_b64 s[0:1], s[0:1], -1
	v_mov_b64_e32 v[16:17], v[12:13]
	s_mov_b32 s80, s13
	s_branch .LBB83_17
.LBB83_16:                              ;   in Loop: Header=BB83_17 Depth=5
	s_or_b64 exec, exec, s[46:47]
	s_add_i32 s80, s80, -1
	v_lshl_add_u64 v[16:17], v[16:17], 0, s[48:49]
	s_cmp_eq_u32 s80, 0
	v_lshl_add_u64 v[14:15], v[14:15], 0, s[36:37]
	s_cbranch_scc1 .LBB83_13
.LBB83_17:                              ;   Parent Loop BB83_3 Depth=1
                                        ;     Parent Loop BB83_8 Depth=2
                                        ;       Parent Loop BB83_11 Depth=3
                                        ;         Parent Loop BB83_14 Depth=4
                                        ; =>        This Inner Loop Header: Depth=5
	s_and_saveexec_b64 s[46:47], s[0:1]
	s_cbranch_execz .LBB83_16
; %bb.18:                               ;   in Loop: Header=BB83_17 Depth=5
	global_load_sbyte v27, v[14:15], off
	global_load_sbyte v28, v[16:17], off
	s_waitcnt vmcnt(0)
	v_mad_i32_i24 v4, v28, v27, v4
	s_branch .LBB83_16
.LBB83_19:                              ;   in Loop: Header=BB83_3 Depth=1
	v_ashrrev_i32_e32 v6, 31, v22
	v_mul_lo_u32 v8, s67, v22
	v_mul_lo_u32 v9, s66, v6
	v_mad_u64_u32 v[6:7], s[0:1], s66, v22, 0
	v_add3_u32 v7, v7, v9, v8
	v_ashrrev_i32_e32 v8, 31, v3
	v_mul_lo_u32 v10, s65, v3
	v_mul_lo_u32 v11, s64, v8
	v_mad_u64_u32 v[8:9], s[0:1], s64, v3, 0
	v_add3_u32 v9, v9, v11, v10
	v_mul_lo_u32 v5, v5, s60
	v_mul_lo_u32 v10, v2, s61
	v_mad_u64_u32 v[2:3], s[0:1], v2, s60, 0
	v_add3_u32 v3, v3, v10, v5
	v_lshl_add_u64 v[8:9], v[8:9], 2, s[14:15]
	v_lshl_add_u64 v[2:3], v[2:3], 2, v[8:9]
	s_andn2_b64 vcc, exec, s[68:69]
	v_lshl_add_u64 v[2:3], v[6:7], 2, v[2:3]
	s_cbranch_vccnz .LBB83_2
; %bb.20:                               ;   in Loop: Header=BB83_3 Depth=1
	global_load_dword v5, v[2:3], off
	v_mul_lo_u32 v4, v4, v1
	s_waitcnt vmcnt(0)
	v_cvt_i32_f32_e32 v5, v5
	v_mad_u64_u32 v[4:5], s[0:1], v5, v18, v[4:5]
	s_branch .LBB83_2
.LBB83_21:
	s_endpgm
	.section	.rodata,"a",@progbits
	.p2align	6, 0x0
	.amdhsa_kernel naive_conv_ab_nonpacked_fwd_ndhwc_int8_t_int32_t_float_0
		.amdhsa_group_segment_fixed_size 0
		.amdhsa_private_segment_fixed_size 0
		.amdhsa_kernarg_size 528
		.amdhsa_user_sgpr_count 2
		.amdhsa_user_sgpr_dispatch_ptr 0
		.amdhsa_user_sgpr_queue_ptr 0
		.amdhsa_user_sgpr_kernarg_segment_ptr 1
		.amdhsa_user_sgpr_dispatch_id 0
		.amdhsa_user_sgpr_kernarg_preload_length 0
		.amdhsa_user_sgpr_kernarg_preload_offset 0
		.amdhsa_user_sgpr_private_segment_size 0
		.amdhsa_uses_dynamic_stack 0
		.amdhsa_enable_private_segment 0
		.amdhsa_system_sgpr_workgroup_id_x 1
		.amdhsa_system_sgpr_workgroup_id_y 0
		.amdhsa_system_sgpr_workgroup_id_z 0
		.amdhsa_system_sgpr_workgroup_info 0
		.amdhsa_system_vgpr_workitem_id 0
		.amdhsa_next_free_vgpr 29
		.amdhsa_next_free_sgpr 81
		.amdhsa_accum_offset 32
		.amdhsa_reserve_vcc 1
		.amdhsa_float_round_mode_32 0
		.amdhsa_float_round_mode_16_64 0
		.amdhsa_float_denorm_mode_32 3
		.amdhsa_float_denorm_mode_16_64 3
		.amdhsa_dx10_clamp 1
		.amdhsa_ieee_mode 1
		.amdhsa_fp16_overflow 0
		.amdhsa_tg_split 0
		.amdhsa_exception_fp_ieee_invalid_op 0
		.amdhsa_exception_fp_denorm_src 0
		.amdhsa_exception_fp_ieee_div_zero 0
		.amdhsa_exception_fp_ieee_overflow 0
		.amdhsa_exception_fp_ieee_underflow 0
		.amdhsa_exception_fp_ieee_inexact 0
		.amdhsa_exception_int_div_zero 0
	.end_amdhsa_kernel
	.text
.Lfunc_end83:
	.size	naive_conv_ab_nonpacked_fwd_ndhwc_int8_t_int32_t_float_0, .Lfunc_end83-naive_conv_ab_nonpacked_fwd_ndhwc_int8_t_int32_t_float_0
                                        ; -- End function
	.section	.AMDGPU.csdata,"",@progbits
; Kernel info:
; codeLenInByte = 1840
; NumSgprs: 87
; NumVgprs: 29
; NumAgprs: 0
; TotalNumVgprs: 29
; ScratchSize: 0
; MemoryBound: 0
; FloatMode: 240
; IeeeMode: 1
; LDSByteSize: 0 bytes/workgroup (compile time only)
; SGPRBlocks: 10
; VGPRBlocks: 3
; NumSGPRsForWavesPerEU: 87
; NumVGPRsForWavesPerEU: 29
; AccumOffset: 32
; Occupancy: 8
; WaveLimiterHint : 1
; COMPUTE_PGM_RSRC2:SCRATCH_EN: 0
; COMPUTE_PGM_RSRC2:USER_SGPR: 2
; COMPUTE_PGM_RSRC2:TRAP_HANDLER: 0
; COMPUTE_PGM_RSRC2:TGID_X_EN: 1
; COMPUTE_PGM_RSRC2:TGID_Y_EN: 0
; COMPUTE_PGM_RSRC2:TGID_Z_EN: 0
; COMPUTE_PGM_RSRC2:TIDIG_COMP_CNT: 0
; COMPUTE_PGM_RSRC3_GFX90A:ACCUM_OFFSET: 7
; COMPUTE_PGM_RSRC3_GFX90A:TG_SPLIT: 0
	.text
	.protected	naive_conv_ab_packed_bwd_ncdhw_float_double_float_0 ; -- Begin function naive_conv_ab_packed_bwd_ncdhw_float_double_float_0
	.globl	naive_conv_ab_packed_bwd_ncdhw_float_double_float_0
	.p2align	8
	.type	naive_conv_ab_packed_bwd_ncdhw_float_double_float_0,@function
naive_conv_ab_packed_bwd_ncdhw_float_double_float_0: ; @naive_conv_ab_packed_bwd_ncdhw_float_double_float_0
; %bb.0:
	s_load_dwordx16 s[4:19], s[0:1], 0xb8
	s_abs_i32 s3, s2
	s_waitcnt lgkmcnt(0)
	s_abs_i32 s20, s9
	v_cvt_f32_u32_e32 v1, s20
	s_sub_i32 s21, 0, s20
	s_mul_i32 s28, s9, s7
	s_mul_i32 s45, s6, s5
	v_rcp_iflag_f32_e32 v1, v1
	s_nop 0
	v_mul_f32_e32 v1, 0x4f7ffffe, v1
	v_cvt_u32_f32_e32 v1, v1
	s_nop 0
	v_readfirstlane_b32 s22, v1
	s_mul_i32 s21, s21, s22
	s_mul_hi_u32 s21, s22, s21
	s_add_i32 s22, s22, s21
	s_mul_hi_u32 s21, s3, s22
	s_mul_i32 s22, s21, s20
	s_sub_i32 s22, s3, s22
	s_add_i32 s23, s21, 1
	s_sub_i32 s24, s22, s20
	s_cmp_ge_u32 s22, s20
	s_cselect_b32 s21, s23, s21
	s_cselect_b32 s22, s24, s22
	s_add_i32 s23, s21, 1
	s_cmp_ge_u32 s22, s20
	s_cselect_b32 s29, s23, s21
	s_abs_i32 s38, s7
	s_abs_i32 s33, s28
	v_cvt_f32_u32_e32 v1, s38
	v_cvt_f32_u32_e32 v2, s33
	s_mul_i32 s7, s45, s4
	v_cmp_gt_i32_e32 vcc, s7, v0
	v_rcp_iflag_f32_e32 v1, v1
	v_rcp_iflag_f32_e32 v2, v2
	v_mul_f32_e32 v1, 0x4f7ffffe, v1
	v_mul_f32_e32 v2, 0x4f7ffffe, v2
	v_cvt_u32_f32_e32 v1, v1
	v_cvt_u32_f32_e32 v2, v2
	v_readfirstlane_b32 s31, v1
	v_readfirstlane_b32 s30, v2
	s_and_saveexec_b64 s[20:21], vcc
	s_cbranch_execz .LBB84_36
; %bb.1:
	s_ashr_i32 s39, s2, 31
	s_ashr_i32 s44, s9, 31
	s_xor_b32 s34, s39, s44
	s_xor_b32 s29, s29, s34
	s_sub_i32 s40, s29, s34
	s_sub_i32 s29, 0, s38
	s_mul_i32 s29, s29, s31
	s_mul_hi_u32 s29, s31, s29
	s_ashr_i32 s46, s28, 31
	s_sub_i32 s28, 0, s33
	s_abs_i32 s42, s40
	s_add_i32 s31, s31, s29
	s_mul_i32 s28, s28, s30
	s_mul_hi_u32 s43, s42, s31
	s_mul_hi_u32 s28, s30, s28
	s_add_i32 s30, s30, s28
	s_mul_i32 s43, s43, s38
	s_load_dwordx8 s[20:27], s[0:1], 0x0
	s_ashr_i32 s41, s40, 31
	s_load_dwordx2 s[34:35], s[0:1], 0x108
	s_mul_hi_u32 s47, s3, s30
	s_load_dwordx2 s[36:37], s[0:1], 0x20
	s_load_dwordx4 s[28:31], s[0:1], 0xf8
	s_load_dword s48, s[0:1], 0x11c
	s_mul_i32 s40, s40, s9
	s_sub_i32 s1, s42, s43
	s_sub_i32 s50, s2, s40
	;; [unrolled: 1-line block ×3, first 2 shown]
	s_cmp_ge_u32 s1, s38
	s_cselect_b32 s1, s2, s1
	s_sub_i32 s2, s1, s38
	s_cmp_ge_u32 s1, s38
	s_waitcnt lgkmcnt(0)
	s_mul_i32 s49, s35, s8
	s_mul_i32 s0, s35, s9
	s_cselect_b32 s1, s2, s1
	s_mul_i32 s35, s47, s33
	s_xor_b32 s1, s1, s41
	s_sub_i32 s3, s3, s35
	s_sub_i32 s2, s1, s41
	s_xor_b32 s1, s39, s46
	s_add_i32 s35, s47, 1
	s_sub_i32 s38, s3, s33
	s_cmp_ge_u32 s3, s33
	s_cselect_b32 s35, s35, s47
	s_cselect_b32 s3, s38, s3
	s_add_i32 s38, s35, 1
	s_cmp_ge_u32 s3, s33
	s_cselect_b32 s3, s38, s35
	s_xor_b32 s3, s3, s1
	s_sub_i32 s3, s3, s1
	s_mul_hi_i32 s1, s2, s0
	s_mul_i32 s0, s2, s0
	s_ashr_i32 s58, s6, 31
	s_ashr_i32 s51, s50, 31
	s_add_u32 s0, s0, s50
	s_mul_i32 s38, s3, s9
	s_addc_u32 s1, s1, s51
	s_mul_hi_i32 s35, s3, s9
	s_add_u32 s0, s0, s38
	s_addc_u32 s1, s1, s35
	s_mul_hi_i32 s35, s5, s4
	s_mul_i32 s4, s5, s4
	s_mul_i32 s38, s4, s58
	s_mul_hi_u32 s39, s4, s6
	s_add_i32 s38, s39, s38
	s_mul_i32 s35, s35, s6
	s_mul_i32 s4, s4, s6
	s_add_i32 s35, s38, s35
	s_mul_i32 s1, s4, s1
	s_mul_hi_u32 s38, s4, s0
	s_add_i32 s1, s38, s1
	s_mul_i32 s35, s35, s0
	s_add_i32 s1, s1, s35
	s_mul_i32 s0, s4, s0
	s_lshl_b64 s[0:1], s[0:1], 2
	s_add_u32 s0, s20, s0
	s_mul_hi_i32 s4, s3, s8
	s_mul_i32 s3, s3, s8
	s_addc_u32 s1, s21, s1
	s_mul_i32 s20, s3, s44
	s_mul_hi_u32 s21, s3, s9
	s_add_i32 s20, s21, s20
	s_mul_i32 s21, s4, s9
	s_add_i32 s52, s20, s21
	s_ashr_i32 s54, s30, 31
	s_ashr_i32 s35, s34, 31
	s_mul_hi_i32 s20, s2, s49
	s_mul_i32 s2, s2, s49
	s_ashr_i32 s60, s10, 31
	s_ashr_i32 s62, s11, 31
	;; [unrolled: 1-line block ×3, first 2 shown]
	s_add_u32 s2, s3, s2
	s_mul_i32 s53, s3, s9
	s_mov_b32 s61, s10
	s_addc_u32 s3, s4, s20
	s_mul_hi_i32 s4, s11, s10
	s_mul_i32 s10, s11, s10
	s_mov_b32 s63, s11
	s_mul_i32 s11, s10, s64
	s_mul_hi_u32 s20, s10, s12
	s_add_i32 s11, s20, s11
	s_mul_i32 s4, s4, s12
	s_mul_i32 s10, s10, s12
	s_add_i32 s4, s11, s4
	s_mul_i32 s3, s10, s3
	s_mul_hi_u32 s11, s10, s2
	s_add_i32 s3, s11, s3
	s_mul_i32 s4, s4, s2
	s_add_i32 s3, s3, s4
	s_mul_i32 s2, s10, s2
	s_lshl_b64 s[2:3], s[2:3], 2
	s_add_u32 s2, s36, s2
	s_addc_u32 s3, s37, s3
	s_cmp_gt_i32 s8, 0
	s_cselect_b64 s[10:11], -1, 0
	s_cmp_gt_i32 s30, 0
	s_cselect_b64 s[20:21], -1, 0
	;; [unrolled: 2-line block ×4, first 2 shown]
	s_abs_i32 s66, s6
	v_cvt_f32_u32_e32 v1, s66
	s_abs_i32 s67, s5
	v_cvt_f32_u32_e32 v2, s67
	s_abs_i32 s69, s45
	v_rcp_iflag_f32_e32 v1, v1
	v_cvt_f32_u32_e32 v4, s69
	v_rcp_iflag_f32_e32 v2, v2
	s_sub_i32 s4, 0, s66
	v_mul_f32_e32 v1, 0x4f7ffffe, v1
	v_cvt_u32_f32_e32 v1, v1
	v_mul_f32_e32 v2, 0x4f7ffffe, v2
	v_cvt_u32_f32_e32 v2, v2
	s_abs_i32 s70, s13
	v_mul_lo_u32 v3, s4, v1
	v_mul_hi_u32 v3, v1, v3
	v_add_u32_e32 v1, v1, v3
	v_rcp_iflag_f32_e32 v3, v4
	s_sub_i32 s4, 0, s67
	v_mul_lo_u32 v4, s4, v2
	v_mul_hi_u32 v4, v2, v4
	v_add_u32_e32 v14, v2, v4
	v_mul_f32_e32 v2, 0x4f7ffffe, v3
	v_cvt_f32_u32_e32 v3, s70
	v_cvt_u32_f32_e32 v2, v2
	s_sub_i32 s4, 0, s69
	s_abs_i32 s73, s14
	v_rcp_iflag_f32_e32 v3, v3
	v_mul_lo_u32 v4, s4, v2
	v_mul_hi_u32 v4, v2, v4
	v_add_u32_e32 v15, v2, v4
	v_mul_f32_e32 v2, 0x4f7ffffe, v3
	v_cvt_u32_f32_e32 v2, v2
	s_sub_i32 s4, 0, s70
	v_cvt_f32_u32_e32 v3, s73
	s_abs_i32 s74, s15
	v_mul_lo_u32 v4, s4, v2
	v_mul_hi_u32 v4, v2, v4
	v_add_u32_e32 v16, v2, v4
	v_cvt_f32_u32_e32 v2, s74
	v_rcp_iflag_f32_e32 v3, v3
	s_sub_i32 s4, 0, s73
	v_cmp_neq_f64_e64 s[42:43], s[24:25], 1.0
	v_rcp_iflag_f32_e32 v2, v2
	v_mul_f32_e32 v3, 0x4f7ffffe, v3
	v_cvt_u32_f32_e32 v3, v3
	v_cmp_neq_f64_e64 s[46:47], s[26:27], 0
	v_mul_f32_e32 v2, 0x4f7ffffe, v2
	v_cvt_u32_f32_e32 v2, v2
	v_mul_lo_u32 v4, s4, v3
	s_or_b64 s[42:43], s[42:43], s[46:47]
	s_and_b32 s68, s48, 0xffff
	s_ashr_i32 s71, s45, 31
	s_ashr_i32 s72, s13, 31
	;; [unrolled: 1-line block ×3, first 2 shown]
	v_mul_hi_u32 v4, v3, v4
	s_ashr_i32 s76, s15, 31
	s_sub_i32 s4, 0, s74
	v_add_u32_e32 v17, v3, v4
	v_mul_lo_u32 v3, s4, v2
	s_add_u32 s4, s53, s50
	s_mul_i32 s14, s34, s31
	s_mov_b32 s33, s5
	s_mov_b32 s65, s12
	s_addc_u32 s5, s52, s51
	s_mul_i32 s12, s14, s30
	s_mul_i32 s5, s12, s5
	s_mul_hi_u32 s13, s12, s4
	s_mov_b32 s59, s31
	s_add_i32 s5, s13, s5
	s_mul_hi_i32 s15, s34, s31
	s_mul_i32 s13, s14, s54
	s_mul_hi_u32 s31, s14, s30
	s_add_i32 s13, s31, s13
	s_mul_i32 s31, s15, s30
	s_add_i32 s13, s13, s31
	s_mul_i32 s31, s13, s4
	;; [unrolled: 2-line block ×3, first 2 shown]
	s_lshl_b64 s[4:5], s[4:5], 2
	s_add_u32 s4, s22, s4
	s_addc_u32 s5, s23, s5
	s_mul_i32 s22, s12, s44
	s_mul_hi_u32 s23, s12, s9
	s_add_i32 s22, s23, s22
	s_mul_i32 s13, s13, s9
	v_mul_hi_u32 v3, v2, v3
	s_add_i32 s13, s22, s13
	s_mul_i32 s12, s12, s9
	s_mov_b64 s[40:41], 0
	v_add_u32_e32 v18, v2, v3
	s_lshl_b64 s[12:13], s[12:13], 2
	s_lshl_b64 s[14:15], s[14:15], 2
	;; [unrolled: 1-line block ×3, first 2 shown]
	s_branch .LBB84_3
.LBB84_2:                               ;   in Loop: Header=BB84_3 Depth=1
	v_add_u32_e32 v0, s68, v0
	v_cmp_le_i32_e32 vcc, s7, v0
	v_cvt_f32_f64_e32 v4, v[4:5]
	s_or_b64 s[40:41], vcc, s[40:41]
	global_store_dword v[2:3], v4, off
	s_andn2_b64 exec, exec, s[40:41]
	s_cbranch_execz .LBB84_36
.LBB84_3:                               ; =>This Loop Header: Depth=1
                                        ;     Child Loop BB84_6 Depth 2
                                        ;       Child Loop BB84_9 Depth 3
                                        ;         Child Loop BB84_18 Depth 4
                                        ;           Child Loop BB84_25 Depth 5
	v_sub_u32_e32 v4, 0, v0
	v_max_i32_e32 v4, v0, v4
	v_mul_hi_u32 v5, v4, v1
	v_mul_lo_u32 v6, v5, s66
	v_sub_u32_e32 v6, v4, v6
	v_add_u32_e32 v7, 1, v5
	v_cmp_le_u32_e32 vcc, s66, v6
	v_ashrrev_i32_e32 v3, 31, v0
	v_xor_b32_e32 v2, s58, v3
	v_cndmask_b32_e32 v5, v5, v7, vcc
	v_subrev_u32_e32 v7, s66, v6
	v_cndmask_b32_e32 v6, v6, v7, vcc
	v_add_u32_e32 v7, 1, v5
	v_cmp_le_u32_e32 vcc, s66, v6
	v_xor_b32_e32 v3, s71, v3
	s_nop 0
	v_cndmask_b32_e32 v5, v5, v7, vcc
	v_xor_b32_e32 v5, v5, v2
	v_sub_u32_e32 v5, v5, v2
	v_sub_u32_e32 v7, 0, v5
	v_mul_lo_u32 v2, v5, s6
	v_ashrrev_i32_e32 v6, 31, v5
	v_max_i32_e32 v5, v5, v7
	v_mul_hi_u32 v7, v5, v14
	v_mul_lo_u32 v7, v7, s67
	v_sub_u32_e32 v5, v5, v7
	v_subrev_u32_e32 v7, s67, v5
	v_cmp_le_u32_e32 vcc, s67, v5
	v_sub_u32_e32 v2, v0, v2
	s_nop 0
	v_cndmask_b32_e32 v5, v5, v7, vcc
	v_subrev_u32_e32 v7, s67, v5
	v_cmp_le_u32_e32 vcc, s67, v5
	s_nop 1
	v_cndmask_b32_e32 v5, v5, v7, vcc
	v_xor_b32_e32 v5, v5, v6
	v_sub_u32_e32 v6, v5, v6
	v_mul_hi_u32 v5, v4, v15
	v_mul_lo_u32 v7, v5, s69
	v_sub_u32_e32 v4, v4, v7
	v_add_u32_e32 v7, 1, v5
	v_cmp_le_u32_e32 vcc, s69, v4
	s_nop 1
	v_cndmask_b32_e32 v5, v5, v7, vcc
	v_subrev_u32_e32 v7, s69, v4
	v_cndmask_b32_e32 v4, v4, v7, vcc
	v_add_u32_e32 v7, 1, v5
	v_cmp_le_u32_e32 vcc, s69, v4
	s_nop 1
	v_cndmask_b32_e32 v4, v5, v7, vcc
	v_xor_b32_e32 v4, v4, v3
	s_andn2_b64 vcc, exec, s[10:11]
	v_sub_u32_e32 v3, v4, v3
	s_cbranch_vccnz .LBB84_33
; %bb.4:                                ;   in Loop: Header=BB84_3 Depth=1
	v_add_u32_e32 v7, s19, v3
	v_add_u32_e32 v19, s28, v6
	;; [unrolled: 1-line block ×3, first 2 shown]
	s_mov_b32 s9, 0
	v_mov_b64_e32 v[4:5], 0
	s_mov_b64 s[44:45], s[4:5]
	s_branch .LBB84_6
.LBB84_5:                               ;   in Loop: Header=BB84_6 Depth=2
	s_add_i32 s9, s9, 1
	s_add_u32 s44, s44, s12
	s_addc_u32 s45, s45, s13
	s_cmp_eq_u32 s9, s8
	s_cbranch_scc1 .LBB84_34
.LBB84_6:                               ;   Parent Loop BB84_3 Depth=1
                                        ; =>  This Loop Header: Depth=2
                                        ;       Child Loop BB84_9 Depth 3
                                        ;         Child Loop BB84_18 Depth 4
                                        ;           Child Loop BB84_25 Depth 5
	s_andn2_b64 vcc, exec, s[20:21]
	s_cbranch_vccnz .LBB84_5
; %bb.7:                                ;   in Loop: Header=BB84_6 Depth=2
	s_mul_i32 s31, s9, s60
	s_mul_hi_u32 s35, s9, s61
	s_add_i32 s47, s35, s31
	s_mul_i32 s46, s9, s61
	s_mov_b32 s31, 0
	s_mov_b64 s[48:49], s[44:45]
	s_branch .LBB84_9
.LBB84_8:                               ;   in Loop: Header=BB84_9 Depth=3
	s_add_i32 s31, s31, 1
	s_add_u32 s48, s48, s14
	s_addc_u32 s49, s49, s15
	s_cmp_eq_u32 s31, s30
	s_cbranch_scc1 .LBB84_5
.LBB84_9:                               ;   Parent Loop BB84_3 Depth=1
                                        ;     Parent Loop BB84_6 Depth=2
                                        ; =>    This Loop Header: Depth=3
                                        ;         Child Loop BB84_18 Depth 4
                                        ;           Child Loop BB84_25 Depth 5
	s_mul_i32 s35, s31, s16
	v_subrev_u32_e32 v13, s35, v7
	v_sub_u32_e32 v9, 0, v13
	v_cmp_lt_i32_e32 vcc, -1, v13
	s_mov_b64 s[50:51], 0
	v_ashrrev_i32_e32 v8, 31, v13
	v_max_i32_e32 v12, v13, v9
                                        ; implicit-def: $sgpr35
                                        ; implicit-def: $vgpr9
                                        ; implicit-def: $vgpr10
                                        ; implicit-def: $vgpr11
	s_and_saveexec_b64 s[52:53], vcc
	s_xor_b64 s[52:53], exec, s[52:53]
	s_cbranch_execnz .LBB84_13
; %bb.10:                               ;   in Loop: Header=BB84_9 Depth=3
	s_andn2_saveexec_b64 s[52:53], s[52:53]
	s_cbranch_execnz .LBB84_14
.LBB84_11:                              ;   in Loop: Header=BB84_9 Depth=3
	s_or_b64 exec, exec, s[52:53]
	v_mov_b32_e32 v12, s35
	s_and_saveexec_b64 s[52:53], s[50:51]
	s_cbranch_execnz .LBB84_15
.LBB84_12:                              ;   in Loop: Header=BB84_9 Depth=3
	s_or_b64 exec, exec, s[52:53]
	s_andn2_b64 vcc, exec, s[36:37]
	s_cbranch_vccz .LBB84_16
	s_branch .LBB84_8
.LBB84_13:                              ;   in Loop: Header=BB84_9 Depth=3
	v_mul_hi_u32 v9, v12, v16
	v_mul_lo_u32 v10, v9, s70
	v_sub_u32_e32 v10, v12, v10
	v_subrev_u32_e32 v11, s70, v10
	v_cmp_le_u32_e32 vcc, s70, v10
	v_ashrrev_i32_e32 v8, 31, v13
	s_mov_b32 s35, 1
	v_cndmask_b32_e32 v12, v10, v11, vcc
	v_subrev_u32_e32 v13, s70, v12
	v_cmp_le_u32_e32 vcc, s70, v12
	s_nop 1
	v_cndmask_b32_e32 v12, v12, v13, vcc
	v_xor_b32_e32 v12, v12, v8
	v_sub_u32_e32 v12, v12, v8
	v_cmp_ne_u32_e32 vcc, 0, v12
	s_and_b64 s[50:51], vcc, exec
                                        ; implicit-def: $vgpr12
	s_andn2_saveexec_b64 s[52:53], s[52:53]
	s_cbranch_execz .LBB84_11
.LBB84_14:                              ;   in Loop: Header=BB84_9 Depth=3
	v_mul_hi_u32 v9, v12, v16
	v_mul_lo_u32 v10, v9, s70
	v_sub_u32_e32 v10, v12, v10
	v_subrev_u32_e32 v11, s70, v10
	s_or_b64 s[50:51], s[50:51], exec
	s_or_b64 exec, exec, s[52:53]
	v_mov_b32_e32 v12, s35
	s_and_saveexec_b64 s[52:53], s[50:51]
	s_cbranch_execz .LBB84_12
.LBB84_15:                              ;   in Loop: Header=BB84_9 Depth=3
	v_mov_b32_e32 v12, 0
	s_or_b64 exec, exec, s[52:53]
	s_andn2_b64 vcc, exec, s[36:37]
	s_cbranch_vccnz .LBB84_8
.LBB84_16:                              ;   in Loop: Header=BB84_9 Depth=3
	v_add_u32_e32 v13, 1, v9
	v_cmp_le_u32_e32 vcc, s70, v10
	v_xor_b32_e32 v8, s72, v8
	s_mov_b32 s35, 0
	v_cndmask_b32_e32 v9, v9, v13, vcc
	v_cndmask_b32_e32 v10, v10, v11, vcc
	v_add_u32_e32 v11, 1, v9
	v_cmp_le_u32_e32 vcc, s70, v10
	s_nop 1
	v_cndmask_b32_e32 v9, v9, v11, vcc
	v_xor_b32_e32 v9, v9, v8
	v_sub_u32_e32 v8, v9, v8
	v_ashrrev_i32_e32 v9, 31, v8
	v_cmp_gt_i32_e32 vcc, s61, v8
	v_lshl_add_u64 v[8:9], s[46:47], 0, v[8:9]
	v_mul_lo_u32 v10, v9, s63
	v_mul_lo_u32 v11, v8, s62
	v_mad_u64_u32 v[8:9], s[50:51], v8, s63, 0
	v_cndmask_b32_e32 v21, 0, v12, vcc
	v_add3_u32 v9, v9, v11, v10
	s_mov_b64 s[50:51], s[48:49]
	s_branch .LBB84_18
.LBB84_17:                              ;   in Loop: Header=BB84_18 Depth=4
	s_add_i32 s35, s35, 1
	s_add_u32 s50, s50, s22
	s_addc_u32 s51, s51, s23
	s_cmp_eq_u32 s35, s59
	s_cbranch_scc1 .LBB84_8
.LBB84_18:                              ;   Parent Loop BB84_3 Depth=1
                                        ;     Parent Loop BB84_6 Depth=2
                                        ;       Parent Loop BB84_9 Depth=3
                                        ; =>      This Loop Header: Depth=4
                                        ;           Child Loop BB84_25 Depth 5
	s_mul_i32 s52, s35, s17
	v_subrev_u32_e32 v10, s52, v19
	v_sub_u32_e32 v12, 0, v10
	v_cmp_gt_i32_e64 s[52:53], 0, v10
	v_cmp_lt_i32_e32 vcc, -1, v10
	v_ashrrev_i32_e32 v11, 31, v10
	v_max_i32_e32 v10, v10, v12
                                        ; implicit-def: $sgpr56
	s_and_saveexec_b64 s[54:55], vcc
	s_cbranch_execnz .LBB84_21
; %bb.19:                               ;   in Loop: Header=BB84_18 Depth=4
	s_or_b64 exec, exec, s[54:55]
	v_mov_b32_e32 v12, s56
	s_and_saveexec_b64 s[54:55], s[52:53]
	s_cbranch_execnz .LBB84_22
.LBB84_20:                              ;   in Loop: Header=BB84_18 Depth=4
	s_or_b64 exec, exec, s[54:55]
	s_andn2_b64 vcc, exec, s[38:39]
	s_cbranch_vccz .LBB84_23
	s_branch .LBB84_17
.LBB84_21:                              ;   in Loop: Header=BB84_18 Depth=4
	v_mul_hi_u32 v12, v10, v17
	v_mul_lo_u32 v12, v12, s73
	v_sub_u32_e32 v12, v10, v12
	v_subrev_u32_e32 v13, s73, v12
	v_cmp_le_u32_e32 vcc, s73, v12
	s_andn2_b64 s[52:53], s[52:53], exec
	s_mov_b32 s56, 1
	v_cndmask_b32_e32 v12, v12, v13, vcc
	v_subrev_u32_e32 v13, s73, v12
	v_cmp_le_u32_e32 vcc, s73, v12
	s_nop 1
	v_cndmask_b32_e32 v12, v12, v13, vcc
	v_xor_b32_e32 v12, v12, v11
	v_sub_u32_e32 v12, v12, v11
	v_cmp_ne_u32_e32 vcc, 0, v12
	s_and_b64 s[78:79], vcc, exec
	s_or_b64 s[52:53], s[52:53], s[78:79]
	s_or_b64 exec, exec, s[54:55]
	v_mov_b32_e32 v12, s56
	s_and_saveexec_b64 s[54:55], s[52:53]
	s_cbranch_execz .LBB84_20
.LBB84_22:                              ;   in Loop: Header=BB84_18 Depth=4
	v_mov_b32_e32 v12, 0
	s_or_b64 exec, exec, s[54:55]
	s_andn2_b64 vcc, exec, s[38:39]
	s_cbranch_vccnz .LBB84_17
.LBB84_23:                              ;   in Loop: Header=BB84_18 Depth=4
	v_mul_hi_u32 v13, v10, v17
	v_mul_lo_u32 v22, v13, s73
	v_sub_u32_e32 v10, v10, v22
	v_add_u32_e32 v22, 1, v13
	v_cmp_le_u32_e32 vcc, s73, v10
	v_xor_b32_e32 v11, s75, v11
	s_mov_b32 s77, s34
	v_cndmask_b32_e32 v13, v13, v22, vcc
	v_subrev_u32_e32 v22, s73, v10
	v_cndmask_b32_e32 v10, v10, v22, vcc
	v_add_u32_e32 v22, 1, v13
	v_cmp_le_u32_e32 vcc, s73, v10
	v_mov_b32_e32 v23, v20
	s_nop 0
	v_cndmask_b32_e32 v10, v13, v22, vcc
	v_xor_b32_e32 v10, v10, v11
	v_sub_u32_e32 v10, v10, v11
	v_cmp_gt_i32_e32 vcc, s63, v10
	s_nop 1
	v_cndmask_b32_e32 v11, 0, v12, vcc
	v_and_b32_e32 v22, v11, v21
	v_ashrrev_i32_e32 v11, 31, v10
	v_lshl_add_u64 v[10:11], v[8:9], 0, v[10:11]
	v_mul_lo_u32 v12, v11, s65
	v_mul_lo_u32 v13, v10, s64
	v_mad_u64_u32 v[10:11], s[52:53], v10, s65, 0
	v_add3_u32 v11, v11, v13, v12
	v_lshl_add_u64 v[10:11], v[10:11], 2, s[2:3]
	s_mov_b64 s[52:53], s[50:51]
	s_branch .LBB84_25
.LBB84_24:                              ;   in Loop: Header=BB84_25 Depth=5
	s_or_b64 exec, exec, s[54:55]
	s_add_i32 s77, s77, -1
	s_add_u32 s52, s52, 4
	s_addc_u32 s53, s53, 0
	s_cmp_eq_u32 s77, 0
	v_subrev_u32_e32 v23, s18, v23
	s_cbranch_scc1 .LBB84_17
.LBB84_25:                              ;   Parent Loop BB84_3 Depth=1
                                        ;     Parent Loop BB84_6 Depth=2
                                        ;       Parent Loop BB84_9 Depth=3
                                        ;         Parent Loop BB84_18 Depth=4
                                        ; =>        This Inner Loop Header: Depth=5
	v_sub_u32_e32 v13, 0, v23
	v_cmp_lt_i32_e32 vcc, -1, v23
	s_mov_b64 s[54:55], 0
	v_ashrrev_i32_e32 v12, 31, v23
	v_max_i32_e32 v26, v23, v13
                                        ; implicit-def: $sgpr78
                                        ; implicit-def: $vgpr13
                                        ; implicit-def: $vgpr24
                                        ; implicit-def: $vgpr25
	s_and_saveexec_b64 s[56:57], vcc
	s_xor_b64 s[56:57], exec, s[56:57]
	s_cbranch_execnz .LBB84_31
; %bb.26:                               ;   in Loop: Header=BB84_25 Depth=5
	s_andn2_saveexec_b64 s[56:57], s[56:57]
	s_cbranch_execnz .LBB84_32
.LBB84_27:                              ;   in Loop: Header=BB84_25 Depth=5
	s_or_b64 exec, exec, s[56:57]
	v_mov_b32_e32 v26, s78
	s_and_saveexec_b64 s[56:57], s[54:55]
.LBB84_28:                              ;   in Loop: Header=BB84_25 Depth=5
	v_mov_b32_e32 v26, 0
.LBB84_29:                              ;   in Loop: Header=BB84_25 Depth=5
	s_or_b64 exec, exec, s[56:57]
	v_add_u32_e32 v27, 1, v13
	v_cmp_le_u32_e32 vcc, s74, v24
	v_xor_b32_e32 v12, s76, v12
	s_nop 0
	v_cndmask_b32_e32 v13, v13, v27, vcc
	v_cndmask_b32_e32 v24, v24, v25, vcc
	v_add_u32_e32 v25, 1, v13
	v_cmp_le_u32_e32 vcc, s74, v24
	s_nop 1
	v_cndmask_b32_e32 v13, v13, v25, vcc
	v_xor_b32_e32 v13, v13, v12
	v_sub_u32_e32 v12, v13, v12
	v_cmp_gt_i32_e32 vcc, s65, v12
	s_nop 1
	v_cndmask_b32_e32 v13, 0, v26, vcc
	v_and_b32_e32 v13, v22, v13
	v_cmp_ne_u32_e32 vcc, 0, v13
	s_and_saveexec_b64 s[54:55], vcc
	s_cbranch_execz .LBB84_24
; %bb.30:                               ;   in Loop: Header=BB84_25 Depth=5
	v_ashrrev_i32_e32 v13, 31, v12
	v_lshl_add_u64 v[12:13], v[12:13], 2, v[10:11]
	global_load_dword v12, v[12:13], off
	s_load_dword s56, s[52:53], 0x0
	s_waitcnt lgkmcnt(0)
	v_cvt_f64_f32_e32 v[24:25], s56
	s_waitcnt vmcnt(0)
	v_cvt_f64_f32_e32 v[12:13], v12
	v_fmac_f64_e32 v[4:5], v[12:13], v[24:25]
	s_branch .LBB84_24
.LBB84_31:                              ;   in Loop: Header=BB84_25 Depth=5
	v_mul_hi_u32 v13, v26, v18
	v_mul_lo_u32 v24, v13, s74
	v_sub_u32_e32 v24, v26, v24
	v_subrev_u32_e32 v25, s74, v24
	v_cmp_le_u32_e32 vcc, s74, v24
	v_ashrrev_i32_e32 v12, 31, v23
	s_mov_b32 s78, 1
	v_cndmask_b32_e32 v26, v24, v25, vcc
	v_subrev_u32_e32 v27, s74, v26
	v_cmp_le_u32_e32 vcc, s74, v26
	s_nop 1
	v_cndmask_b32_e32 v26, v26, v27, vcc
	v_xor_b32_e32 v26, v26, v12
	v_sub_u32_e32 v26, v26, v12
	v_cmp_ne_u32_e32 vcc, 0, v26
	s_and_b64 s[54:55], vcc, exec
                                        ; implicit-def: $vgpr26
	s_andn2_saveexec_b64 s[56:57], s[56:57]
	s_cbranch_execz .LBB84_27
.LBB84_32:                              ;   in Loop: Header=BB84_25 Depth=5
	v_mul_hi_u32 v13, v26, v18
	v_mul_lo_u32 v24, v13, s74
	v_sub_u32_e32 v24, v26, v24
	v_subrev_u32_e32 v25, s74, v24
	s_or_b64 s[54:55], s[54:55], exec
	s_or_b64 exec, exec, s[56:57]
	v_mov_b32_e32 v26, s78
	s_and_saveexec_b64 s[56:57], s[54:55]
	s_cbranch_execnz .LBB84_28
	s_branch .LBB84_29
.LBB84_33:                              ;   in Loop: Header=BB84_3 Depth=1
	v_mov_b64_e32 v[4:5], 0
.LBB84_34:                              ;   in Loop: Header=BB84_3 Depth=1
	v_ashrrev_i32_e32 v7, 31, v6
	v_mad_i64_i32 v[6:7], s[44:45], v3, s33, v[6:7]
	v_mul_lo_u32 v3, v7, s6
	v_mul_lo_u32 v8, v6, s58
	v_mad_u64_u32 v[6:7], s[44:45], v6, s6, 0
	v_add3_u32 v7, v7, v8, v3
	v_ashrrev_i32_e32 v3, 31, v2
	v_lshl_add_u64 v[6:7], v[6:7], 2, s[0:1]
	s_andn2_b64 vcc, exec, s[42:43]
	v_lshl_add_u64 v[2:3], v[2:3], 2, v[6:7]
	s_cbranch_vccnz .LBB84_2
; %bb.35:                               ;   in Loop: Header=BB84_3 Depth=1
	global_load_dword v6, v[2:3], off
	s_waitcnt vmcnt(0)
	v_cvt_f64_f32_e32 v[6:7], v6
	v_mul_f64 v[6:7], v[6:7], s[26:27]
	v_fmac_f64_e32 v[6:7], s[24:25], v[4:5]
	v_mov_b64_e32 v[4:5], v[6:7]
	s_branch .LBB84_2
.LBB84_36:
	s_endpgm
	.section	.rodata,"a",@progbits
	.p2align	6, 0x0
	.amdhsa_kernel naive_conv_ab_packed_bwd_ncdhw_float_double_float_0
		.amdhsa_group_segment_fixed_size 0
		.amdhsa_private_segment_fixed_size 0
		.amdhsa_kernarg_size 528
		.amdhsa_user_sgpr_count 2
		.amdhsa_user_sgpr_dispatch_ptr 0
		.amdhsa_user_sgpr_queue_ptr 0
		.amdhsa_user_sgpr_kernarg_segment_ptr 1
		.amdhsa_user_sgpr_dispatch_id 0
		.amdhsa_user_sgpr_kernarg_preload_length 0
		.amdhsa_user_sgpr_kernarg_preload_offset 0
		.amdhsa_user_sgpr_private_segment_size 0
		.amdhsa_uses_dynamic_stack 0
		.amdhsa_enable_private_segment 0
		.amdhsa_system_sgpr_workgroup_id_x 1
		.amdhsa_system_sgpr_workgroup_id_y 0
		.amdhsa_system_sgpr_workgroup_id_z 0
		.amdhsa_system_sgpr_workgroup_info 0
		.amdhsa_system_vgpr_workitem_id 0
		.amdhsa_next_free_vgpr 28
		.amdhsa_next_free_sgpr 80
		.amdhsa_accum_offset 28
		.amdhsa_reserve_vcc 1
		.amdhsa_float_round_mode_32 0
		.amdhsa_float_round_mode_16_64 0
		.amdhsa_float_denorm_mode_32 3
		.amdhsa_float_denorm_mode_16_64 3
		.amdhsa_dx10_clamp 1
		.amdhsa_ieee_mode 1
		.amdhsa_fp16_overflow 0
		.amdhsa_tg_split 0
		.amdhsa_exception_fp_ieee_invalid_op 0
		.amdhsa_exception_fp_denorm_src 0
		.amdhsa_exception_fp_ieee_div_zero 0
		.amdhsa_exception_fp_ieee_overflow 0
		.amdhsa_exception_fp_ieee_underflow 0
		.amdhsa_exception_fp_ieee_inexact 0
		.amdhsa_exception_int_div_zero 0
	.end_amdhsa_kernel
	.text
.Lfunc_end84:
	.size	naive_conv_ab_packed_bwd_ncdhw_float_double_float_0, .Lfunc_end84-naive_conv_ab_packed_bwd_ncdhw_float_double_float_0
                                        ; -- End function
	.section	.AMDGPU.csdata,"",@progbits
; Kernel info:
; codeLenInByte = 2684
; NumSgprs: 86
; NumVgprs: 28
; NumAgprs: 0
; TotalNumVgprs: 28
; ScratchSize: 0
; MemoryBound: 0
; FloatMode: 240
; IeeeMode: 1
; LDSByteSize: 0 bytes/workgroup (compile time only)
; SGPRBlocks: 10
; VGPRBlocks: 3
; NumSGPRsForWavesPerEU: 86
; NumVGPRsForWavesPerEU: 28
; AccumOffset: 28
; Occupancy: 8
; WaveLimiterHint : 1
; COMPUTE_PGM_RSRC2:SCRATCH_EN: 0
; COMPUTE_PGM_RSRC2:USER_SGPR: 2
; COMPUTE_PGM_RSRC2:TRAP_HANDLER: 0
; COMPUTE_PGM_RSRC2:TGID_X_EN: 1
; COMPUTE_PGM_RSRC2:TGID_Y_EN: 0
; COMPUTE_PGM_RSRC2:TGID_Z_EN: 0
; COMPUTE_PGM_RSRC2:TIDIG_COMP_CNT: 0
; COMPUTE_PGM_RSRC3_GFX90A:ACCUM_OFFSET: 6
; COMPUTE_PGM_RSRC3_GFX90A:TG_SPLIT: 0
	.text
	.protected	naive_conv_ab_nonpacked_bwd_ncdhw_float_double_float_0 ; -- Begin function naive_conv_ab_nonpacked_bwd_ncdhw_float_double_float_0
	.globl	naive_conv_ab_nonpacked_bwd_ncdhw_float_double_float_0
	.p2align	8
	.type	naive_conv_ab_nonpacked_bwd_ncdhw_float_double_float_0,@function
naive_conv_ab_nonpacked_bwd_ncdhw_float_double_float_0: ; @naive_conv_ab_nonpacked_bwd_ncdhw_float_double_float_0
; %bb.0:
	s_load_dwordx16 s[4:19], s[0:1], 0xb8
	s_abs_i32 s3, s2
	s_waitcnt lgkmcnt(0)
	s_abs_i32 s20, s9
	v_cvt_f32_u32_e32 v1, s20
	s_sub_i32 s21, 0, s20
	s_mul_i32 s28, s9, s7
	s_mul_i32 s68, s6, s5
	v_rcp_iflag_f32_e32 v1, v1
	s_nop 0
	v_mul_f32_e32 v1, 0x4f7ffffe, v1
	v_cvt_u32_f32_e32 v1, v1
	s_nop 0
	v_readfirstlane_b32 s22, v1
	s_mul_i32 s21, s21, s22
	s_mul_hi_u32 s21, s22, s21
	s_add_i32 s22, s22, s21
	s_mul_hi_u32 s21, s3, s22
	s_mul_i32 s22, s21, s20
	s_sub_i32 s22, s3, s22
	s_add_i32 s23, s21, 1
	s_sub_i32 s24, s22, s20
	s_cmp_ge_u32 s22, s20
	s_cselect_b32 s21, s23, s21
	s_cselect_b32 s22, s24, s22
	s_add_i32 s23, s21, 1
	s_cmp_ge_u32 s22, s20
	s_cselect_b32 s29, s23, s21
	s_abs_i32 s56, s7
	s_abs_i32 s33, s28
	v_cvt_f32_u32_e32 v1, s56
	v_cvt_f32_u32_e32 v2, s33
	s_mul_i32 s7, s68, s4
	v_cmp_gt_i32_e32 vcc, s7, v0
	v_rcp_iflag_f32_e32 v1, v1
	v_rcp_iflag_f32_e32 v2, v2
	v_mul_f32_e32 v1, 0x4f7ffffe, v1
	v_mul_f32_e32 v2, 0x4f7ffffe, v2
	v_cvt_u32_f32_e32 v1, v1
	v_cvt_u32_f32_e32 v2, v2
	v_readfirstlane_b32 s30, v1
	v_readfirstlane_b32 s4, v2
	s_and_saveexec_b64 s[20:21], vcc
	s_cbranch_execz .LBB85_36
; %bb.1:
	s_ashr_i32 s57, s2, 31
	s_ashr_i32 s31, s9, 31
	s_xor_b32 s31, s57, s31
	s_xor_b32 s29, s29, s31
	s_sub_i32 s58, s29, s31
	s_sub_i32 s29, 0, s56
	s_mul_i32 s29, s29, s30
	s_mul_hi_u32 s29, s30, s29
	s_abs_i32 s60, s58
	s_add_i32 s30, s30, s29
	s_mul_hi_u32 s61, s60, s30
	s_ashr_i32 s62, s28, 31
	s_sub_i32 s28, 0, s33
	s_ashr_i32 s59, s58, 31
	s_mul_i32 s28, s28, s4
	s_mul_i32 s58, s58, s9
	;; [unrolled: 1-line block ×3, first 2 shown]
	s_mul_hi_u32 s28, s4, s28
	s_sub_i32 s69, s2, s58
	s_sub_i32 s2, s60, s61
	s_add_i32 s4, s4, s28
	s_sub_i32 s9, s2, s56
	s_cmp_ge_u32 s2, s56
	s_cselect_b32 s2, s9, s2
	s_sub_i32 s9, s2, s56
	s_mul_hi_u32 s4, s3, s4
	s_cmp_ge_u32 s2, s56
	s_cselect_b32 s2, s9, s2
	s_mul_i32 s56, s4, s33
	s_xor_b32 s2, s2, s59
	s_sub_i32 s3, s3, s56
	s_sub_i32 s9, s2, s59
	s_xor_b32 s2, s57, s62
	s_add_i32 s56, s4, 1
	s_sub_i32 s57, s3, s33
	s_cmp_ge_u32 s3, s33
	s_cselect_b32 s4, s56, s4
	s_cselect_b32 s3, s57, s3
	s_add_i32 s56, s4, 1
	s_load_dwordx8 s[20:27], s[0:1], 0x0
	s_load_dwordx2 s[34:35], s[0:1], 0x20
	s_load_dwordx16 s[36:51], s[0:1], 0x28
	s_load_dwordx4 s[28:31], s[0:1], 0xf8
	s_load_dwordx4 s[52:55], s[0:1], 0xa8
	s_cmp_ge_u32 s3, s33
	s_cselect_b32 s3, s56, s4
	s_xor_b32 s3, s3, s2
	s_ashr_i32 s33, s9, 31
	s_sub_i32 s4, s3, s2
	s_waitcnt lgkmcnt(0)
	s_mul_i32 s2, s46, s33
	s_mul_hi_u32 s3, s46, s9
	s_add_i32 s2, s3, s2
	s_mul_i32 s3, s47, s9
	s_ashr_i32 s70, s4, 31
	s_add_i32 s3, s2, s3
	s_mul_i32 s2, s46, s9
	s_mul_i32 s46, s44, s70
	s_mul_hi_u32 s47, s44, s4
	s_add_i32 s46, s47, s46
	s_mul_i32 s45, s45, s4
	s_ashr_i32 s71, s69, 31
	s_add_i32 s45, s46, s45
	s_mul_i32 s46, s42, s71
	s_mul_hi_u32 s47, s42, s69
	s_add_i32 s46, s47, s46
	s_mul_i32 s43, s43, s69
	s_add_i32 s43, s46, s43
	s_lshl_b64 s[2:3], s[2:3], 2
	s_mul_i32 s44, s44, s4
	s_add_u32 s20, s20, s2
	s_addc_u32 s21, s21, s3
	s_lshl_b64 s[2:3], s[44:45], 2
	s_mul_i32 s42, s42, s69
	s_add_u32 s20, s20, s2
	s_addc_u32 s21, s21, s3
	s_lshl_b64 s[2:3], s[42:43], 2
	s_add_u32 s2, s20, s2
	s_addc_u32 s3, s21, s3
	s_mul_i32 s20, s54, s33
	s_mul_hi_u32 s21, s54, s9
	s_add_i32 s20, s21, s20
	s_mul_i32 s21, s55, s9
	s_add_i32 s21, s20, s21
	s_mul_i32 s20, s54, s9
	s_mul_i32 s9, s52, s70
	s_mul_hi_u32 s33, s52, s4
	s_add_i32 s9, s33, s9
	s_mul_i32 s33, s53, s4
	s_add_i32 s43, s9, s33
	s_lshl_b64 s[20:21], s[20:21], 2
	s_mul_i32 s42, s52, s4
	s_add_u32 s9, s34, s20
	s_addc_u32 s33, s35, s21
	s_lshl_b64 s[20:21], s[42:43], 2
	s_add_u32 s9, s9, s20
	s_load_dword s74, s[0:1], 0x108
	s_load_dword s72, s[0:1], 0x11c
	s_addc_u32 s33, s33, s21
	s_cmp_gt_i32 s8, 0
	s_cselect_b64 s[20:21], -1, 0
	s_cmp_gt_i32 s30, 0
	s_cselect_b64 s[34:35], -1, 0
	;; [unrolled: 2-line block ×3, first 2 shown]
	s_waitcnt lgkmcnt(0)
	s_cmp_gt_i32 s74, 0
	s_cselect_b64 s[44:45], -1, 0
	s_abs_i32 s83, s14
	v_cvt_f32_u32_e32 v8, s83
	s_abs_i32 s79, s6
	s_abs_i32 s80, s5
	v_cvt_f32_u32_e32 v1, s79
	v_rcp_iflag_f32_e32 v8, v8
	s_abs_i32 s77, s68
	v_cvt_f32_u32_e32 v3, s80
	v_cmp_neq_f64_e64 s[46:47], s[24:25], 1.0
	v_cmp_neq_f64_e64 s[52:53], s[26:27], 0
	s_ashr_i32 s81, s13, 31
	s_abs_i32 s13, s13
	v_cvt_f32_u32_e32 v5, s77
	s_or_b64 s[46:47], s[46:47], s[52:53]
	s_load_dwordx16 s[52:67], s[0:1], 0x68
	v_cvt_f32_u32_e32 v7, s13
	s_abs_i32 s85, s15
	v_rcp_iflag_f32_e32 v1, v1
	v_mul_f32_e32 v8, 0x4f7ffffe, v8
	v_rcp_iflag_f32_e32 v3, v3
	v_cvt_u32_f32_e32 v11, v8
	v_cvt_f32_u32_e32 v8, s85
	v_rcp_iflag_f32_e32 v5, v5
	v_rcp_iflag_f32_e32 v7, v7
	s_waitcnt lgkmcnt(0)
	s_mul_i32 s0, s54, s71
	s_mul_hi_u32 s1, s54, s69
	v_mul_f32_e32 v1, 0x4f7ffffe, v1
	s_add_i32 s0, s1, s0
	s_mul_i32 s1, s55, s69
	v_cvt_u32_f32_e32 v1, v1
	v_mul_f32_e32 v3, 0x4f7ffffe, v3
	v_rcp_iflag_f32_e32 v8, v8
	s_add_i32 s1, s0, s1
	s_mul_i32 s0, s54, s69
	s_mul_i32 s54, s58, s70
	s_mul_hi_u32 s55, s58, s4
	v_cvt_u32_f32_e32 v3, v3
	v_mul_f32_e32 v5, 0x4f7ffffe, v5
	s_add_i32 s54, s55, s54
	s_mul_i32 s55, s59, s4
	v_cvt_u32_f32_e32 v5, v5
	v_mul_f32_e32 v7, 0x4f7ffffe, v7
	s_add_i32 s55, s54, s55
	s_mul_i32 s54, s58, s4
	s_sub_i32 s4, 0, s79
	v_cvt_u32_f32_e32 v7, v7
	s_sub_i32 s5, 0, s80
	v_mul_lo_u32 v2, s4, v1
	v_mul_f32_e32 v8, 0x4f7ffffe, v8
	s_sub_i32 s58, 0, s77
	v_mul_lo_u32 v4, s5, v3
	v_cvt_u32_f32_e32 v13, v8
	v_mul_hi_u32 v2, v1, v2
	s_sub_i32 s59, 0, s13
	v_mul_lo_u32 v6, s58, v5
	v_add_u32_e32 v1, v1, v2
	v_mul_hi_u32 v2, v3, v4
	s_and_b32 s75, s72, 0xffff
	s_ashr_i32 s76, s68, 31
	s_lshl_b64 s[0:1], s[0:1], 2
	s_lshl_b64 s[54:55], s[54:55], 2
	s_ashr_i32 s78, s6, 31
	s_ashr_i32 s82, s14, 31
	s_sub_i32 s14, 0, s83
	s_ashr_i32 s84, s15, 31
	s_sub_i32 s15, 0, s85
	v_mul_lo_u32 v10, s59, v7
	v_add_u32_e32 v8, v3, v2
	v_mul_hi_u32 v2, v5, v6
	s_add_u32 s0, s0, s54
	v_mul_lo_u32 v12, s14, v11
	v_add_u32_e32 v9, v5, v2
	v_mul_hi_u32 v2, v7, v10
	s_addc_u32 s1, s1, s55
	v_mul_lo_u32 v14, s15, v13
	v_add_u32_e32 v10, v7, v2
	v_mul_hi_u32 v2, v11, v12
	s_add_u32 s0, s22, s0
	v_add_u32_e32 v11, v11, v2
	v_mul_hi_u32 v2, v13, v14
	s_addc_u32 s1, s23, s1
	v_add_u32_e32 v12, v13, v2
	s_mov_b64 s[4:5], 0
	s_lshl_b64 s[14:15], s[56:57], 2
	s_lshl_b64 s[22:23], s[52:53], 2
	;; [unrolled: 1-line block ×4, first 2 shown]
	s_branch .LBB85_3
.LBB85_2:                               ;   in Loop: Header=BB85_3 Depth=1
	v_add_u32_e32 v0, s75, v0
	v_cmp_le_i32_e32 vcc, s7, v0
	v_cvt_f32_f64_e32 v2, v[2:3]
	s_or_b64 s[4:5], vcc, s[4:5]
	global_store_dword v[4:5], v2, off
	s_andn2_b64 exec, exec, s[4:5]
	s_cbranch_execz .LBB85_36
.LBB85_3:                               ; =>This Loop Header: Depth=1
                                        ;     Child Loop BB85_6 Depth 2
                                        ;       Child Loop BB85_9 Depth 3
                                        ;         Child Loop BB85_18 Depth 4
                                        ;           Child Loop BB85_25 Depth 5
	v_sub_u32_e32 v4, 0, v0
	v_max_i32_e32 v4, v0, v4
	v_mul_hi_u32 v5, v4, v1
	v_mul_lo_u32 v6, v5, s79
	v_sub_u32_e32 v6, v4, v6
	v_add_u32_e32 v7, 1, v5
	v_cmp_le_u32_e32 vcc, s79, v6
	v_ashrrev_i32_e32 v2, 31, v0
	v_xor_b32_e32 v3, s78, v2
	v_cndmask_b32_e32 v5, v5, v7, vcc
	v_subrev_u32_e32 v7, s79, v6
	v_cndmask_b32_e32 v6, v6, v7, vcc
	v_add_u32_e32 v7, 1, v5
	v_cmp_le_u32_e32 vcc, s79, v6
	v_xor_b32_e32 v2, s76, v2
	s_nop 0
	v_cndmask_b32_e32 v5, v5, v7, vcc
	v_xor_b32_e32 v5, v5, v3
	v_sub_u32_e32 v3, v5, v3
	v_mul_lo_u32 v5, v3, s6
	v_sub_u32_e32 v6, 0, v3
	v_sub_u32_e32 v13, v0, v5
	v_ashrrev_i32_e32 v5, 31, v3
	v_max_i32_e32 v3, v3, v6
	v_mul_hi_u32 v6, v3, v8
	v_mul_lo_u32 v6, v6, s80
	v_sub_u32_e32 v3, v3, v6
	v_subrev_u32_e32 v6, s80, v3
	v_cmp_le_u32_e32 vcc, s80, v3
	s_nop 1
	v_cndmask_b32_e32 v3, v3, v6, vcc
	v_subrev_u32_e32 v6, s80, v3
	v_cmp_le_u32_e32 vcc, s80, v3
	s_nop 1
	v_cndmask_b32_e32 v3, v3, v6, vcc
	v_xor_b32_e32 v3, v3, v5
	v_sub_u32_e32 v14, v3, v5
	v_mul_hi_u32 v3, v4, v9
	v_mul_lo_u32 v5, v3, s77
	v_sub_u32_e32 v4, v4, v5
	v_add_u32_e32 v5, 1, v3
	v_cmp_le_u32_e32 vcc, s77, v4
	s_nop 1
	v_cndmask_b32_e32 v3, v3, v5, vcc
	v_subrev_u32_e32 v5, s77, v4
	v_cndmask_b32_e32 v4, v4, v5, vcc
	v_add_u32_e32 v5, 1, v3
	v_cmp_le_u32_e32 vcc, s77, v4
	s_nop 1
	v_cndmask_b32_e32 v3, v3, v5, vcc
	v_xor_b32_e32 v3, v3, v2
	s_andn2_b64 vcc, exec, s[20:21]
	v_sub_u32_e32 v15, v3, v2
	s_cbranch_vccnz .LBB85_33
; %bb.4:                                ;   in Loop: Header=BB85_3 Depth=1
	v_add_u32_e32 v16, s19, v15
	v_add_u32_e32 v17, s28, v14
	v_add_u32_e32 v18, s29, v13
	s_mov_b32 s86, 0
	v_mov_b64_e32 v[2:3], 0
	s_mov_b64 s[52:53], s[0:1]
	s_branch .LBB85_6
.LBB85_5:                               ;   in Loop: Header=BB85_6 Depth=2
	s_add_i32 s86, s86, 1
	s_add_u32 s52, s52, s14
	s_addc_u32 s53, s53, s15
	s_cmp_eq_u32 s86, s8
	s_cbranch_scc1 .LBB85_34
.LBB85_6:                               ;   Parent Loop BB85_3 Depth=1
                                        ; =>  This Loop Header: Depth=2
                                        ;       Child Loop BB85_9 Depth 3
                                        ;         Child Loop BB85_18 Depth 4
                                        ;           Child Loop BB85_25 Depth 5
	s_andn2_b64 vcc, exec, s[34:35]
	s_cbranch_vccnz .LBB85_5
; %bb.7:                                ;   in Loop: Header=BB85_6 Depth=2
	s_mul_i32 s54, s67, s86
	s_mul_hi_u32 s55, s66, s86
	s_add_i32 s55, s55, s54
	s_mul_i32 s54, s66, s86
	s_lshl_b64 s[54:55], s[54:55], 2
	s_add_u32 s54, s9, s54
	s_addc_u32 s55, s33, s55
	s_mov_b32 s87, 0
	s_mov_b64 s[56:57], s[52:53]
	s_branch .LBB85_9
.LBB85_8:                               ;   in Loop: Header=BB85_9 Depth=3
	s_add_i32 s87, s87, 1
	s_add_u32 s56, s56, s22
	s_addc_u32 s57, s57, s23
	s_cmp_eq_u32 s87, s30
	s_cbranch_scc1 .LBB85_5
.LBB85_9:                               ;   Parent Loop BB85_3 Depth=1
                                        ;     Parent Loop BB85_6 Depth=2
                                        ; =>    This Loop Header: Depth=3
                                        ;         Child Loop BB85_18 Depth 4
                                        ;           Child Loop BB85_25 Depth 5
	s_mul_i32 s58, s87, s16
	v_subrev_u32_e32 v20, s58, v16
	v_sub_u32_e32 v5, 0, v20
	v_cmp_lt_i32_e32 vcc, -1, v20
	s_mov_b64 s[58:59], 0
	v_ashrrev_i32_e32 v4, 31, v20
	v_max_i32_e32 v19, v20, v5
                                        ; implicit-def: $sgpr70
                                        ; implicit-def: $vgpr5
                                        ; implicit-def: $vgpr6
                                        ; implicit-def: $vgpr7
	s_and_saveexec_b64 s[68:69], vcc
	s_xor_b64 s[68:69], exec, s[68:69]
	s_cbranch_execnz .LBB85_13
; %bb.10:                               ;   in Loop: Header=BB85_9 Depth=3
	s_andn2_saveexec_b64 s[68:69], s[68:69]
	s_cbranch_execnz .LBB85_14
.LBB85_11:                              ;   in Loop: Header=BB85_9 Depth=3
	s_or_b64 exec, exec, s[68:69]
	v_mov_b32_e32 v19, s70
	s_and_saveexec_b64 s[68:69], s[58:59]
	s_cbranch_execnz .LBB85_15
.LBB85_12:                              ;   in Loop: Header=BB85_9 Depth=3
	s_or_b64 exec, exec, s[68:69]
	s_andn2_b64 vcc, exec, s[42:43]
	s_cbranch_vccz .LBB85_16
	s_branch .LBB85_8
.LBB85_13:                              ;   in Loop: Header=BB85_9 Depth=3
	v_mul_hi_u32 v5, v19, v10
	v_mul_lo_u32 v6, v5, s13
	v_sub_u32_e32 v6, v19, v6
	v_subrev_u32_e32 v7, s13, v6
	v_cmp_le_u32_e32 vcc, s13, v6
	v_ashrrev_i32_e32 v4, 31, v20
	s_mov_b32 s70, 1
	v_cndmask_b32_e32 v19, v6, v7, vcc
	v_subrev_u32_e32 v20, s13, v19
	v_cmp_le_u32_e32 vcc, s13, v19
	s_nop 1
	v_cndmask_b32_e32 v19, v19, v20, vcc
	v_xor_b32_e32 v19, v19, v4
	v_sub_u32_e32 v19, v19, v4
	v_cmp_ne_u32_e32 vcc, 0, v19
	s_and_b64 s[58:59], vcc, exec
                                        ; implicit-def: $vgpr19
	s_andn2_saveexec_b64 s[68:69], s[68:69]
	s_cbranch_execz .LBB85_11
.LBB85_14:                              ;   in Loop: Header=BB85_9 Depth=3
	v_mul_hi_u32 v5, v19, v10
	v_mul_lo_u32 v6, v5, s13
	v_sub_u32_e32 v6, v19, v6
	v_subrev_u32_e32 v7, s13, v6
	s_or_b64 s[58:59], s[58:59], exec
	s_or_b64 exec, exec, s[68:69]
	v_mov_b32_e32 v19, s70
	s_and_saveexec_b64 s[68:69], s[58:59]
	s_cbranch_execz .LBB85_12
.LBB85_15:                              ;   in Loop: Header=BB85_9 Depth=3
	v_mov_b32_e32 v19, 0
	s_or_b64 exec, exec, s[68:69]
	s_andn2_b64 vcc, exec, s[42:43]
	s_cbranch_vccnz .LBB85_8
.LBB85_16:                              ;   in Loop: Header=BB85_9 Depth=3
	v_add_u32_e32 v20, 1, v5
	v_cmp_le_u32_e32 vcc, s13, v6
	v_xor_b32_e32 v4, s81, v4
	s_mov_b32 s88, 0
	v_cndmask_b32_e32 v5, v5, v20, vcc
	v_cndmask_b32_e32 v6, v6, v7, vcc
	v_add_u32_e32 v7, 1, v5
	v_cmp_le_u32_e32 vcc, s13, v6
	s_nop 1
	v_cndmask_b32_e32 v5, v5, v7, vcc
	v_xor_b32_e32 v5, v5, v4
	v_sub_u32_e32 v4, v5, v4
	v_ashrrev_i32_e32 v5, 31, v4
	v_cmp_gt_i32_e32 vcc, s10, v4
	v_mul_lo_u32 v6, s64, v5
	v_mul_lo_u32 v7, s65, v4
	v_mad_u64_u32 v[4:5], s[58:59], s64, v4, 0
	v_add3_u32 v5, v5, v6, v7
	v_cndmask_b32_e32 v19, 0, v19, vcc
	v_lshl_add_u64 v[4:5], v[4:5], 2, s[54:55]
	s_mov_b64 s[58:59], s[56:57]
	s_branch .LBB85_18
.LBB85_17:                              ;   in Loop: Header=BB85_18 Depth=4
	s_add_i32 s88, s88, 1
	s_add_u32 s58, s58, s50
	s_addc_u32 s59, s59, s51
	s_cmp_eq_u32 s88, s31
	s_cbranch_scc1 .LBB85_8
.LBB85_18:                              ;   Parent Loop BB85_3 Depth=1
                                        ;     Parent Loop BB85_6 Depth=2
                                        ;       Parent Loop BB85_9 Depth=3
                                        ; =>      This Loop Header: Depth=4
                                        ;           Child Loop BB85_25 Depth 5
	s_mul_i32 s68, s88, s17
	v_subrev_u32_e32 v6, s68, v17
	v_sub_u32_e32 v20, 0, v6
	v_cmp_gt_i32_e64 s[68:69], 0, v6
	v_cmp_lt_i32_e32 vcc, -1, v6
	v_ashrrev_i32_e32 v7, 31, v6
	v_max_i32_e32 v6, v6, v20
                                        ; implicit-def: $sgpr72
	s_and_saveexec_b64 s[70:71], vcc
	s_cbranch_execnz .LBB85_21
; %bb.19:                               ;   in Loop: Header=BB85_18 Depth=4
	s_or_b64 exec, exec, s[70:71]
	v_mov_b32_e32 v20, s72
	s_and_saveexec_b64 s[70:71], s[68:69]
	s_cbranch_execnz .LBB85_22
.LBB85_20:                              ;   in Loop: Header=BB85_18 Depth=4
	s_or_b64 exec, exec, s[70:71]
	s_andn2_b64 vcc, exec, s[44:45]
	s_cbranch_vccz .LBB85_23
	s_branch .LBB85_17
.LBB85_21:                              ;   in Loop: Header=BB85_18 Depth=4
	v_mul_hi_u32 v20, v6, v11
	v_mul_lo_u32 v20, v20, s83
	v_sub_u32_e32 v20, v6, v20
	v_subrev_u32_e32 v21, s83, v20
	v_cmp_le_u32_e32 vcc, s83, v20
	s_andn2_b64 s[68:69], s[68:69], exec
	s_mov_b32 s72, 1
	v_cndmask_b32_e32 v20, v20, v21, vcc
	v_subrev_u32_e32 v21, s83, v20
	v_cmp_le_u32_e32 vcc, s83, v20
	s_nop 1
	v_cndmask_b32_e32 v20, v20, v21, vcc
	v_xor_b32_e32 v20, v20, v7
	v_sub_u32_e32 v20, v20, v7
	v_cmp_ne_u32_e32 vcc, 0, v20
	s_and_b64 s[90:91], vcc, exec
	s_or_b64 s[68:69], s[68:69], s[90:91]
	s_or_b64 exec, exec, s[70:71]
	v_mov_b32_e32 v20, s72
	s_and_saveexec_b64 s[70:71], s[68:69]
	s_cbranch_execz .LBB85_20
.LBB85_22:                              ;   in Loop: Header=BB85_18 Depth=4
	v_mov_b32_e32 v20, 0
	s_or_b64 exec, exec, s[70:71]
	s_andn2_b64 vcc, exec, s[44:45]
	s_cbranch_vccnz .LBB85_17
.LBB85_23:                              ;   in Loop: Header=BB85_18 Depth=4
	v_mul_hi_u32 v21, v6, v11
	v_mul_lo_u32 v22, v21, s83
	v_sub_u32_e32 v6, v6, v22
	v_add_u32_e32 v22, 1, v21
	v_cmp_le_u32_e32 vcc, s83, v6
	v_xor_b32_e32 v7, s82, v7
	s_mov_b32 s89, s74
	v_cndmask_b32_e32 v21, v21, v22, vcc
	v_subrev_u32_e32 v22, s83, v6
	v_cndmask_b32_e32 v6, v6, v22, vcc
	v_add_u32_e32 v22, 1, v21
	v_cmp_le_u32_e32 vcc, s83, v6
	s_nop 1
	v_cndmask_b32_e32 v6, v21, v22, vcc
	v_xor_b32_e32 v6, v6, v7
	v_sub_u32_e32 v6, v6, v7
	v_cmp_gt_i32_e32 vcc, s11, v6
	v_mul_lo_u32 v22, s63, v6
	s_nop 0
	v_cndmask_b32_e32 v7, 0, v20, vcc
	v_and_b32_e32 v20, v7, v19
	v_ashrrev_i32_e32 v7, 31, v6
	v_mul_lo_u32 v21, s62, v7
	v_mad_u64_u32 v[6:7], s[68:69], s62, v6, 0
	v_add3_u32 v7, v7, v21, v22
	v_lshl_add_u64 v[6:7], v[6:7], 2, v[4:5]
	s_mov_b64 s[68:69], s[58:59]
	v_mov_b32_e32 v21, v18
	s_branch .LBB85_25
.LBB85_24:                              ;   in Loop: Header=BB85_25 Depth=5
	s_or_b64 exec, exec, s[70:71]
	s_add_i32 s89, s89, -1
	s_add_u32 s68, s68, s48
	s_addc_u32 s69, s69, s49
	s_cmp_eq_u32 s89, 0
	v_subrev_u32_e32 v21, s18, v21
	s_cbranch_scc1 .LBB85_17
.LBB85_25:                              ;   Parent Loop BB85_3 Depth=1
                                        ;     Parent Loop BB85_6 Depth=2
                                        ;       Parent Loop BB85_9 Depth=3
                                        ;         Parent Loop BB85_18 Depth=4
                                        ; =>        This Inner Loop Header: Depth=5
	v_sub_u32_e32 v23, 0, v21
	v_cmp_lt_i32_e32 vcc, -1, v21
	s_mov_b64 s[70:71], 0
	v_ashrrev_i32_e32 v22, 31, v21
	v_max_i32_e32 v26, v21, v23
                                        ; implicit-def: $sgpr90
                                        ; implicit-def: $vgpr23
                                        ; implicit-def: $vgpr24
                                        ; implicit-def: $vgpr25
	s_and_saveexec_b64 s[72:73], vcc
	s_xor_b64 s[72:73], exec, s[72:73]
	s_cbranch_execnz .LBB85_31
; %bb.26:                               ;   in Loop: Header=BB85_25 Depth=5
	s_andn2_saveexec_b64 s[72:73], s[72:73]
	s_cbranch_execnz .LBB85_32
.LBB85_27:                              ;   in Loop: Header=BB85_25 Depth=5
	s_or_b64 exec, exec, s[72:73]
	v_mov_b32_e32 v26, s90
	s_and_saveexec_b64 s[72:73], s[70:71]
.LBB85_28:                              ;   in Loop: Header=BB85_25 Depth=5
	v_mov_b32_e32 v26, 0
.LBB85_29:                              ;   in Loop: Header=BB85_25 Depth=5
	s_or_b64 exec, exec, s[72:73]
	v_add_u32_e32 v27, 1, v23
	v_cmp_le_u32_e32 vcc, s85, v24
	v_xor_b32_e32 v22, s84, v22
	s_nop 0
	v_cndmask_b32_e32 v23, v23, v27, vcc
	v_cndmask_b32_e32 v24, v24, v25, vcc
	v_add_u32_e32 v25, 1, v23
	v_cmp_le_u32_e32 vcc, s85, v24
	s_nop 1
	v_cndmask_b32_e32 v23, v23, v25, vcc
	v_xor_b32_e32 v23, v23, v22
	v_sub_u32_e32 v22, v23, v22
	v_cmp_gt_i32_e32 vcc, s12, v22
	s_nop 1
	v_cndmask_b32_e32 v23, 0, v26, vcc
	v_and_b32_e32 v23, v20, v23
	v_cmp_ne_u32_e32 vcc, 0, v23
	s_and_saveexec_b64 s[70:71], vcc
	s_cbranch_execz .LBB85_24
; %bb.30:                               ;   in Loop: Header=BB85_25 Depth=5
	v_ashrrev_i32_e32 v23, 31, v22
	v_mul_lo_u32 v24, s61, v22
	v_mul_lo_u32 v25, s60, v23
	v_mad_u64_u32 v[22:23], s[72:73], s60, v22, 0
	v_add3_u32 v23, v23, v25, v24
	v_lshl_add_u64 v[22:23], v[22:23], 2, v[6:7]
	global_load_dword v22, v[22:23], off
	s_load_dword s72, s[68:69], 0x0
	s_waitcnt lgkmcnt(0)
	v_cvt_f64_f32_e32 v[24:25], s72
	s_waitcnt vmcnt(0)
	v_cvt_f64_f32_e32 v[22:23], v22
	v_fmac_f64_e32 v[2:3], v[22:23], v[24:25]
	s_branch .LBB85_24
.LBB85_31:                              ;   in Loop: Header=BB85_25 Depth=5
	v_mul_hi_u32 v23, v26, v12
	v_mul_lo_u32 v24, v23, s85
	v_sub_u32_e32 v24, v26, v24
	v_subrev_u32_e32 v25, s85, v24
	v_cmp_le_u32_e32 vcc, s85, v24
	v_ashrrev_i32_e32 v22, 31, v21
	s_mov_b32 s90, 1
	v_cndmask_b32_e32 v26, v24, v25, vcc
	v_subrev_u32_e32 v27, s85, v26
	v_cmp_le_u32_e32 vcc, s85, v26
	s_nop 1
	v_cndmask_b32_e32 v26, v26, v27, vcc
	v_xor_b32_e32 v26, v26, v22
	v_sub_u32_e32 v26, v26, v22
	v_cmp_ne_u32_e32 vcc, 0, v26
	s_and_b64 s[70:71], vcc, exec
                                        ; implicit-def: $vgpr26
	s_andn2_saveexec_b64 s[72:73], s[72:73]
	s_cbranch_execz .LBB85_27
.LBB85_32:                              ;   in Loop: Header=BB85_25 Depth=5
	v_mul_hi_u32 v23, v26, v12
	v_mul_lo_u32 v24, v23, s85
	v_sub_u32_e32 v24, v26, v24
	v_subrev_u32_e32 v25, s85, v24
	s_or_b64 s[70:71], s[70:71], exec
	s_or_b64 exec, exec, s[72:73]
	v_mov_b32_e32 v26, s90
	s_and_saveexec_b64 s[72:73], s[70:71]
	s_cbranch_execnz .LBB85_28
	s_branch .LBB85_29
.LBB85_33:                              ;   in Loop: Header=BB85_3 Depth=1
	v_mov_b64_e32 v[2:3], 0
.LBB85_34:                              ;   in Loop: Header=BB85_3 Depth=1
	v_ashrrev_i32_e32 v4, 31, v15
	v_mul_lo_u32 v6, s41, v15
	v_mul_lo_u32 v7, s40, v4
	v_mad_u64_u32 v[4:5], s[52:53], s40, v15, 0
	v_add3_u32 v5, v5, v7, v6
	v_ashrrev_i32_e32 v6, 31, v14
	v_mul_lo_u32 v15, s39, v14
	v_mul_lo_u32 v16, s38, v6
	v_mad_u64_u32 v[6:7], s[52:53], s38, v14, 0
	v_ashrrev_i32_e32 v14, 31, v13
	v_add3_u32 v7, v7, v16, v15
	v_mul_lo_u32 v16, s37, v13
	v_mul_lo_u32 v17, s36, v14
	v_mad_u64_u32 v[14:15], s[52:53], s36, v13, 0
	v_lshl_add_u64 v[4:5], v[4:5], 2, s[2:3]
	v_add3_u32 v15, v15, v17, v16
	v_lshl_add_u64 v[4:5], v[6:7], 2, v[4:5]
	s_andn2_b64 vcc, exec, s[46:47]
	v_lshl_add_u64 v[4:5], v[14:15], 2, v[4:5]
	s_cbranch_vccnz .LBB85_2
; %bb.35:                               ;   in Loop: Header=BB85_3 Depth=1
	global_load_dword v6, v[4:5], off
	s_waitcnt vmcnt(0)
	v_cvt_f64_f32_e32 v[6:7], v6
	v_mul_f64 v[6:7], v[6:7], s[26:27]
	v_fmac_f64_e32 v[6:7], s[24:25], v[2:3]
	v_mov_b64_e32 v[2:3], v[6:7]
	s_branch .LBB85_2
.LBB85_36:
	s_endpgm
	.section	.rodata,"a",@progbits
	.p2align	6, 0x0
	.amdhsa_kernel naive_conv_ab_nonpacked_bwd_ncdhw_float_double_float_0
		.amdhsa_group_segment_fixed_size 0
		.amdhsa_private_segment_fixed_size 0
		.amdhsa_kernarg_size 528
		.amdhsa_user_sgpr_count 2
		.amdhsa_user_sgpr_dispatch_ptr 0
		.amdhsa_user_sgpr_queue_ptr 0
		.amdhsa_user_sgpr_kernarg_segment_ptr 1
		.amdhsa_user_sgpr_dispatch_id 0
		.amdhsa_user_sgpr_kernarg_preload_length 0
		.amdhsa_user_sgpr_kernarg_preload_offset 0
		.amdhsa_user_sgpr_private_segment_size 0
		.amdhsa_uses_dynamic_stack 0
		.amdhsa_enable_private_segment 0
		.amdhsa_system_sgpr_workgroup_id_x 1
		.amdhsa_system_sgpr_workgroup_id_y 0
		.amdhsa_system_sgpr_workgroup_id_z 0
		.amdhsa_system_sgpr_workgroup_info 0
		.amdhsa_system_vgpr_workitem_id 0
		.amdhsa_next_free_vgpr 28
		.amdhsa_next_free_sgpr 92
		.amdhsa_accum_offset 28
		.amdhsa_reserve_vcc 1
		.amdhsa_float_round_mode_32 0
		.amdhsa_float_round_mode_16_64 0
		.amdhsa_float_denorm_mode_32 3
		.amdhsa_float_denorm_mode_16_64 3
		.amdhsa_dx10_clamp 1
		.amdhsa_ieee_mode 1
		.amdhsa_fp16_overflow 0
		.amdhsa_tg_split 0
		.amdhsa_exception_fp_ieee_invalid_op 0
		.amdhsa_exception_fp_denorm_src 0
		.amdhsa_exception_fp_ieee_div_zero 0
		.amdhsa_exception_fp_ieee_overflow 0
		.amdhsa_exception_fp_ieee_underflow 0
		.amdhsa_exception_fp_ieee_inexact 0
		.amdhsa_exception_int_div_zero 0
	.end_amdhsa_kernel
	.text
.Lfunc_end85:
	.size	naive_conv_ab_nonpacked_bwd_ncdhw_float_double_float_0, .Lfunc_end85-naive_conv_ab_nonpacked_bwd_ncdhw_float_double_float_0
                                        ; -- End function
	.section	.AMDGPU.csdata,"",@progbits
; Kernel info:
; codeLenInByte = 2720
; NumSgprs: 98
; NumVgprs: 28
; NumAgprs: 0
; TotalNumVgprs: 28
; ScratchSize: 0
; MemoryBound: 0
; FloatMode: 240
; IeeeMode: 1
; LDSByteSize: 0 bytes/workgroup (compile time only)
; SGPRBlocks: 12
; VGPRBlocks: 3
; NumSGPRsForWavesPerEU: 98
; NumVGPRsForWavesPerEU: 28
; AccumOffset: 28
; Occupancy: 8
; WaveLimiterHint : 1
; COMPUTE_PGM_RSRC2:SCRATCH_EN: 0
; COMPUTE_PGM_RSRC2:USER_SGPR: 2
; COMPUTE_PGM_RSRC2:TRAP_HANDLER: 0
; COMPUTE_PGM_RSRC2:TGID_X_EN: 1
; COMPUTE_PGM_RSRC2:TGID_Y_EN: 0
; COMPUTE_PGM_RSRC2:TGID_Z_EN: 0
; COMPUTE_PGM_RSRC2:TIDIG_COMP_CNT: 0
; COMPUTE_PGM_RSRC3_GFX90A:ACCUM_OFFSET: 6
; COMPUTE_PGM_RSRC3_GFX90A:TG_SPLIT: 0
	.text
	.protected	naive_conv_ab_packed_bwd_ncdhw_float_double_float_1 ; -- Begin function naive_conv_ab_packed_bwd_ncdhw_float_double_float_1
	.globl	naive_conv_ab_packed_bwd_ncdhw_float_double_float_1
	.p2align	8
	.type	naive_conv_ab_packed_bwd_ncdhw_float_double_float_1,@function
naive_conv_ab_packed_bwd_ncdhw_float_double_float_1: ; @naive_conv_ab_packed_bwd_ncdhw_float_double_float_1
; %bb.0:
	s_load_dwordx16 s[4:19], s[0:1], 0xb8
	s_abs_i32 s3, s2
	s_waitcnt lgkmcnt(0)
	s_abs_i32 s20, s9
	v_cvt_f32_u32_e32 v1, s20
	s_sub_i32 s21, 0, s20
	s_mul_i32 s28, s9, s7
	s_mul_i32 s45, s6, s5
	v_rcp_iflag_f32_e32 v1, v1
	s_nop 0
	v_mul_f32_e32 v1, 0x4f7ffffe, v1
	v_cvt_u32_f32_e32 v1, v1
	s_nop 0
	v_readfirstlane_b32 s22, v1
	s_mul_i32 s21, s21, s22
	s_mul_hi_u32 s21, s22, s21
	s_add_i32 s22, s22, s21
	s_mul_hi_u32 s21, s3, s22
	s_mul_i32 s22, s21, s20
	s_sub_i32 s22, s3, s22
	s_add_i32 s23, s21, 1
	s_sub_i32 s24, s22, s20
	s_cmp_ge_u32 s22, s20
	s_cselect_b32 s21, s23, s21
	s_cselect_b32 s22, s24, s22
	s_add_i32 s23, s21, 1
	s_cmp_ge_u32 s22, s20
	s_cselect_b32 s29, s23, s21
	s_abs_i32 s38, s7
	s_abs_i32 s33, s28
	v_cvt_f32_u32_e32 v1, s38
	v_cvt_f32_u32_e32 v2, s33
	s_mul_i32 s7, s45, s4
	v_cmp_gt_i32_e32 vcc, s7, v0
	v_rcp_iflag_f32_e32 v1, v1
	v_rcp_iflag_f32_e32 v2, v2
	v_mul_f32_e32 v1, 0x4f7ffffe, v1
	v_mul_f32_e32 v2, 0x4f7ffffe, v2
	v_cvt_u32_f32_e32 v1, v1
	v_cvt_u32_f32_e32 v2, v2
	v_readfirstlane_b32 s31, v1
	v_readfirstlane_b32 s30, v2
	s_and_saveexec_b64 s[20:21], vcc
	s_cbranch_execz .LBB86_36
; %bb.1:
	s_ashr_i32 s39, s2, 31
	s_ashr_i32 s44, s9, 31
	s_xor_b32 s34, s39, s44
	s_xor_b32 s29, s29, s34
	s_sub_i32 s40, s29, s34
	s_sub_i32 s29, 0, s38
	s_mul_i32 s29, s29, s31
	s_mul_hi_u32 s29, s31, s29
	s_ashr_i32 s46, s28, 31
	s_sub_i32 s28, 0, s33
	s_abs_i32 s42, s40
	s_add_i32 s31, s31, s29
	s_mul_i32 s28, s28, s30
	s_mul_hi_u32 s43, s42, s31
	s_mul_hi_u32 s28, s30, s28
	s_add_i32 s30, s30, s28
	s_mul_i32 s43, s43, s38
	s_load_dwordx8 s[20:27], s[0:1], 0x0
	s_ashr_i32 s41, s40, 31
	s_load_dwordx2 s[34:35], s[0:1], 0x108
	s_mul_hi_u32 s47, s3, s30
	s_load_dwordx2 s[36:37], s[0:1], 0x20
	s_load_dwordx4 s[28:31], s[0:1], 0xf8
	s_load_dword s48, s[0:1], 0x11c
	s_mul_i32 s40, s40, s9
	s_sub_i32 s1, s42, s43
	s_sub_i32 s50, s2, s40
	;; [unrolled: 1-line block ×3, first 2 shown]
	s_cmp_ge_u32 s1, s38
	s_cselect_b32 s1, s2, s1
	s_sub_i32 s2, s1, s38
	s_cmp_ge_u32 s1, s38
	s_waitcnt lgkmcnt(0)
	s_mul_i32 s49, s35, s8
	s_mul_i32 s0, s35, s9
	s_cselect_b32 s1, s2, s1
	s_mul_i32 s35, s47, s33
	s_xor_b32 s1, s1, s41
	s_sub_i32 s3, s3, s35
	s_sub_i32 s2, s1, s41
	s_xor_b32 s1, s39, s46
	s_add_i32 s35, s47, 1
	s_sub_i32 s38, s3, s33
	s_cmp_ge_u32 s3, s33
	s_cselect_b32 s35, s35, s47
	s_cselect_b32 s3, s38, s3
	s_add_i32 s38, s35, 1
	s_cmp_ge_u32 s3, s33
	s_cselect_b32 s3, s38, s35
	s_xor_b32 s3, s3, s1
	s_sub_i32 s3, s3, s1
	s_mul_hi_i32 s1, s2, s0
	s_mul_i32 s0, s2, s0
	s_ashr_i32 s58, s6, 31
	s_ashr_i32 s51, s50, 31
	s_add_u32 s0, s0, s50
	s_mul_i32 s38, s3, s9
	s_addc_u32 s1, s1, s51
	s_mul_hi_i32 s35, s3, s9
	s_add_u32 s0, s0, s38
	s_addc_u32 s1, s1, s35
	s_mul_hi_i32 s35, s5, s4
	s_mul_i32 s4, s5, s4
	s_mul_i32 s38, s4, s58
	s_mul_hi_u32 s39, s4, s6
	s_add_i32 s38, s39, s38
	s_mul_i32 s35, s35, s6
	s_mul_i32 s4, s4, s6
	s_add_i32 s35, s38, s35
	s_mul_i32 s1, s4, s1
	s_mul_hi_u32 s38, s4, s0
	s_add_i32 s1, s38, s1
	s_mul_i32 s35, s35, s0
	s_add_i32 s1, s1, s35
	s_mul_i32 s0, s4, s0
	s_lshl_b64 s[0:1], s[0:1], 2
	s_add_u32 s0, s20, s0
	s_mul_hi_i32 s4, s3, s8
	s_mul_i32 s3, s3, s8
	s_addc_u32 s1, s21, s1
	s_mul_i32 s20, s3, s44
	s_mul_hi_u32 s21, s3, s9
	s_add_i32 s20, s21, s20
	s_mul_i32 s21, s4, s9
	s_add_i32 s52, s20, s21
	s_ashr_i32 s54, s30, 31
	s_ashr_i32 s35, s34, 31
	s_mul_hi_i32 s20, s2, s49
	s_mul_i32 s2, s2, s49
	s_ashr_i32 s60, s10, 31
	s_ashr_i32 s62, s11, 31
	;; [unrolled: 1-line block ×3, first 2 shown]
	s_add_u32 s2, s3, s2
	s_mul_i32 s53, s3, s9
	s_mov_b32 s61, s10
	s_addc_u32 s3, s4, s20
	s_mul_hi_i32 s4, s11, s10
	s_mul_i32 s10, s11, s10
	s_mov_b32 s63, s11
	s_mul_i32 s11, s10, s64
	s_mul_hi_u32 s20, s10, s12
	s_add_i32 s11, s20, s11
	s_mul_i32 s4, s4, s12
	s_mul_i32 s10, s10, s12
	s_add_i32 s4, s11, s4
	s_mul_i32 s3, s10, s3
	s_mul_hi_u32 s11, s10, s2
	s_add_i32 s3, s11, s3
	s_mul_i32 s4, s4, s2
	s_add_i32 s3, s3, s4
	s_mul_i32 s2, s10, s2
	s_lshl_b64 s[2:3], s[2:3], 2
	s_add_u32 s2, s36, s2
	s_addc_u32 s3, s37, s3
	s_cmp_gt_i32 s8, 0
	s_cselect_b64 s[10:11], -1, 0
	s_cmp_gt_i32 s30, 0
	s_cselect_b64 s[20:21], -1, 0
	;; [unrolled: 2-line block ×4, first 2 shown]
	s_abs_i32 s66, s6
	v_cvt_f32_u32_e32 v1, s66
	s_abs_i32 s67, s5
	v_cvt_f32_u32_e32 v2, s67
	s_abs_i32 s69, s45
	v_rcp_iflag_f32_e32 v1, v1
	v_cvt_f32_u32_e32 v4, s69
	v_rcp_iflag_f32_e32 v2, v2
	s_sub_i32 s4, 0, s66
	v_mul_f32_e32 v1, 0x4f7ffffe, v1
	v_cvt_u32_f32_e32 v1, v1
	v_mul_f32_e32 v2, 0x4f7ffffe, v2
	v_cvt_u32_f32_e32 v2, v2
	s_abs_i32 s70, s13
	v_mul_lo_u32 v3, s4, v1
	v_mul_hi_u32 v3, v1, v3
	v_add_u32_e32 v1, v1, v3
	v_rcp_iflag_f32_e32 v3, v4
	s_sub_i32 s4, 0, s67
	v_mul_lo_u32 v4, s4, v2
	v_mul_hi_u32 v4, v2, v4
	v_add_u32_e32 v14, v2, v4
	v_mul_f32_e32 v2, 0x4f7ffffe, v3
	v_cvt_f32_u32_e32 v3, s70
	v_cvt_u32_f32_e32 v2, v2
	s_sub_i32 s4, 0, s69
	s_abs_i32 s73, s14
	v_rcp_iflag_f32_e32 v3, v3
	v_mul_lo_u32 v4, s4, v2
	v_mul_hi_u32 v4, v2, v4
	v_add_u32_e32 v15, v2, v4
	v_mul_f32_e32 v2, 0x4f7ffffe, v3
	v_cvt_u32_f32_e32 v2, v2
	s_sub_i32 s4, 0, s70
	v_cvt_f32_u32_e32 v3, s73
	s_abs_i32 s74, s15
	v_mul_lo_u32 v4, s4, v2
	v_mul_hi_u32 v4, v2, v4
	v_add_u32_e32 v16, v2, v4
	v_cvt_f32_u32_e32 v2, s74
	v_rcp_iflag_f32_e32 v3, v3
	s_sub_i32 s4, 0, s73
	v_cmp_neq_f64_e64 s[42:43], s[24:25], 1.0
	v_rcp_iflag_f32_e32 v2, v2
	v_mul_f32_e32 v3, 0x4f7ffffe, v3
	v_cvt_u32_f32_e32 v3, v3
	v_cmp_neq_f64_e64 s[46:47], s[26:27], 0
	v_mul_f32_e32 v2, 0x4f7ffffe, v2
	v_cvt_u32_f32_e32 v2, v2
	v_mul_lo_u32 v4, s4, v3
	s_or_b64 s[42:43], s[42:43], s[46:47]
	s_and_b32 s68, s48, 0xffff
	s_ashr_i32 s71, s45, 31
	s_ashr_i32 s72, s13, 31
	s_ashr_i32 s75, s14, 31
	v_mul_hi_u32 v4, v3, v4
	s_ashr_i32 s76, s15, 31
	s_sub_i32 s4, 0, s74
	v_add_u32_e32 v17, v3, v4
	v_mul_lo_u32 v3, s4, v2
	s_add_u32 s4, s53, s50
	s_mul_i32 s14, s34, s31
	s_mov_b32 s33, s5
	s_mov_b32 s65, s12
	s_addc_u32 s5, s52, s51
	s_mul_i32 s12, s14, s30
	s_mul_i32 s5, s12, s5
	s_mul_hi_u32 s13, s12, s4
	s_mov_b32 s59, s31
	s_add_i32 s5, s13, s5
	s_mul_hi_i32 s15, s34, s31
	s_mul_i32 s13, s14, s54
	s_mul_hi_u32 s31, s14, s30
	s_add_i32 s13, s31, s13
	s_mul_i32 s31, s15, s30
	s_add_i32 s13, s13, s31
	s_mul_i32 s31, s13, s4
	s_add_i32 s5, s5, s31
	s_mul_i32 s4, s12, s4
	s_lshl_b64 s[4:5], s[4:5], 2
	s_add_u32 s4, s22, s4
	s_addc_u32 s5, s23, s5
	s_mul_i32 s22, s12, s44
	s_mul_hi_u32 s23, s12, s9
	s_add_i32 s22, s23, s22
	s_mul_i32 s13, s13, s9
	v_mul_hi_u32 v3, v2, v3
	s_add_i32 s13, s22, s13
	s_mul_i32 s12, s12, s9
	s_mov_b64 s[40:41], 0
	v_add_u32_e32 v18, v2, v3
	s_lshl_b64 s[12:13], s[12:13], 2
	s_lshl_b64 s[14:15], s[14:15], 2
	;; [unrolled: 1-line block ×3, first 2 shown]
	s_branch .LBB86_3
.LBB86_2:                               ;   in Loop: Header=BB86_3 Depth=1
	v_add_u32_e32 v0, s68, v0
	v_cmp_le_i32_e32 vcc, s7, v0
	v_cvt_f32_f64_e32 v4, v[4:5]
	s_or_b64 s[40:41], vcc, s[40:41]
	global_store_dword v[2:3], v4, off
	s_andn2_b64 exec, exec, s[40:41]
	s_cbranch_execz .LBB86_36
.LBB86_3:                               ; =>This Loop Header: Depth=1
                                        ;     Child Loop BB86_6 Depth 2
                                        ;       Child Loop BB86_9 Depth 3
                                        ;         Child Loop BB86_18 Depth 4
                                        ;           Child Loop BB86_25 Depth 5
	v_sub_u32_e32 v4, 0, v0
	v_max_i32_e32 v4, v0, v4
	v_mul_hi_u32 v5, v4, v1
	v_mul_lo_u32 v6, v5, s66
	v_sub_u32_e32 v6, v4, v6
	v_add_u32_e32 v7, 1, v5
	v_cmp_le_u32_e32 vcc, s66, v6
	v_ashrrev_i32_e32 v3, 31, v0
	v_xor_b32_e32 v2, s58, v3
	v_cndmask_b32_e32 v5, v5, v7, vcc
	v_subrev_u32_e32 v7, s66, v6
	v_cndmask_b32_e32 v6, v6, v7, vcc
	v_add_u32_e32 v7, 1, v5
	v_cmp_le_u32_e32 vcc, s66, v6
	v_xor_b32_e32 v3, s71, v3
	s_nop 0
	v_cndmask_b32_e32 v5, v5, v7, vcc
	v_xor_b32_e32 v5, v5, v2
	v_sub_u32_e32 v5, v5, v2
	v_sub_u32_e32 v7, 0, v5
	v_mul_lo_u32 v2, v5, s6
	v_ashrrev_i32_e32 v6, 31, v5
	v_max_i32_e32 v5, v5, v7
	v_mul_hi_u32 v7, v5, v14
	v_mul_lo_u32 v7, v7, s67
	v_sub_u32_e32 v5, v5, v7
	v_subrev_u32_e32 v7, s67, v5
	v_cmp_le_u32_e32 vcc, s67, v5
	v_sub_u32_e32 v2, v0, v2
	s_nop 0
	v_cndmask_b32_e32 v5, v5, v7, vcc
	v_subrev_u32_e32 v7, s67, v5
	v_cmp_le_u32_e32 vcc, s67, v5
	s_nop 1
	v_cndmask_b32_e32 v5, v5, v7, vcc
	v_xor_b32_e32 v5, v5, v6
	v_sub_u32_e32 v6, v5, v6
	v_mul_hi_u32 v5, v4, v15
	v_mul_lo_u32 v7, v5, s69
	v_sub_u32_e32 v4, v4, v7
	v_add_u32_e32 v7, 1, v5
	v_cmp_le_u32_e32 vcc, s69, v4
	s_nop 1
	v_cndmask_b32_e32 v5, v5, v7, vcc
	v_subrev_u32_e32 v7, s69, v4
	v_cndmask_b32_e32 v4, v4, v7, vcc
	v_add_u32_e32 v7, 1, v5
	v_cmp_le_u32_e32 vcc, s69, v4
	s_nop 1
	v_cndmask_b32_e32 v4, v5, v7, vcc
	v_xor_b32_e32 v4, v4, v3
	s_andn2_b64 vcc, exec, s[10:11]
	v_sub_u32_e32 v3, v4, v3
	s_cbranch_vccnz .LBB86_33
; %bb.4:                                ;   in Loop: Header=BB86_3 Depth=1
	v_add_u32_e32 v7, s19, v3
	v_add_u32_e32 v19, s28, v6
	;; [unrolled: 1-line block ×3, first 2 shown]
	s_mov_b32 s9, 0
	v_mov_b64_e32 v[4:5], 0
	s_mov_b64 s[44:45], s[4:5]
	s_branch .LBB86_6
.LBB86_5:                               ;   in Loop: Header=BB86_6 Depth=2
	s_add_i32 s9, s9, 1
	s_add_u32 s44, s44, s12
	s_addc_u32 s45, s45, s13
	s_cmp_eq_u32 s9, s8
	s_cbranch_scc1 .LBB86_34
.LBB86_6:                               ;   Parent Loop BB86_3 Depth=1
                                        ; =>  This Loop Header: Depth=2
                                        ;       Child Loop BB86_9 Depth 3
                                        ;         Child Loop BB86_18 Depth 4
                                        ;           Child Loop BB86_25 Depth 5
	s_andn2_b64 vcc, exec, s[20:21]
	s_cbranch_vccnz .LBB86_5
; %bb.7:                                ;   in Loop: Header=BB86_6 Depth=2
	s_mul_i32 s31, s9, s60
	s_mul_hi_u32 s35, s9, s61
	s_add_i32 s47, s35, s31
	s_mul_i32 s46, s9, s61
	s_mov_b32 s31, 0
	s_mov_b64 s[48:49], s[44:45]
	s_branch .LBB86_9
.LBB86_8:                               ;   in Loop: Header=BB86_9 Depth=3
	s_add_i32 s31, s31, 1
	s_add_u32 s48, s48, s14
	s_addc_u32 s49, s49, s15
	s_cmp_eq_u32 s31, s30
	s_cbranch_scc1 .LBB86_5
.LBB86_9:                               ;   Parent Loop BB86_3 Depth=1
                                        ;     Parent Loop BB86_6 Depth=2
                                        ; =>    This Loop Header: Depth=3
                                        ;         Child Loop BB86_18 Depth 4
                                        ;           Child Loop BB86_25 Depth 5
	s_mul_i32 s35, s31, s16
	v_subrev_u32_e32 v13, s35, v7
	v_sub_u32_e32 v9, 0, v13
	v_cmp_lt_i32_e32 vcc, -1, v13
	s_mov_b64 s[50:51], 0
	v_ashrrev_i32_e32 v8, 31, v13
	v_max_i32_e32 v12, v13, v9
                                        ; implicit-def: $sgpr35
                                        ; implicit-def: $vgpr9
                                        ; implicit-def: $vgpr10
                                        ; implicit-def: $vgpr11
	s_and_saveexec_b64 s[52:53], vcc
	s_xor_b64 s[52:53], exec, s[52:53]
	s_cbranch_execnz .LBB86_13
; %bb.10:                               ;   in Loop: Header=BB86_9 Depth=3
	s_andn2_saveexec_b64 s[52:53], s[52:53]
	s_cbranch_execnz .LBB86_14
.LBB86_11:                              ;   in Loop: Header=BB86_9 Depth=3
	s_or_b64 exec, exec, s[52:53]
	v_mov_b32_e32 v12, s35
	s_and_saveexec_b64 s[52:53], s[50:51]
	s_cbranch_execnz .LBB86_15
.LBB86_12:                              ;   in Loop: Header=BB86_9 Depth=3
	s_or_b64 exec, exec, s[52:53]
	s_andn2_b64 vcc, exec, s[36:37]
	s_cbranch_vccz .LBB86_16
	s_branch .LBB86_8
.LBB86_13:                              ;   in Loop: Header=BB86_9 Depth=3
	v_mul_hi_u32 v9, v12, v16
	v_mul_lo_u32 v10, v9, s70
	v_sub_u32_e32 v10, v12, v10
	v_subrev_u32_e32 v11, s70, v10
	v_cmp_le_u32_e32 vcc, s70, v10
	v_ashrrev_i32_e32 v8, 31, v13
	s_mov_b32 s35, 1
	v_cndmask_b32_e32 v12, v10, v11, vcc
	v_subrev_u32_e32 v13, s70, v12
	v_cmp_le_u32_e32 vcc, s70, v12
	s_nop 1
	v_cndmask_b32_e32 v12, v12, v13, vcc
	v_xor_b32_e32 v12, v12, v8
	v_sub_u32_e32 v12, v12, v8
	v_cmp_ne_u32_e32 vcc, 0, v12
	s_and_b64 s[50:51], vcc, exec
                                        ; implicit-def: $vgpr12
	s_andn2_saveexec_b64 s[52:53], s[52:53]
	s_cbranch_execz .LBB86_11
.LBB86_14:                              ;   in Loop: Header=BB86_9 Depth=3
	v_mul_hi_u32 v9, v12, v16
	v_mul_lo_u32 v10, v9, s70
	v_sub_u32_e32 v10, v12, v10
	v_subrev_u32_e32 v11, s70, v10
	s_or_b64 s[50:51], s[50:51], exec
	s_or_b64 exec, exec, s[52:53]
	v_mov_b32_e32 v12, s35
	s_and_saveexec_b64 s[52:53], s[50:51]
	s_cbranch_execz .LBB86_12
.LBB86_15:                              ;   in Loop: Header=BB86_9 Depth=3
	v_mov_b32_e32 v12, 0
	s_or_b64 exec, exec, s[52:53]
	s_andn2_b64 vcc, exec, s[36:37]
	s_cbranch_vccnz .LBB86_8
.LBB86_16:                              ;   in Loop: Header=BB86_9 Depth=3
	v_add_u32_e32 v13, 1, v9
	v_cmp_le_u32_e32 vcc, s70, v10
	v_xor_b32_e32 v8, s72, v8
	s_mov_b32 s35, 0
	v_cndmask_b32_e32 v9, v9, v13, vcc
	v_cndmask_b32_e32 v10, v10, v11, vcc
	v_add_u32_e32 v11, 1, v9
	v_cmp_le_u32_e32 vcc, s70, v10
	s_nop 1
	v_cndmask_b32_e32 v9, v9, v11, vcc
	v_xor_b32_e32 v9, v9, v8
	v_sub_u32_e32 v8, v9, v8
	v_ashrrev_i32_e32 v9, 31, v8
	v_cmp_gt_i32_e32 vcc, s61, v8
	v_lshl_add_u64 v[8:9], s[46:47], 0, v[8:9]
	v_mul_lo_u32 v10, v9, s63
	v_mul_lo_u32 v11, v8, s62
	v_mad_u64_u32 v[8:9], s[50:51], v8, s63, 0
	v_cndmask_b32_e32 v21, 0, v12, vcc
	v_add3_u32 v9, v9, v11, v10
	s_mov_b64 s[50:51], s[48:49]
	s_branch .LBB86_18
.LBB86_17:                              ;   in Loop: Header=BB86_18 Depth=4
	s_add_i32 s35, s35, 1
	s_add_u32 s50, s50, s22
	s_addc_u32 s51, s51, s23
	s_cmp_eq_u32 s35, s59
	s_cbranch_scc1 .LBB86_8
.LBB86_18:                              ;   Parent Loop BB86_3 Depth=1
                                        ;     Parent Loop BB86_6 Depth=2
                                        ;       Parent Loop BB86_9 Depth=3
                                        ; =>      This Loop Header: Depth=4
                                        ;           Child Loop BB86_25 Depth 5
	s_mul_i32 s52, s35, s17
	v_subrev_u32_e32 v10, s52, v19
	v_sub_u32_e32 v12, 0, v10
	v_cmp_gt_i32_e64 s[52:53], 0, v10
	v_cmp_lt_i32_e32 vcc, -1, v10
	v_ashrrev_i32_e32 v11, 31, v10
	v_max_i32_e32 v10, v10, v12
                                        ; implicit-def: $sgpr56
	s_and_saveexec_b64 s[54:55], vcc
	s_cbranch_execnz .LBB86_21
; %bb.19:                               ;   in Loop: Header=BB86_18 Depth=4
	s_or_b64 exec, exec, s[54:55]
	v_mov_b32_e32 v12, s56
	s_and_saveexec_b64 s[54:55], s[52:53]
	s_cbranch_execnz .LBB86_22
.LBB86_20:                              ;   in Loop: Header=BB86_18 Depth=4
	s_or_b64 exec, exec, s[54:55]
	s_andn2_b64 vcc, exec, s[38:39]
	s_cbranch_vccz .LBB86_23
	s_branch .LBB86_17
.LBB86_21:                              ;   in Loop: Header=BB86_18 Depth=4
	v_mul_hi_u32 v12, v10, v17
	v_mul_lo_u32 v12, v12, s73
	v_sub_u32_e32 v12, v10, v12
	v_subrev_u32_e32 v13, s73, v12
	v_cmp_le_u32_e32 vcc, s73, v12
	s_andn2_b64 s[52:53], s[52:53], exec
	s_mov_b32 s56, 1
	v_cndmask_b32_e32 v12, v12, v13, vcc
	v_subrev_u32_e32 v13, s73, v12
	v_cmp_le_u32_e32 vcc, s73, v12
	s_nop 1
	v_cndmask_b32_e32 v12, v12, v13, vcc
	v_xor_b32_e32 v12, v12, v11
	v_sub_u32_e32 v12, v12, v11
	v_cmp_ne_u32_e32 vcc, 0, v12
	s_and_b64 s[78:79], vcc, exec
	s_or_b64 s[52:53], s[52:53], s[78:79]
	s_or_b64 exec, exec, s[54:55]
	v_mov_b32_e32 v12, s56
	s_and_saveexec_b64 s[54:55], s[52:53]
	s_cbranch_execz .LBB86_20
.LBB86_22:                              ;   in Loop: Header=BB86_18 Depth=4
	v_mov_b32_e32 v12, 0
	s_or_b64 exec, exec, s[54:55]
	s_andn2_b64 vcc, exec, s[38:39]
	s_cbranch_vccnz .LBB86_17
.LBB86_23:                              ;   in Loop: Header=BB86_18 Depth=4
	v_mul_hi_u32 v13, v10, v17
	v_mul_lo_u32 v22, v13, s73
	v_sub_u32_e32 v10, v10, v22
	v_add_u32_e32 v22, 1, v13
	v_cmp_le_u32_e32 vcc, s73, v10
	v_xor_b32_e32 v11, s75, v11
	s_mov_b32 s77, s34
	v_cndmask_b32_e32 v13, v13, v22, vcc
	v_subrev_u32_e32 v22, s73, v10
	v_cndmask_b32_e32 v10, v10, v22, vcc
	v_add_u32_e32 v22, 1, v13
	v_cmp_le_u32_e32 vcc, s73, v10
	v_mov_b32_e32 v23, v20
	s_nop 0
	v_cndmask_b32_e32 v10, v13, v22, vcc
	v_xor_b32_e32 v10, v10, v11
	v_sub_u32_e32 v10, v10, v11
	v_cmp_gt_i32_e32 vcc, s63, v10
	s_nop 1
	v_cndmask_b32_e32 v11, 0, v12, vcc
	v_and_b32_e32 v22, v11, v21
	v_ashrrev_i32_e32 v11, 31, v10
	v_lshl_add_u64 v[10:11], v[8:9], 0, v[10:11]
	v_mul_lo_u32 v12, v11, s65
	v_mul_lo_u32 v13, v10, s64
	v_mad_u64_u32 v[10:11], s[52:53], v10, s65, 0
	v_add3_u32 v11, v11, v13, v12
	v_lshl_add_u64 v[10:11], v[10:11], 2, s[2:3]
	s_mov_b64 s[52:53], s[50:51]
	s_branch .LBB86_25
.LBB86_24:                              ;   in Loop: Header=BB86_25 Depth=5
	s_or_b64 exec, exec, s[54:55]
	s_add_i32 s77, s77, -1
	s_add_u32 s52, s52, 4
	s_addc_u32 s53, s53, 0
	s_cmp_eq_u32 s77, 0
	v_subrev_u32_e32 v23, s18, v23
	s_cbranch_scc1 .LBB86_17
.LBB86_25:                              ;   Parent Loop BB86_3 Depth=1
                                        ;     Parent Loop BB86_6 Depth=2
                                        ;       Parent Loop BB86_9 Depth=3
                                        ;         Parent Loop BB86_18 Depth=4
                                        ; =>        This Inner Loop Header: Depth=5
	v_sub_u32_e32 v13, 0, v23
	v_cmp_lt_i32_e32 vcc, -1, v23
	s_mov_b64 s[54:55], 0
	v_ashrrev_i32_e32 v12, 31, v23
	v_max_i32_e32 v26, v23, v13
                                        ; implicit-def: $sgpr78
                                        ; implicit-def: $vgpr13
                                        ; implicit-def: $vgpr24
                                        ; implicit-def: $vgpr25
	s_and_saveexec_b64 s[56:57], vcc
	s_xor_b64 s[56:57], exec, s[56:57]
	s_cbranch_execnz .LBB86_31
; %bb.26:                               ;   in Loop: Header=BB86_25 Depth=5
	s_andn2_saveexec_b64 s[56:57], s[56:57]
	s_cbranch_execnz .LBB86_32
.LBB86_27:                              ;   in Loop: Header=BB86_25 Depth=5
	s_or_b64 exec, exec, s[56:57]
	v_mov_b32_e32 v26, s78
	s_and_saveexec_b64 s[56:57], s[54:55]
.LBB86_28:                              ;   in Loop: Header=BB86_25 Depth=5
	v_mov_b32_e32 v26, 0
.LBB86_29:                              ;   in Loop: Header=BB86_25 Depth=5
	s_or_b64 exec, exec, s[56:57]
	v_add_u32_e32 v27, 1, v13
	v_cmp_le_u32_e32 vcc, s74, v24
	v_xor_b32_e32 v12, s76, v12
	s_nop 0
	v_cndmask_b32_e32 v13, v13, v27, vcc
	v_cndmask_b32_e32 v24, v24, v25, vcc
	v_add_u32_e32 v25, 1, v13
	v_cmp_le_u32_e32 vcc, s74, v24
	s_nop 1
	v_cndmask_b32_e32 v13, v13, v25, vcc
	v_xor_b32_e32 v13, v13, v12
	v_sub_u32_e32 v12, v13, v12
	v_cmp_gt_i32_e32 vcc, s65, v12
	s_nop 1
	v_cndmask_b32_e32 v13, 0, v26, vcc
	v_and_b32_e32 v13, v22, v13
	v_cmp_ne_u32_e32 vcc, 0, v13
	s_and_saveexec_b64 s[54:55], vcc
	s_cbranch_execz .LBB86_24
; %bb.30:                               ;   in Loop: Header=BB86_25 Depth=5
	v_ashrrev_i32_e32 v13, 31, v12
	v_lshl_add_u64 v[12:13], v[12:13], 2, v[10:11]
	global_load_dword v12, v[12:13], off
	s_load_dword s56, s[52:53], 0x0
	s_waitcnt lgkmcnt(0)
	s_and_b32 s56, s56, 0xffffe000
	s_waitcnt vmcnt(0)
	v_and_b32_e32 v24, 0xffffe000, v12
	v_cvt_f64_f32_e32 v[12:13], s56
	v_cvt_f64_f32_e32 v[24:25], v24
	v_fmac_f64_e32 v[4:5], v[24:25], v[12:13]
	s_branch .LBB86_24
.LBB86_31:                              ;   in Loop: Header=BB86_25 Depth=5
	v_mul_hi_u32 v13, v26, v18
	v_mul_lo_u32 v24, v13, s74
	v_sub_u32_e32 v24, v26, v24
	v_subrev_u32_e32 v25, s74, v24
	v_cmp_le_u32_e32 vcc, s74, v24
	v_ashrrev_i32_e32 v12, 31, v23
	s_mov_b32 s78, 1
	v_cndmask_b32_e32 v26, v24, v25, vcc
	v_subrev_u32_e32 v27, s74, v26
	v_cmp_le_u32_e32 vcc, s74, v26
	s_nop 1
	v_cndmask_b32_e32 v26, v26, v27, vcc
	v_xor_b32_e32 v26, v26, v12
	v_sub_u32_e32 v26, v26, v12
	v_cmp_ne_u32_e32 vcc, 0, v26
	s_and_b64 s[54:55], vcc, exec
                                        ; implicit-def: $vgpr26
	s_andn2_saveexec_b64 s[56:57], s[56:57]
	s_cbranch_execz .LBB86_27
.LBB86_32:                              ;   in Loop: Header=BB86_25 Depth=5
	v_mul_hi_u32 v13, v26, v18
	v_mul_lo_u32 v24, v13, s74
	v_sub_u32_e32 v24, v26, v24
	v_subrev_u32_e32 v25, s74, v24
	s_or_b64 s[54:55], s[54:55], exec
	s_or_b64 exec, exec, s[56:57]
	v_mov_b32_e32 v26, s78
	s_and_saveexec_b64 s[56:57], s[54:55]
	s_cbranch_execnz .LBB86_28
	s_branch .LBB86_29
.LBB86_33:                              ;   in Loop: Header=BB86_3 Depth=1
	v_mov_b64_e32 v[4:5], 0
.LBB86_34:                              ;   in Loop: Header=BB86_3 Depth=1
	v_ashrrev_i32_e32 v7, 31, v6
	v_mad_i64_i32 v[6:7], s[44:45], v3, s33, v[6:7]
	v_mul_lo_u32 v3, v7, s6
	v_mul_lo_u32 v8, v6, s58
	v_mad_u64_u32 v[6:7], s[44:45], v6, s6, 0
	v_add3_u32 v7, v7, v8, v3
	v_ashrrev_i32_e32 v3, 31, v2
	v_lshl_add_u64 v[6:7], v[6:7], 2, s[0:1]
	s_andn2_b64 vcc, exec, s[42:43]
	v_lshl_add_u64 v[2:3], v[2:3], 2, v[6:7]
	s_cbranch_vccnz .LBB86_2
; %bb.35:                               ;   in Loop: Header=BB86_3 Depth=1
	global_load_dword v6, v[2:3], off
	s_waitcnt vmcnt(0)
	v_cvt_f64_f32_e32 v[6:7], v6
	v_mul_f64 v[6:7], v[6:7], s[26:27]
	v_fmac_f64_e32 v[6:7], s[24:25], v[4:5]
	v_mov_b64_e32 v[4:5], v[6:7]
	s_branch .LBB86_2
.LBB86_36:
	s_endpgm
	.section	.rodata,"a",@progbits
	.p2align	6, 0x0
	.amdhsa_kernel naive_conv_ab_packed_bwd_ncdhw_float_double_float_1
		.amdhsa_group_segment_fixed_size 0
		.amdhsa_private_segment_fixed_size 0
		.amdhsa_kernarg_size 528
		.amdhsa_user_sgpr_count 2
		.amdhsa_user_sgpr_dispatch_ptr 0
		.amdhsa_user_sgpr_queue_ptr 0
		.amdhsa_user_sgpr_kernarg_segment_ptr 1
		.amdhsa_user_sgpr_dispatch_id 0
		.amdhsa_user_sgpr_kernarg_preload_length 0
		.amdhsa_user_sgpr_kernarg_preload_offset 0
		.amdhsa_user_sgpr_private_segment_size 0
		.amdhsa_uses_dynamic_stack 0
		.amdhsa_enable_private_segment 0
		.amdhsa_system_sgpr_workgroup_id_x 1
		.amdhsa_system_sgpr_workgroup_id_y 0
		.amdhsa_system_sgpr_workgroup_id_z 0
		.amdhsa_system_sgpr_workgroup_info 0
		.amdhsa_system_vgpr_workitem_id 0
		.amdhsa_next_free_vgpr 28
		.amdhsa_next_free_sgpr 80
		.amdhsa_accum_offset 28
		.amdhsa_reserve_vcc 1
		.amdhsa_float_round_mode_32 0
		.amdhsa_float_round_mode_16_64 0
		.amdhsa_float_denorm_mode_32 3
		.amdhsa_float_denorm_mode_16_64 3
		.amdhsa_dx10_clamp 1
		.amdhsa_ieee_mode 1
		.amdhsa_fp16_overflow 0
		.amdhsa_tg_split 0
		.amdhsa_exception_fp_ieee_invalid_op 0
		.amdhsa_exception_fp_denorm_src 0
		.amdhsa_exception_fp_ieee_div_zero 0
		.amdhsa_exception_fp_ieee_overflow 0
		.amdhsa_exception_fp_ieee_underflow 0
		.amdhsa_exception_fp_ieee_inexact 0
		.amdhsa_exception_int_div_zero 0
	.end_amdhsa_kernel
	.text
.Lfunc_end86:
	.size	naive_conv_ab_packed_bwd_ncdhw_float_double_float_1, .Lfunc_end86-naive_conv_ab_packed_bwd_ncdhw_float_double_float_1
                                        ; -- End function
	.section	.AMDGPU.csdata,"",@progbits
; Kernel info:
; codeLenInByte = 2700
; NumSgprs: 86
; NumVgprs: 28
; NumAgprs: 0
; TotalNumVgprs: 28
; ScratchSize: 0
; MemoryBound: 0
; FloatMode: 240
; IeeeMode: 1
; LDSByteSize: 0 bytes/workgroup (compile time only)
; SGPRBlocks: 10
; VGPRBlocks: 3
; NumSGPRsForWavesPerEU: 86
; NumVGPRsForWavesPerEU: 28
; AccumOffset: 28
; Occupancy: 8
; WaveLimiterHint : 1
; COMPUTE_PGM_RSRC2:SCRATCH_EN: 0
; COMPUTE_PGM_RSRC2:USER_SGPR: 2
; COMPUTE_PGM_RSRC2:TRAP_HANDLER: 0
; COMPUTE_PGM_RSRC2:TGID_X_EN: 1
; COMPUTE_PGM_RSRC2:TGID_Y_EN: 0
; COMPUTE_PGM_RSRC2:TGID_Z_EN: 0
; COMPUTE_PGM_RSRC2:TIDIG_COMP_CNT: 0
; COMPUTE_PGM_RSRC3_GFX90A:ACCUM_OFFSET: 6
; COMPUTE_PGM_RSRC3_GFX90A:TG_SPLIT: 0
	.text
	.protected	naive_conv_ab_nonpacked_bwd_ncdhw_float_double_float_1 ; -- Begin function naive_conv_ab_nonpacked_bwd_ncdhw_float_double_float_1
	.globl	naive_conv_ab_nonpacked_bwd_ncdhw_float_double_float_1
	.p2align	8
	.type	naive_conv_ab_nonpacked_bwd_ncdhw_float_double_float_1,@function
naive_conv_ab_nonpacked_bwd_ncdhw_float_double_float_1: ; @naive_conv_ab_nonpacked_bwd_ncdhw_float_double_float_1
; %bb.0:
	s_load_dwordx16 s[4:19], s[0:1], 0xb8
	s_abs_i32 s3, s2
	s_waitcnt lgkmcnt(0)
	s_abs_i32 s20, s9
	v_cvt_f32_u32_e32 v1, s20
	s_sub_i32 s21, 0, s20
	s_mul_i32 s28, s9, s7
	s_mul_i32 s68, s6, s5
	v_rcp_iflag_f32_e32 v1, v1
	s_nop 0
	v_mul_f32_e32 v1, 0x4f7ffffe, v1
	v_cvt_u32_f32_e32 v1, v1
	s_nop 0
	v_readfirstlane_b32 s22, v1
	s_mul_i32 s21, s21, s22
	s_mul_hi_u32 s21, s22, s21
	s_add_i32 s22, s22, s21
	s_mul_hi_u32 s21, s3, s22
	s_mul_i32 s22, s21, s20
	s_sub_i32 s22, s3, s22
	s_add_i32 s23, s21, 1
	s_sub_i32 s24, s22, s20
	s_cmp_ge_u32 s22, s20
	s_cselect_b32 s21, s23, s21
	s_cselect_b32 s22, s24, s22
	s_add_i32 s23, s21, 1
	s_cmp_ge_u32 s22, s20
	s_cselect_b32 s29, s23, s21
	s_abs_i32 s56, s7
	s_abs_i32 s33, s28
	v_cvt_f32_u32_e32 v1, s56
	v_cvt_f32_u32_e32 v2, s33
	s_mul_i32 s7, s68, s4
	v_cmp_gt_i32_e32 vcc, s7, v0
	v_rcp_iflag_f32_e32 v1, v1
	v_rcp_iflag_f32_e32 v2, v2
	v_mul_f32_e32 v1, 0x4f7ffffe, v1
	v_mul_f32_e32 v2, 0x4f7ffffe, v2
	v_cvt_u32_f32_e32 v1, v1
	v_cvt_u32_f32_e32 v2, v2
	v_readfirstlane_b32 s30, v1
	v_readfirstlane_b32 s4, v2
	s_and_saveexec_b64 s[20:21], vcc
	s_cbranch_execz .LBB87_36
; %bb.1:
	s_ashr_i32 s57, s2, 31
	s_ashr_i32 s31, s9, 31
	s_xor_b32 s31, s57, s31
	s_xor_b32 s29, s29, s31
	s_sub_i32 s58, s29, s31
	s_sub_i32 s29, 0, s56
	s_mul_i32 s29, s29, s30
	s_mul_hi_u32 s29, s30, s29
	s_abs_i32 s60, s58
	s_add_i32 s30, s30, s29
	s_mul_hi_u32 s61, s60, s30
	s_ashr_i32 s62, s28, 31
	s_sub_i32 s28, 0, s33
	s_ashr_i32 s59, s58, 31
	s_mul_i32 s28, s28, s4
	s_mul_i32 s58, s58, s9
	;; [unrolled: 1-line block ×3, first 2 shown]
	s_mul_hi_u32 s28, s4, s28
	s_sub_i32 s69, s2, s58
	s_sub_i32 s2, s60, s61
	s_add_i32 s4, s4, s28
	s_sub_i32 s9, s2, s56
	s_cmp_ge_u32 s2, s56
	s_cselect_b32 s2, s9, s2
	s_sub_i32 s9, s2, s56
	s_mul_hi_u32 s4, s3, s4
	s_cmp_ge_u32 s2, s56
	s_cselect_b32 s2, s9, s2
	s_mul_i32 s56, s4, s33
	s_xor_b32 s2, s2, s59
	s_sub_i32 s3, s3, s56
	s_sub_i32 s9, s2, s59
	s_xor_b32 s2, s57, s62
	s_add_i32 s56, s4, 1
	s_sub_i32 s57, s3, s33
	s_cmp_ge_u32 s3, s33
	s_cselect_b32 s4, s56, s4
	s_cselect_b32 s3, s57, s3
	s_add_i32 s56, s4, 1
	s_load_dwordx8 s[20:27], s[0:1], 0x0
	s_load_dwordx2 s[34:35], s[0:1], 0x20
	s_load_dwordx16 s[36:51], s[0:1], 0x28
	s_load_dwordx4 s[28:31], s[0:1], 0xf8
	s_load_dwordx4 s[52:55], s[0:1], 0xa8
	s_cmp_ge_u32 s3, s33
	s_cselect_b32 s3, s56, s4
	s_xor_b32 s3, s3, s2
	s_ashr_i32 s33, s9, 31
	s_sub_i32 s4, s3, s2
	s_waitcnt lgkmcnt(0)
	s_mul_i32 s2, s46, s33
	s_mul_hi_u32 s3, s46, s9
	s_add_i32 s2, s3, s2
	s_mul_i32 s3, s47, s9
	s_ashr_i32 s70, s4, 31
	s_add_i32 s3, s2, s3
	s_mul_i32 s2, s46, s9
	s_mul_i32 s46, s44, s70
	s_mul_hi_u32 s47, s44, s4
	s_add_i32 s46, s47, s46
	s_mul_i32 s45, s45, s4
	s_ashr_i32 s71, s69, 31
	s_add_i32 s45, s46, s45
	s_mul_i32 s46, s42, s71
	s_mul_hi_u32 s47, s42, s69
	s_add_i32 s46, s47, s46
	s_mul_i32 s43, s43, s69
	s_add_i32 s43, s46, s43
	s_lshl_b64 s[2:3], s[2:3], 2
	s_mul_i32 s44, s44, s4
	s_add_u32 s20, s20, s2
	s_addc_u32 s21, s21, s3
	s_lshl_b64 s[2:3], s[44:45], 2
	s_mul_i32 s42, s42, s69
	s_add_u32 s20, s20, s2
	s_addc_u32 s21, s21, s3
	s_lshl_b64 s[2:3], s[42:43], 2
	s_add_u32 s2, s20, s2
	s_addc_u32 s3, s21, s3
	s_mul_i32 s20, s54, s33
	s_mul_hi_u32 s21, s54, s9
	s_add_i32 s20, s21, s20
	s_mul_i32 s21, s55, s9
	s_add_i32 s21, s20, s21
	s_mul_i32 s20, s54, s9
	s_mul_i32 s9, s52, s70
	s_mul_hi_u32 s33, s52, s4
	s_add_i32 s9, s33, s9
	s_mul_i32 s33, s53, s4
	s_add_i32 s43, s9, s33
	s_lshl_b64 s[20:21], s[20:21], 2
	s_mul_i32 s42, s52, s4
	s_add_u32 s9, s34, s20
	s_addc_u32 s33, s35, s21
	s_lshl_b64 s[20:21], s[42:43], 2
	s_add_u32 s9, s9, s20
	s_load_dword s74, s[0:1], 0x108
	s_load_dword s72, s[0:1], 0x11c
	s_addc_u32 s33, s33, s21
	s_cmp_gt_i32 s8, 0
	s_cselect_b64 s[20:21], -1, 0
	s_cmp_gt_i32 s30, 0
	s_cselect_b64 s[34:35], -1, 0
	;; [unrolled: 2-line block ×3, first 2 shown]
	s_waitcnt lgkmcnt(0)
	s_cmp_gt_i32 s74, 0
	s_cselect_b64 s[44:45], -1, 0
	s_abs_i32 s83, s14
	v_cvt_f32_u32_e32 v8, s83
	s_abs_i32 s79, s6
	s_abs_i32 s80, s5
	v_cvt_f32_u32_e32 v1, s79
	v_rcp_iflag_f32_e32 v8, v8
	s_abs_i32 s77, s68
	v_cvt_f32_u32_e32 v3, s80
	v_cmp_neq_f64_e64 s[46:47], s[24:25], 1.0
	v_cmp_neq_f64_e64 s[52:53], s[26:27], 0
	s_ashr_i32 s81, s13, 31
	s_abs_i32 s13, s13
	v_cvt_f32_u32_e32 v5, s77
	s_or_b64 s[46:47], s[46:47], s[52:53]
	s_load_dwordx16 s[52:67], s[0:1], 0x68
	v_cvt_f32_u32_e32 v7, s13
	s_abs_i32 s85, s15
	v_rcp_iflag_f32_e32 v1, v1
	v_mul_f32_e32 v8, 0x4f7ffffe, v8
	v_rcp_iflag_f32_e32 v3, v3
	v_cvt_u32_f32_e32 v11, v8
	v_cvt_f32_u32_e32 v8, s85
	v_rcp_iflag_f32_e32 v5, v5
	v_rcp_iflag_f32_e32 v7, v7
	s_waitcnt lgkmcnt(0)
	s_mul_i32 s0, s54, s71
	s_mul_hi_u32 s1, s54, s69
	v_mul_f32_e32 v1, 0x4f7ffffe, v1
	s_add_i32 s0, s1, s0
	s_mul_i32 s1, s55, s69
	v_cvt_u32_f32_e32 v1, v1
	v_mul_f32_e32 v3, 0x4f7ffffe, v3
	v_rcp_iflag_f32_e32 v8, v8
	s_add_i32 s1, s0, s1
	s_mul_i32 s0, s54, s69
	s_mul_i32 s54, s58, s70
	s_mul_hi_u32 s55, s58, s4
	v_cvt_u32_f32_e32 v3, v3
	v_mul_f32_e32 v5, 0x4f7ffffe, v5
	s_add_i32 s54, s55, s54
	s_mul_i32 s55, s59, s4
	v_cvt_u32_f32_e32 v5, v5
	v_mul_f32_e32 v7, 0x4f7ffffe, v7
	s_add_i32 s55, s54, s55
	s_mul_i32 s54, s58, s4
	s_sub_i32 s4, 0, s79
	v_cvt_u32_f32_e32 v7, v7
	s_sub_i32 s5, 0, s80
	v_mul_lo_u32 v2, s4, v1
	v_mul_f32_e32 v8, 0x4f7ffffe, v8
	s_sub_i32 s58, 0, s77
	v_mul_lo_u32 v4, s5, v3
	v_cvt_u32_f32_e32 v13, v8
	v_mul_hi_u32 v2, v1, v2
	s_sub_i32 s59, 0, s13
	v_mul_lo_u32 v6, s58, v5
	v_add_u32_e32 v1, v1, v2
	v_mul_hi_u32 v2, v3, v4
	s_and_b32 s75, s72, 0xffff
	s_ashr_i32 s76, s68, 31
	s_lshl_b64 s[0:1], s[0:1], 2
	s_lshl_b64 s[54:55], s[54:55], 2
	s_ashr_i32 s78, s6, 31
	s_ashr_i32 s82, s14, 31
	s_sub_i32 s14, 0, s83
	s_ashr_i32 s84, s15, 31
	s_sub_i32 s15, 0, s85
	v_mul_lo_u32 v10, s59, v7
	v_add_u32_e32 v8, v3, v2
	v_mul_hi_u32 v2, v5, v6
	s_add_u32 s0, s0, s54
	v_mul_lo_u32 v12, s14, v11
	v_add_u32_e32 v9, v5, v2
	v_mul_hi_u32 v2, v7, v10
	s_addc_u32 s1, s1, s55
	v_mul_lo_u32 v14, s15, v13
	v_add_u32_e32 v10, v7, v2
	v_mul_hi_u32 v2, v11, v12
	s_add_u32 s0, s22, s0
	v_add_u32_e32 v11, v11, v2
	v_mul_hi_u32 v2, v13, v14
	s_addc_u32 s1, s23, s1
	v_add_u32_e32 v12, v13, v2
	s_mov_b64 s[4:5], 0
	s_lshl_b64 s[14:15], s[56:57], 2
	s_lshl_b64 s[22:23], s[52:53], 2
	;; [unrolled: 1-line block ×4, first 2 shown]
	s_branch .LBB87_3
.LBB87_2:                               ;   in Loop: Header=BB87_3 Depth=1
	v_add_u32_e32 v0, s75, v0
	v_cmp_le_i32_e32 vcc, s7, v0
	v_cvt_f32_f64_e32 v2, v[2:3]
	s_or_b64 s[4:5], vcc, s[4:5]
	global_store_dword v[4:5], v2, off
	s_andn2_b64 exec, exec, s[4:5]
	s_cbranch_execz .LBB87_36
.LBB87_3:                               ; =>This Loop Header: Depth=1
                                        ;     Child Loop BB87_6 Depth 2
                                        ;       Child Loop BB87_9 Depth 3
                                        ;         Child Loop BB87_18 Depth 4
                                        ;           Child Loop BB87_25 Depth 5
	v_sub_u32_e32 v4, 0, v0
	v_max_i32_e32 v4, v0, v4
	v_mul_hi_u32 v5, v4, v1
	v_mul_lo_u32 v6, v5, s79
	v_sub_u32_e32 v6, v4, v6
	v_add_u32_e32 v7, 1, v5
	v_cmp_le_u32_e32 vcc, s79, v6
	v_ashrrev_i32_e32 v2, 31, v0
	v_xor_b32_e32 v3, s78, v2
	v_cndmask_b32_e32 v5, v5, v7, vcc
	v_subrev_u32_e32 v7, s79, v6
	v_cndmask_b32_e32 v6, v6, v7, vcc
	v_add_u32_e32 v7, 1, v5
	v_cmp_le_u32_e32 vcc, s79, v6
	v_xor_b32_e32 v2, s76, v2
	s_nop 0
	v_cndmask_b32_e32 v5, v5, v7, vcc
	v_xor_b32_e32 v5, v5, v3
	v_sub_u32_e32 v3, v5, v3
	v_mul_lo_u32 v5, v3, s6
	v_sub_u32_e32 v6, 0, v3
	v_sub_u32_e32 v13, v0, v5
	v_ashrrev_i32_e32 v5, 31, v3
	v_max_i32_e32 v3, v3, v6
	v_mul_hi_u32 v6, v3, v8
	v_mul_lo_u32 v6, v6, s80
	v_sub_u32_e32 v3, v3, v6
	v_subrev_u32_e32 v6, s80, v3
	v_cmp_le_u32_e32 vcc, s80, v3
	s_nop 1
	v_cndmask_b32_e32 v3, v3, v6, vcc
	v_subrev_u32_e32 v6, s80, v3
	v_cmp_le_u32_e32 vcc, s80, v3
	s_nop 1
	v_cndmask_b32_e32 v3, v3, v6, vcc
	v_xor_b32_e32 v3, v3, v5
	v_sub_u32_e32 v14, v3, v5
	v_mul_hi_u32 v3, v4, v9
	v_mul_lo_u32 v5, v3, s77
	v_sub_u32_e32 v4, v4, v5
	v_add_u32_e32 v5, 1, v3
	v_cmp_le_u32_e32 vcc, s77, v4
	s_nop 1
	v_cndmask_b32_e32 v3, v3, v5, vcc
	v_subrev_u32_e32 v5, s77, v4
	v_cndmask_b32_e32 v4, v4, v5, vcc
	v_add_u32_e32 v5, 1, v3
	v_cmp_le_u32_e32 vcc, s77, v4
	s_nop 1
	v_cndmask_b32_e32 v3, v3, v5, vcc
	v_xor_b32_e32 v3, v3, v2
	s_andn2_b64 vcc, exec, s[20:21]
	v_sub_u32_e32 v15, v3, v2
	s_cbranch_vccnz .LBB87_33
; %bb.4:                                ;   in Loop: Header=BB87_3 Depth=1
	v_add_u32_e32 v16, s19, v15
	v_add_u32_e32 v17, s28, v14
	;; [unrolled: 1-line block ×3, first 2 shown]
	s_mov_b32 s86, 0
	v_mov_b64_e32 v[2:3], 0
	s_mov_b64 s[52:53], s[0:1]
	s_branch .LBB87_6
.LBB87_5:                               ;   in Loop: Header=BB87_6 Depth=2
	s_add_i32 s86, s86, 1
	s_add_u32 s52, s52, s14
	s_addc_u32 s53, s53, s15
	s_cmp_eq_u32 s86, s8
	s_cbranch_scc1 .LBB87_34
.LBB87_6:                               ;   Parent Loop BB87_3 Depth=1
                                        ; =>  This Loop Header: Depth=2
                                        ;       Child Loop BB87_9 Depth 3
                                        ;         Child Loop BB87_18 Depth 4
                                        ;           Child Loop BB87_25 Depth 5
	s_andn2_b64 vcc, exec, s[34:35]
	s_cbranch_vccnz .LBB87_5
; %bb.7:                                ;   in Loop: Header=BB87_6 Depth=2
	s_mul_i32 s54, s67, s86
	s_mul_hi_u32 s55, s66, s86
	s_add_i32 s55, s55, s54
	s_mul_i32 s54, s66, s86
	s_lshl_b64 s[54:55], s[54:55], 2
	s_add_u32 s54, s9, s54
	s_addc_u32 s55, s33, s55
	s_mov_b32 s87, 0
	s_mov_b64 s[56:57], s[52:53]
	s_branch .LBB87_9
.LBB87_8:                               ;   in Loop: Header=BB87_9 Depth=3
	s_add_i32 s87, s87, 1
	s_add_u32 s56, s56, s22
	s_addc_u32 s57, s57, s23
	s_cmp_eq_u32 s87, s30
	s_cbranch_scc1 .LBB87_5
.LBB87_9:                               ;   Parent Loop BB87_3 Depth=1
                                        ;     Parent Loop BB87_6 Depth=2
                                        ; =>    This Loop Header: Depth=3
                                        ;         Child Loop BB87_18 Depth 4
                                        ;           Child Loop BB87_25 Depth 5
	s_mul_i32 s58, s87, s16
	v_subrev_u32_e32 v20, s58, v16
	v_sub_u32_e32 v5, 0, v20
	v_cmp_lt_i32_e32 vcc, -1, v20
	s_mov_b64 s[58:59], 0
	v_ashrrev_i32_e32 v4, 31, v20
	v_max_i32_e32 v19, v20, v5
                                        ; implicit-def: $sgpr70
                                        ; implicit-def: $vgpr5
                                        ; implicit-def: $vgpr6
                                        ; implicit-def: $vgpr7
	s_and_saveexec_b64 s[68:69], vcc
	s_xor_b64 s[68:69], exec, s[68:69]
	s_cbranch_execnz .LBB87_13
; %bb.10:                               ;   in Loop: Header=BB87_9 Depth=3
	s_andn2_saveexec_b64 s[68:69], s[68:69]
	s_cbranch_execnz .LBB87_14
.LBB87_11:                              ;   in Loop: Header=BB87_9 Depth=3
	s_or_b64 exec, exec, s[68:69]
	v_mov_b32_e32 v19, s70
	s_and_saveexec_b64 s[68:69], s[58:59]
	s_cbranch_execnz .LBB87_15
.LBB87_12:                              ;   in Loop: Header=BB87_9 Depth=3
	s_or_b64 exec, exec, s[68:69]
	s_andn2_b64 vcc, exec, s[42:43]
	s_cbranch_vccz .LBB87_16
	s_branch .LBB87_8
.LBB87_13:                              ;   in Loop: Header=BB87_9 Depth=3
	v_mul_hi_u32 v5, v19, v10
	v_mul_lo_u32 v6, v5, s13
	v_sub_u32_e32 v6, v19, v6
	v_subrev_u32_e32 v7, s13, v6
	v_cmp_le_u32_e32 vcc, s13, v6
	v_ashrrev_i32_e32 v4, 31, v20
	s_mov_b32 s70, 1
	v_cndmask_b32_e32 v19, v6, v7, vcc
	v_subrev_u32_e32 v20, s13, v19
	v_cmp_le_u32_e32 vcc, s13, v19
	s_nop 1
	v_cndmask_b32_e32 v19, v19, v20, vcc
	v_xor_b32_e32 v19, v19, v4
	v_sub_u32_e32 v19, v19, v4
	v_cmp_ne_u32_e32 vcc, 0, v19
	s_and_b64 s[58:59], vcc, exec
                                        ; implicit-def: $vgpr19
	s_andn2_saveexec_b64 s[68:69], s[68:69]
	s_cbranch_execz .LBB87_11
.LBB87_14:                              ;   in Loop: Header=BB87_9 Depth=3
	v_mul_hi_u32 v5, v19, v10
	v_mul_lo_u32 v6, v5, s13
	v_sub_u32_e32 v6, v19, v6
	v_subrev_u32_e32 v7, s13, v6
	s_or_b64 s[58:59], s[58:59], exec
	s_or_b64 exec, exec, s[68:69]
	v_mov_b32_e32 v19, s70
	s_and_saveexec_b64 s[68:69], s[58:59]
	s_cbranch_execz .LBB87_12
.LBB87_15:                              ;   in Loop: Header=BB87_9 Depth=3
	v_mov_b32_e32 v19, 0
	s_or_b64 exec, exec, s[68:69]
	s_andn2_b64 vcc, exec, s[42:43]
	s_cbranch_vccnz .LBB87_8
.LBB87_16:                              ;   in Loop: Header=BB87_9 Depth=3
	v_add_u32_e32 v20, 1, v5
	v_cmp_le_u32_e32 vcc, s13, v6
	v_xor_b32_e32 v4, s81, v4
	s_mov_b32 s88, 0
	v_cndmask_b32_e32 v5, v5, v20, vcc
	v_cndmask_b32_e32 v6, v6, v7, vcc
	v_add_u32_e32 v7, 1, v5
	v_cmp_le_u32_e32 vcc, s13, v6
	s_nop 1
	v_cndmask_b32_e32 v5, v5, v7, vcc
	v_xor_b32_e32 v5, v5, v4
	v_sub_u32_e32 v4, v5, v4
	v_ashrrev_i32_e32 v5, 31, v4
	v_cmp_gt_i32_e32 vcc, s10, v4
	v_mul_lo_u32 v6, s64, v5
	v_mul_lo_u32 v7, s65, v4
	v_mad_u64_u32 v[4:5], s[58:59], s64, v4, 0
	v_add3_u32 v5, v5, v6, v7
	v_cndmask_b32_e32 v19, 0, v19, vcc
	v_lshl_add_u64 v[4:5], v[4:5], 2, s[54:55]
	s_mov_b64 s[58:59], s[56:57]
	s_branch .LBB87_18
.LBB87_17:                              ;   in Loop: Header=BB87_18 Depth=4
	s_add_i32 s88, s88, 1
	s_add_u32 s58, s58, s50
	s_addc_u32 s59, s59, s51
	s_cmp_eq_u32 s88, s31
	s_cbranch_scc1 .LBB87_8
.LBB87_18:                              ;   Parent Loop BB87_3 Depth=1
                                        ;     Parent Loop BB87_6 Depth=2
                                        ;       Parent Loop BB87_9 Depth=3
                                        ; =>      This Loop Header: Depth=4
                                        ;           Child Loop BB87_25 Depth 5
	s_mul_i32 s68, s88, s17
	v_subrev_u32_e32 v6, s68, v17
	v_sub_u32_e32 v20, 0, v6
	v_cmp_gt_i32_e64 s[68:69], 0, v6
	v_cmp_lt_i32_e32 vcc, -1, v6
	v_ashrrev_i32_e32 v7, 31, v6
	v_max_i32_e32 v6, v6, v20
                                        ; implicit-def: $sgpr72
	s_and_saveexec_b64 s[70:71], vcc
	s_cbranch_execnz .LBB87_21
; %bb.19:                               ;   in Loop: Header=BB87_18 Depth=4
	s_or_b64 exec, exec, s[70:71]
	v_mov_b32_e32 v20, s72
	s_and_saveexec_b64 s[70:71], s[68:69]
	s_cbranch_execnz .LBB87_22
.LBB87_20:                              ;   in Loop: Header=BB87_18 Depth=4
	s_or_b64 exec, exec, s[70:71]
	s_andn2_b64 vcc, exec, s[44:45]
	s_cbranch_vccz .LBB87_23
	s_branch .LBB87_17
.LBB87_21:                              ;   in Loop: Header=BB87_18 Depth=4
	v_mul_hi_u32 v20, v6, v11
	v_mul_lo_u32 v20, v20, s83
	v_sub_u32_e32 v20, v6, v20
	v_subrev_u32_e32 v21, s83, v20
	v_cmp_le_u32_e32 vcc, s83, v20
	s_andn2_b64 s[68:69], s[68:69], exec
	s_mov_b32 s72, 1
	v_cndmask_b32_e32 v20, v20, v21, vcc
	v_subrev_u32_e32 v21, s83, v20
	v_cmp_le_u32_e32 vcc, s83, v20
	s_nop 1
	v_cndmask_b32_e32 v20, v20, v21, vcc
	v_xor_b32_e32 v20, v20, v7
	v_sub_u32_e32 v20, v20, v7
	v_cmp_ne_u32_e32 vcc, 0, v20
	s_and_b64 s[90:91], vcc, exec
	s_or_b64 s[68:69], s[68:69], s[90:91]
	s_or_b64 exec, exec, s[70:71]
	v_mov_b32_e32 v20, s72
	s_and_saveexec_b64 s[70:71], s[68:69]
	s_cbranch_execz .LBB87_20
.LBB87_22:                              ;   in Loop: Header=BB87_18 Depth=4
	v_mov_b32_e32 v20, 0
	s_or_b64 exec, exec, s[70:71]
	s_andn2_b64 vcc, exec, s[44:45]
	s_cbranch_vccnz .LBB87_17
.LBB87_23:                              ;   in Loop: Header=BB87_18 Depth=4
	v_mul_hi_u32 v21, v6, v11
	v_mul_lo_u32 v22, v21, s83
	v_sub_u32_e32 v6, v6, v22
	v_add_u32_e32 v22, 1, v21
	v_cmp_le_u32_e32 vcc, s83, v6
	v_xor_b32_e32 v7, s82, v7
	s_mov_b32 s89, s74
	v_cndmask_b32_e32 v21, v21, v22, vcc
	v_subrev_u32_e32 v22, s83, v6
	v_cndmask_b32_e32 v6, v6, v22, vcc
	v_add_u32_e32 v22, 1, v21
	v_cmp_le_u32_e32 vcc, s83, v6
	s_nop 1
	v_cndmask_b32_e32 v6, v21, v22, vcc
	v_xor_b32_e32 v6, v6, v7
	v_sub_u32_e32 v6, v6, v7
	v_cmp_gt_i32_e32 vcc, s11, v6
	v_mul_lo_u32 v22, s63, v6
	s_nop 0
	v_cndmask_b32_e32 v7, 0, v20, vcc
	v_and_b32_e32 v20, v7, v19
	v_ashrrev_i32_e32 v7, 31, v6
	v_mul_lo_u32 v21, s62, v7
	v_mad_u64_u32 v[6:7], s[68:69], s62, v6, 0
	v_add3_u32 v7, v7, v21, v22
	v_lshl_add_u64 v[6:7], v[6:7], 2, v[4:5]
	s_mov_b64 s[68:69], s[58:59]
	v_mov_b32_e32 v21, v18
	s_branch .LBB87_25
.LBB87_24:                              ;   in Loop: Header=BB87_25 Depth=5
	s_or_b64 exec, exec, s[70:71]
	s_add_i32 s89, s89, -1
	s_add_u32 s68, s68, s48
	s_addc_u32 s69, s69, s49
	s_cmp_eq_u32 s89, 0
	v_subrev_u32_e32 v21, s18, v21
	s_cbranch_scc1 .LBB87_17
.LBB87_25:                              ;   Parent Loop BB87_3 Depth=1
                                        ;     Parent Loop BB87_6 Depth=2
                                        ;       Parent Loop BB87_9 Depth=3
                                        ;         Parent Loop BB87_18 Depth=4
                                        ; =>        This Inner Loop Header: Depth=5
	v_sub_u32_e32 v23, 0, v21
	v_cmp_lt_i32_e32 vcc, -1, v21
	s_mov_b64 s[70:71], 0
	v_ashrrev_i32_e32 v22, 31, v21
	v_max_i32_e32 v26, v21, v23
                                        ; implicit-def: $sgpr90
                                        ; implicit-def: $vgpr23
                                        ; implicit-def: $vgpr24
                                        ; implicit-def: $vgpr25
	s_and_saveexec_b64 s[72:73], vcc
	s_xor_b64 s[72:73], exec, s[72:73]
	s_cbranch_execnz .LBB87_31
; %bb.26:                               ;   in Loop: Header=BB87_25 Depth=5
	s_andn2_saveexec_b64 s[72:73], s[72:73]
	s_cbranch_execnz .LBB87_32
.LBB87_27:                              ;   in Loop: Header=BB87_25 Depth=5
	s_or_b64 exec, exec, s[72:73]
	v_mov_b32_e32 v26, s90
	s_and_saveexec_b64 s[72:73], s[70:71]
.LBB87_28:                              ;   in Loop: Header=BB87_25 Depth=5
	v_mov_b32_e32 v26, 0
.LBB87_29:                              ;   in Loop: Header=BB87_25 Depth=5
	s_or_b64 exec, exec, s[72:73]
	v_add_u32_e32 v27, 1, v23
	v_cmp_le_u32_e32 vcc, s85, v24
	v_xor_b32_e32 v22, s84, v22
	s_nop 0
	v_cndmask_b32_e32 v23, v23, v27, vcc
	v_cndmask_b32_e32 v24, v24, v25, vcc
	v_add_u32_e32 v25, 1, v23
	v_cmp_le_u32_e32 vcc, s85, v24
	s_nop 1
	v_cndmask_b32_e32 v23, v23, v25, vcc
	v_xor_b32_e32 v23, v23, v22
	v_sub_u32_e32 v22, v23, v22
	v_cmp_gt_i32_e32 vcc, s12, v22
	s_nop 1
	v_cndmask_b32_e32 v23, 0, v26, vcc
	v_and_b32_e32 v23, v20, v23
	v_cmp_ne_u32_e32 vcc, 0, v23
	s_and_saveexec_b64 s[70:71], vcc
	s_cbranch_execz .LBB87_24
; %bb.30:                               ;   in Loop: Header=BB87_25 Depth=5
	v_ashrrev_i32_e32 v23, 31, v22
	v_mul_lo_u32 v24, s61, v22
	v_mul_lo_u32 v25, s60, v23
	v_mad_u64_u32 v[22:23], s[72:73], s60, v22, 0
	v_add3_u32 v23, v23, v25, v24
	v_lshl_add_u64 v[22:23], v[22:23], 2, v[6:7]
	global_load_dword v22, v[22:23], off
	s_load_dword s72, s[68:69], 0x0
	s_waitcnt lgkmcnt(0)
	s_and_b32 s72, s72, 0xffffe000
	v_cvt_f64_f32_e32 v[24:25], s72
	s_waitcnt vmcnt(0)
	v_and_b32_e32 v22, 0xffffe000, v22
	v_cvt_f64_f32_e32 v[22:23], v22
	v_fmac_f64_e32 v[2:3], v[22:23], v[24:25]
	s_branch .LBB87_24
.LBB87_31:                              ;   in Loop: Header=BB87_25 Depth=5
	v_mul_hi_u32 v23, v26, v12
	v_mul_lo_u32 v24, v23, s85
	v_sub_u32_e32 v24, v26, v24
	v_subrev_u32_e32 v25, s85, v24
	v_cmp_le_u32_e32 vcc, s85, v24
	v_ashrrev_i32_e32 v22, 31, v21
	s_mov_b32 s90, 1
	v_cndmask_b32_e32 v26, v24, v25, vcc
	v_subrev_u32_e32 v27, s85, v26
	v_cmp_le_u32_e32 vcc, s85, v26
	s_nop 1
	v_cndmask_b32_e32 v26, v26, v27, vcc
	v_xor_b32_e32 v26, v26, v22
	v_sub_u32_e32 v26, v26, v22
	v_cmp_ne_u32_e32 vcc, 0, v26
	s_and_b64 s[70:71], vcc, exec
                                        ; implicit-def: $vgpr26
	s_andn2_saveexec_b64 s[72:73], s[72:73]
	s_cbranch_execz .LBB87_27
.LBB87_32:                              ;   in Loop: Header=BB87_25 Depth=5
	v_mul_hi_u32 v23, v26, v12
	v_mul_lo_u32 v24, v23, s85
	v_sub_u32_e32 v24, v26, v24
	v_subrev_u32_e32 v25, s85, v24
	s_or_b64 s[70:71], s[70:71], exec
	s_or_b64 exec, exec, s[72:73]
	v_mov_b32_e32 v26, s90
	s_and_saveexec_b64 s[72:73], s[70:71]
	s_cbranch_execnz .LBB87_28
	s_branch .LBB87_29
.LBB87_33:                              ;   in Loop: Header=BB87_3 Depth=1
	v_mov_b64_e32 v[2:3], 0
.LBB87_34:                              ;   in Loop: Header=BB87_3 Depth=1
	v_ashrrev_i32_e32 v4, 31, v15
	v_mul_lo_u32 v6, s41, v15
	v_mul_lo_u32 v7, s40, v4
	v_mad_u64_u32 v[4:5], s[52:53], s40, v15, 0
	v_add3_u32 v5, v5, v7, v6
	v_ashrrev_i32_e32 v6, 31, v14
	v_mul_lo_u32 v15, s39, v14
	v_mul_lo_u32 v16, s38, v6
	v_mad_u64_u32 v[6:7], s[52:53], s38, v14, 0
	v_ashrrev_i32_e32 v14, 31, v13
	v_add3_u32 v7, v7, v16, v15
	v_mul_lo_u32 v16, s37, v13
	v_mul_lo_u32 v17, s36, v14
	v_mad_u64_u32 v[14:15], s[52:53], s36, v13, 0
	v_lshl_add_u64 v[4:5], v[4:5], 2, s[2:3]
	v_add3_u32 v15, v15, v17, v16
	v_lshl_add_u64 v[4:5], v[6:7], 2, v[4:5]
	s_andn2_b64 vcc, exec, s[46:47]
	v_lshl_add_u64 v[4:5], v[14:15], 2, v[4:5]
	s_cbranch_vccnz .LBB87_2
; %bb.35:                               ;   in Loop: Header=BB87_3 Depth=1
	global_load_dword v6, v[4:5], off
	s_waitcnt vmcnt(0)
	v_cvt_f64_f32_e32 v[6:7], v6
	v_mul_f64 v[6:7], v[6:7], s[26:27]
	v_fmac_f64_e32 v[6:7], s[24:25], v[2:3]
	v_mov_b64_e32 v[2:3], v[6:7]
	s_branch .LBB87_2
.LBB87_36:
	s_endpgm
	.section	.rodata,"a",@progbits
	.p2align	6, 0x0
	.amdhsa_kernel naive_conv_ab_nonpacked_bwd_ncdhw_float_double_float_1
		.amdhsa_group_segment_fixed_size 0
		.amdhsa_private_segment_fixed_size 0
		.amdhsa_kernarg_size 528
		.amdhsa_user_sgpr_count 2
		.amdhsa_user_sgpr_dispatch_ptr 0
		.amdhsa_user_sgpr_queue_ptr 0
		.amdhsa_user_sgpr_kernarg_segment_ptr 1
		.amdhsa_user_sgpr_dispatch_id 0
		.amdhsa_user_sgpr_kernarg_preload_length 0
		.amdhsa_user_sgpr_kernarg_preload_offset 0
		.amdhsa_user_sgpr_private_segment_size 0
		.amdhsa_uses_dynamic_stack 0
		.amdhsa_enable_private_segment 0
		.amdhsa_system_sgpr_workgroup_id_x 1
		.amdhsa_system_sgpr_workgroup_id_y 0
		.amdhsa_system_sgpr_workgroup_id_z 0
		.amdhsa_system_sgpr_workgroup_info 0
		.amdhsa_system_vgpr_workitem_id 0
		.amdhsa_next_free_vgpr 28
		.amdhsa_next_free_sgpr 92
		.amdhsa_accum_offset 28
		.amdhsa_reserve_vcc 1
		.amdhsa_float_round_mode_32 0
		.amdhsa_float_round_mode_16_64 0
		.amdhsa_float_denorm_mode_32 3
		.amdhsa_float_denorm_mode_16_64 3
		.amdhsa_dx10_clamp 1
		.amdhsa_ieee_mode 1
		.amdhsa_fp16_overflow 0
		.amdhsa_tg_split 0
		.amdhsa_exception_fp_ieee_invalid_op 0
		.amdhsa_exception_fp_denorm_src 0
		.amdhsa_exception_fp_ieee_div_zero 0
		.amdhsa_exception_fp_ieee_overflow 0
		.amdhsa_exception_fp_ieee_underflow 0
		.amdhsa_exception_fp_ieee_inexact 0
		.amdhsa_exception_int_div_zero 0
	.end_amdhsa_kernel
	.text
.Lfunc_end87:
	.size	naive_conv_ab_nonpacked_bwd_ncdhw_float_double_float_1, .Lfunc_end87-naive_conv_ab_nonpacked_bwd_ncdhw_float_double_float_1
                                        ; -- End function
	.section	.AMDGPU.csdata,"",@progbits
; Kernel info:
; codeLenInByte = 2736
; NumSgprs: 98
; NumVgprs: 28
; NumAgprs: 0
; TotalNumVgprs: 28
; ScratchSize: 0
; MemoryBound: 0
; FloatMode: 240
; IeeeMode: 1
; LDSByteSize: 0 bytes/workgroup (compile time only)
; SGPRBlocks: 12
; VGPRBlocks: 3
; NumSGPRsForWavesPerEU: 98
; NumVGPRsForWavesPerEU: 28
; AccumOffset: 28
; Occupancy: 8
; WaveLimiterHint : 1
; COMPUTE_PGM_RSRC2:SCRATCH_EN: 0
; COMPUTE_PGM_RSRC2:USER_SGPR: 2
; COMPUTE_PGM_RSRC2:TRAP_HANDLER: 0
; COMPUTE_PGM_RSRC2:TGID_X_EN: 1
; COMPUTE_PGM_RSRC2:TGID_Y_EN: 0
; COMPUTE_PGM_RSRC2:TGID_Z_EN: 0
; COMPUTE_PGM_RSRC2:TIDIG_COMP_CNT: 0
; COMPUTE_PGM_RSRC3_GFX90A:ACCUM_OFFSET: 6
; COMPUTE_PGM_RSRC3_GFX90A:TG_SPLIT: 0
	.text
	.protected	naive_conv_ab_packed_bwd_ncdhw_half_double_half_0 ; -- Begin function naive_conv_ab_packed_bwd_ncdhw_half_double_half_0
	.globl	naive_conv_ab_packed_bwd_ncdhw_half_double_half_0
	.p2align	8
	.type	naive_conv_ab_packed_bwd_ncdhw_half_double_half_0,@function
naive_conv_ab_packed_bwd_ncdhw_half_double_half_0: ; @naive_conv_ab_packed_bwd_ncdhw_half_double_half_0
; %bb.0:
	s_load_dwordx16 s[4:19], s[0:1], 0xb8
	s_abs_i32 s3, s2
	s_waitcnt lgkmcnt(0)
	s_abs_i32 s20, s9
	v_cvt_f32_u32_e32 v1, s20
	s_sub_i32 s21, 0, s20
	s_mul_i32 s28, s9, s7
	s_mul_i32 s45, s6, s5
	v_rcp_iflag_f32_e32 v1, v1
	s_nop 0
	v_mul_f32_e32 v1, 0x4f7ffffe, v1
	v_cvt_u32_f32_e32 v1, v1
	s_nop 0
	v_readfirstlane_b32 s22, v1
	s_mul_i32 s21, s21, s22
	s_mul_hi_u32 s21, s22, s21
	s_add_i32 s22, s22, s21
	s_mul_hi_u32 s21, s3, s22
	s_mul_i32 s22, s21, s20
	s_sub_i32 s22, s3, s22
	s_add_i32 s23, s21, 1
	s_sub_i32 s24, s22, s20
	s_cmp_ge_u32 s22, s20
	s_cselect_b32 s21, s23, s21
	s_cselect_b32 s22, s24, s22
	s_add_i32 s23, s21, 1
	s_cmp_ge_u32 s22, s20
	s_cselect_b32 s29, s23, s21
	s_abs_i32 s38, s7
	s_abs_i32 s33, s28
	v_cvt_f32_u32_e32 v1, s38
	v_cvt_f32_u32_e32 v2, s33
	s_mul_i32 s7, s45, s4
	v_cmp_gt_i32_e32 vcc, s7, v0
	v_rcp_iflag_f32_e32 v1, v1
	v_rcp_iflag_f32_e32 v2, v2
	v_mul_f32_e32 v1, 0x4f7ffffe, v1
	v_mul_f32_e32 v2, 0x4f7ffffe, v2
	v_cvt_u32_f32_e32 v1, v1
	v_cvt_u32_f32_e32 v2, v2
	v_readfirstlane_b32 s31, v1
	v_readfirstlane_b32 s30, v2
	s_and_saveexec_b64 s[20:21], vcc
	s_cbranch_execz .LBB88_38
; %bb.1:
	s_ashr_i32 s39, s2, 31
	s_ashr_i32 s44, s9, 31
	s_xor_b32 s34, s39, s44
	s_xor_b32 s29, s29, s34
	s_sub_i32 s40, s29, s34
	s_sub_i32 s29, 0, s38
	s_mul_i32 s29, s29, s31
	s_mul_hi_u32 s29, s31, s29
	s_ashr_i32 s46, s28, 31
	s_sub_i32 s28, 0, s33
	s_abs_i32 s42, s40
	s_add_i32 s31, s31, s29
	s_mul_i32 s28, s28, s30
	s_mul_hi_u32 s43, s42, s31
	s_mul_hi_u32 s28, s30, s28
	s_add_i32 s30, s30, s28
	s_mul_i32 s43, s43, s38
	s_load_dwordx8 s[20:27], s[0:1], 0x0
	s_ashr_i32 s41, s40, 31
	s_load_dwordx2 s[34:35], s[0:1], 0x108
	s_mul_hi_u32 s47, s3, s30
	s_load_dwordx2 s[36:37], s[0:1], 0x20
	s_load_dwordx4 s[28:31], s[0:1], 0xf8
	s_load_dword s48, s[0:1], 0x11c
	s_mul_i32 s40, s40, s9
	s_sub_i32 s1, s42, s43
	s_sub_i32 s50, s2, s40
	;; [unrolled: 1-line block ×3, first 2 shown]
	s_cmp_ge_u32 s1, s38
	s_cselect_b32 s1, s2, s1
	s_sub_i32 s2, s1, s38
	s_cmp_ge_u32 s1, s38
	s_waitcnt lgkmcnt(0)
	s_mul_i32 s49, s35, s8
	s_mul_i32 s0, s35, s9
	s_cselect_b32 s1, s2, s1
	s_mul_i32 s35, s47, s33
	s_xor_b32 s1, s1, s41
	s_sub_i32 s3, s3, s35
	s_sub_i32 s2, s1, s41
	s_xor_b32 s1, s39, s46
	s_add_i32 s35, s47, 1
	s_sub_i32 s38, s3, s33
	s_cmp_ge_u32 s3, s33
	s_cselect_b32 s35, s35, s47
	s_cselect_b32 s3, s38, s3
	s_add_i32 s38, s35, 1
	s_cmp_ge_u32 s3, s33
	s_cselect_b32 s3, s38, s35
	s_xor_b32 s3, s3, s1
	s_sub_i32 s3, s3, s1
	s_mul_hi_i32 s1, s2, s0
	s_mul_i32 s0, s2, s0
	s_ashr_i32 s58, s6, 31
	s_ashr_i32 s51, s50, 31
	s_add_u32 s0, s0, s50
	s_mul_i32 s38, s3, s9
	s_addc_u32 s1, s1, s51
	s_mul_hi_i32 s35, s3, s9
	s_add_u32 s0, s0, s38
	s_addc_u32 s1, s1, s35
	s_mul_hi_i32 s35, s5, s4
	s_mul_i32 s4, s5, s4
	s_mul_i32 s38, s4, s58
	s_mul_hi_u32 s39, s4, s6
	s_add_i32 s38, s39, s38
	s_mul_i32 s35, s35, s6
	s_mul_i32 s4, s4, s6
	s_add_i32 s35, s38, s35
	s_mul_i32 s1, s4, s1
	s_mul_hi_u32 s38, s4, s0
	s_add_i32 s1, s38, s1
	s_mul_i32 s35, s35, s0
	s_add_i32 s1, s1, s35
	s_mul_i32 s0, s4, s0
	s_lshl_b64 s[0:1], s[0:1], 1
	s_add_u32 s0, s20, s0
	s_mul_hi_i32 s4, s3, s8
	s_mul_i32 s3, s3, s8
	s_addc_u32 s1, s21, s1
	s_mul_i32 s20, s3, s44
	s_mul_hi_u32 s21, s3, s9
	s_add_i32 s20, s21, s20
	s_mul_i32 s21, s4, s9
	s_add_i32 s52, s20, s21
	s_ashr_i32 s54, s30, 31
	s_ashr_i32 s35, s34, 31
	s_mul_hi_i32 s20, s2, s49
	s_mul_i32 s2, s2, s49
	s_ashr_i32 s60, s10, 31
	s_ashr_i32 s62, s11, 31
	s_ashr_i32 s64, s12, 31
	s_add_u32 s2, s3, s2
	s_mul_i32 s53, s3, s9
	s_mov_b32 s61, s10
	s_addc_u32 s3, s4, s20
	s_mul_hi_i32 s4, s11, s10
	s_mul_i32 s10, s11, s10
	s_mov_b32 s63, s11
	s_mul_i32 s11, s10, s64
	s_mul_hi_u32 s20, s10, s12
	s_add_i32 s11, s20, s11
	s_mul_i32 s4, s4, s12
	s_mul_i32 s10, s10, s12
	s_add_i32 s4, s11, s4
	s_mul_i32 s3, s10, s3
	s_mul_hi_u32 s11, s10, s2
	s_add_i32 s3, s11, s3
	s_mul_i32 s4, s4, s2
	s_add_i32 s3, s3, s4
	s_mul_i32 s2, s10, s2
	s_lshl_b64 s[2:3], s[2:3], 1
	s_add_u32 s2, s36, s2
	s_addc_u32 s3, s37, s3
	s_cmp_gt_i32 s8, 0
	s_cselect_b64 s[10:11], -1, 0
	s_cmp_gt_i32 s30, 0
	s_cselect_b64 s[20:21], -1, 0
	s_cmp_gt_i32 s31, 0
	s_cselect_b64 s[36:37], -1, 0
	s_cmp_gt_i32 s34, 0
	s_cselect_b64 s[38:39], -1, 0
	s_abs_i32 s66, s6
	v_cvt_f32_u32_e32 v1, s66
	s_abs_i32 s67, s5
	v_cvt_f32_u32_e32 v2, s67
	s_abs_i32 s69, s45
	v_rcp_iflag_f32_e32 v1, v1
	v_cvt_f32_u32_e32 v4, s69
	v_rcp_iflag_f32_e32 v2, v2
	s_sub_i32 s4, 0, s66
	v_mul_f32_e32 v1, 0x4f7ffffe, v1
	v_cvt_u32_f32_e32 v1, v1
	v_mul_f32_e32 v2, 0x4f7ffffe, v2
	v_cvt_u32_f32_e32 v2, v2
	s_abs_i32 s70, s13
	v_mul_lo_u32 v3, s4, v1
	v_mul_hi_u32 v3, v1, v3
	v_add_u32_e32 v1, v1, v3
	v_rcp_iflag_f32_e32 v3, v4
	s_sub_i32 s4, 0, s67
	v_mul_lo_u32 v4, s4, v2
	v_mul_hi_u32 v4, v2, v4
	v_add_u32_e32 v14, v2, v4
	v_mul_f32_e32 v2, 0x4f7ffffe, v3
	v_cvt_f32_u32_e32 v3, s70
	v_cvt_u32_f32_e32 v2, v2
	s_sub_i32 s4, 0, s69
	s_abs_i32 s73, s14
	v_rcp_iflag_f32_e32 v3, v3
	v_mul_lo_u32 v4, s4, v2
	v_mul_hi_u32 v4, v2, v4
	v_add_u32_e32 v15, v2, v4
	v_mul_f32_e32 v2, 0x4f7ffffe, v3
	v_cvt_u32_f32_e32 v2, v2
	s_sub_i32 s4, 0, s70
	v_cvt_f32_u32_e32 v3, s73
	s_abs_i32 s74, s15
	v_mul_lo_u32 v4, s4, v2
	v_mul_hi_u32 v4, v2, v4
	v_add_u32_e32 v16, v2, v4
	v_cvt_f32_u32_e32 v2, s74
	v_rcp_iflag_f32_e32 v3, v3
	s_sub_i32 s4, 0, s73
	v_cmp_neq_f64_e64 s[42:43], s[24:25], 1.0
	v_rcp_iflag_f32_e32 v2, v2
	v_mul_f32_e32 v3, 0x4f7ffffe, v3
	v_cvt_u32_f32_e32 v3, v3
	v_cmp_neq_f64_e64 s[46:47], s[26:27], 0
	v_mul_f32_e32 v2, 0x4f7ffffe, v2
	v_cvt_u32_f32_e32 v2, v2
	v_mul_lo_u32 v4, s4, v3
	s_or_b64 s[42:43], s[42:43], s[46:47]
	s_and_b32 s68, s48, 0xffff
	s_ashr_i32 s71, s45, 31
	s_ashr_i32 s72, s13, 31
	;; [unrolled: 1-line block ×3, first 2 shown]
	v_mul_hi_u32 v4, v3, v4
	s_ashr_i32 s76, s15, 31
	s_sub_i32 s4, 0, s74
	v_add_u32_e32 v17, v3, v4
	v_mul_lo_u32 v3, s4, v2
	s_add_u32 s4, s53, s50
	s_mul_i32 s14, s34, s31
	s_mov_b32 s33, s5
	s_mov_b32 s65, s12
	s_addc_u32 s5, s52, s51
	s_mul_i32 s12, s14, s30
	s_mul_i32 s5, s12, s5
	s_mul_hi_u32 s13, s12, s4
	s_mov_b32 s59, s31
	s_add_i32 s5, s13, s5
	s_mul_hi_i32 s15, s34, s31
	s_mul_i32 s13, s14, s54
	s_mul_hi_u32 s31, s14, s30
	s_add_i32 s13, s31, s13
	s_mul_i32 s31, s15, s30
	s_add_i32 s13, s13, s31
	s_mul_i32 s31, s13, s4
	;; [unrolled: 2-line block ×3, first 2 shown]
	s_lshl_b64 s[4:5], s[4:5], 1
	s_add_u32 s4, s22, s4
	s_addc_u32 s5, s23, s5
	s_mul_i32 s22, s12, s44
	s_mul_hi_u32 s23, s12, s9
	s_add_i32 s22, s23, s22
	s_mul_i32 s13, s13, s9
	v_mul_hi_u32 v3, v2, v3
	s_add_i32 s13, s22, s13
	s_mul_i32 s12, s12, s9
	s_mov_b64 s[40:41], 0
	v_add_u32_e32 v18, v2, v3
	s_lshl_b64 s[12:13], s[12:13], 1
	s_lshl_b64 s[14:15], s[14:15], 1
	s_lshl_b64 s[22:23], s[34:35], 1
	v_mov_b32_e32 v19, 0
	s_branch .LBB88_3
.LBB88_2:                               ;   in Loop: Header=BB88_3 Depth=1
	v_add_u32_e32 v0, s68, v0
	v_cmp_le_i32_e32 vcc, s7, v0
	s_or_b64 s[40:41], vcc, s[40:41]
	s_andn2_b64 exec, exec, s[40:41]
	s_cbranch_execz .LBB88_38
.LBB88_3:                               ; =>This Loop Header: Depth=1
                                        ;     Child Loop BB88_6 Depth 2
                                        ;       Child Loop BB88_9 Depth 3
                                        ;         Child Loop BB88_18 Depth 4
                                        ;           Child Loop BB88_25 Depth 5
	v_sub_u32_e32 v4, 0, v0
	v_max_i32_e32 v4, v0, v4
	v_mul_hi_u32 v5, v4, v1
	v_mul_lo_u32 v6, v5, s66
	v_sub_u32_e32 v6, v4, v6
	v_add_u32_e32 v7, 1, v5
	v_cmp_le_u32_e32 vcc, s66, v6
	v_ashrrev_i32_e32 v3, 31, v0
	v_xor_b32_e32 v2, s58, v3
	v_cndmask_b32_e32 v5, v5, v7, vcc
	v_subrev_u32_e32 v7, s66, v6
	v_cndmask_b32_e32 v6, v6, v7, vcc
	v_add_u32_e32 v7, 1, v5
	v_cmp_le_u32_e32 vcc, s66, v6
	v_xor_b32_e32 v3, s71, v3
	s_nop 0
	v_cndmask_b32_e32 v5, v5, v7, vcc
	v_xor_b32_e32 v5, v5, v2
	v_sub_u32_e32 v5, v5, v2
	v_sub_u32_e32 v7, 0, v5
	v_mul_lo_u32 v2, v5, s6
	v_ashrrev_i32_e32 v6, 31, v5
	v_max_i32_e32 v5, v5, v7
	v_mul_hi_u32 v7, v5, v14
	v_mul_lo_u32 v7, v7, s67
	v_sub_u32_e32 v5, v5, v7
	v_subrev_u32_e32 v7, s67, v5
	v_cmp_le_u32_e32 vcc, s67, v5
	v_sub_u32_e32 v2, v0, v2
	s_nop 0
	v_cndmask_b32_e32 v5, v5, v7, vcc
	v_subrev_u32_e32 v7, s67, v5
	v_cmp_le_u32_e32 vcc, s67, v5
	s_nop 1
	v_cndmask_b32_e32 v5, v5, v7, vcc
	v_xor_b32_e32 v5, v5, v6
	v_sub_u32_e32 v6, v5, v6
	v_mul_hi_u32 v5, v4, v15
	v_mul_lo_u32 v7, v5, s69
	v_sub_u32_e32 v4, v4, v7
	v_add_u32_e32 v7, 1, v5
	v_cmp_le_u32_e32 vcc, s69, v4
	s_nop 1
	v_cndmask_b32_e32 v5, v5, v7, vcc
	v_subrev_u32_e32 v7, s69, v4
	v_cndmask_b32_e32 v4, v4, v7, vcc
	v_add_u32_e32 v7, 1, v5
	v_cmp_le_u32_e32 vcc, s69, v4
	s_nop 1
	v_cndmask_b32_e32 v4, v5, v7, vcc
	v_xor_b32_e32 v4, v4, v3
	s_andn2_b64 vcc, exec, s[10:11]
	v_sub_u32_e32 v3, v4, v3
	s_cbranch_vccnz .LBB88_33
; %bb.4:                                ;   in Loop: Header=BB88_3 Depth=1
	v_add_u32_e32 v7, s19, v3
	v_add_u32_e32 v20, s28, v6
	v_add_u32_e32 v21, s29, v2
	s_mov_b32 s9, 0
	v_mov_b64_e32 v[4:5], 0
	s_mov_b64 s[44:45], s[4:5]
	s_branch .LBB88_6
.LBB88_5:                               ;   in Loop: Header=BB88_6 Depth=2
	s_add_i32 s9, s9, 1
	s_add_u32 s44, s44, s12
	s_addc_u32 s45, s45, s13
	s_cmp_eq_u32 s9, s8
	s_cbranch_scc1 .LBB88_34
.LBB88_6:                               ;   Parent Loop BB88_3 Depth=1
                                        ; =>  This Loop Header: Depth=2
                                        ;       Child Loop BB88_9 Depth 3
                                        ;         Child Loop BB88_18 Depth 4
                                        ;           Child Loop BB88_25 Depth 5
	s_andn2_b64 vcc, exec, s[20:21]
	s_cbranch_vccnz .LBB88_5
; %bb.7:                                ;   in Loop: Header=BB88_6 Depth=2
	s_mul_i32 s31, s9, s60
	s_mul_hi_u32 s35, s9, s61
	s_add_i32 s47, s35, s31
	s_mul_i32 s46, s9, s61
	s_mov_b32 s31, 0
	s_mov_b64 s[48:49], s[44:45]
	s_branch .LBB88_9
.LBB88_8:                               ;   in Loop: Header=BB88_9 Depth=3
	s_add_i32 s31, s31, 1
	s_add_u32 s48, s48, s14
	s_addc_u32 s49, s49, s15
	s_cmp_eq_u32 s31, s30
	s_cbranch_scc1 .LBB88_5
.LBB88_9:                               ;   Parent Loop BB88_3 Depth=1
                                        ;     Parent Loop BB88_6 Depth=2
                                        ; =>    This Loop Header: Depth=3
                                        ;         Child Loop BB88_18 Depth 4
                                        ;           Child Loop BB88_25 Depth 5
	s_mul_i32 s35, s31, s16
	v_subrev_u32_e32 v13, s35, v7
	v_sub_u32_e32 v9, 0, v13
	v_cmp_lt_i32_e32 vcc, -1, v13
	s_mov_b64 s[50:51], 0
	v_ashrrev_i32_e32 v8, 31, v13
	v_max_i32_e32 v12, v13, v9
                                        ; implicit-def: $sgpr35
                                        ; implicit-def: $vgpr9
                                        ; implicit-def: $vgpr10
                                        ; implicit-def: $vgpr11
	s_and_saveexec_b64 s[52:53], vcc
	s_xor_b64 s[52:53], exec, s[52:53]
	s_cbranch_execnz .LBB88_13
; %bb.10:                               ;   in Loop: Header=BB88_9 Depth=3
	s_andn2_saveexec_b64 s[52:53], s[52:53]
	s_cbranch_execnz .LBB88_14
.LBB88_11:                              ;   in Loop: Header=BB88_9 Depth=3
	s_or_b64 exec, exec, s[52:53]
	v_mov_b32_e32 v12, s35
	s_and_saveexec_b64 s[52:53], s[50:51]
	s_cbranch_execnz .LBB88_15
.LBB88_12:                              ;   in Loop: Header=BB88_9 Depth=3
	s_or_b64 exec, exec, s[52:53]
	s_andn2_b64 vcc, exec, s[36:37]
	s_cbranch_vccz .LBB88_16
	s_branch .LBB88_8
.LBB88_13:                              ;   in Loop: Header=BB88_9 Depth=3
	v_mul_hi_u32 v9, v12, v16
	v_mul_lo_u32 v10, v9, s70
	v_sub_u32_e32 v10, v12, v10
	v_subrev_u32_e32 v11, s70, v10
	v_cmp_le_u32_e32 vcc, s70, v10
	v_ashrrev_i32_e32 v8, 31, v13
	s_mov_b32 s35, 1
	v_cndmask_b32_e32 v12, v10, v11, vcc
	v_subrev_u32_e32 v13, s70, v12
	v_cmp_le_u32_e32 vcc, s70, v12
	s_nop 1
	v_cndmask_b32_e32 v12, v12, v13, vcc
	v_xor_b32_e32 v12, v12, v8
	v_sub_u32_e32 v12, v12, v8
	v_cmp_ne_u32_e32 vcc, 0, v12
	s_and_b64 s[50:51], vcc, exec
                                        ; implicit-def: $vgpr12
	s_andn2_saveexec_b64 s[52:53], s[52:53]
	s_cbranch_execz .LBB88_11
.LBB88_14:                              ;   in Loop: Header=BB88_9 Depth=3
	v_mul_hi_u32 v9, v12, v16
	v_mul_lo_u32 v10, v9, s70
	v_sub_u32_e32 v10, v12, v10
	v_subrev_u32_e32 v11, s70, v10
	s_or_b64 s[50:51], s[50:51], exec
	s_or_b64 exec, exec, s[52:53]
	v_mov_b32_e32 v12, s35
	s_and_saveexec_b64 s[52:53], s[50:51]
	s_cbranch_execz .LBB88_12
.LBB88_15:                              ;   in Loop: Header=BB88_9 Depth=3
	v_mov_b32_e32 v12, 0
	s_or_b64 exec, exec, s[52:53]
	s_andn2_b64 vcc, exec, s[36:37]
	s_cbranch_vccnz .LBB88_8
.LBB88_16:                              ;   in Loop: Header=BB88_9 Depth=3
	v_add_u32_e32 v13, 1, v9
	v_cmp_le_u32_e32 vcc, s70, v10
	v_xor_b32_e32 v8, s72, v8
	s_mov_b32 s35, 0
	v_cndmask_b32_e32 v9, v9, v13, vcc
	v_cndmask_b32_e32 v10, v10, v11, vcc
	v_add_u32_e32 v11, 1, v9
	v_cmp_le_u32_e32 vcc, s70, v10
	s_nop 1
	v_cndmask_b32_e32 v9, v9, v11, vcc
	v_xor_b32_e32 v9, v9, v8
	v_sub_u32_e32 v8, v9, v8
	v_ashrrev_i32_e32 v9, 31, v8
	v_cmp_gt_i32_e32 vcc, s61, v8
	v_lshl_add_u64 v[8:9], s[46:47], 0, v[8:9]
	v_mul_lo_u32 v10, v9, s63
	v_mul_lo_u32 v11, v8, s62
	v_mad_u64_u32 v[8:9], s[50:51], v8, s63, 0
	v_cndmask_b32_e32 v22, 0, v12, vcc
	v_add3_u32 v9, v9, v11, v10
	s_mov_b64 s[50:51], s[48:49]
	s_branch .LBB88_18
.LBB88_17:                              ;   in Loop: Header=BB88_18 Depth=4
	s_add_i32 s35, s35, 1
	s_add_u32 s50, s50, s22
	s_addc_u32 s51, s51, s23
	s_cmp_eq_u32 s35, s59
	s_cbranch_scc1 .LBB88_8
.LBB88_18:                              ;   Parent Loop BB88_3 Depth=1
                                        ;     Parent Loop BB88_6 Depth=2
                                        ;       Parent Loop BB88_9 Depth=3
                                        ; =>      This Loop Header: Depth=4
                                        ;           Child Loop BB88_25 Depth 5
	s_mul_i32 s52, s35, s17
	v_subrev_u32_e32 v10, s52, v20
	v_sub_u32_e32 v12, 0, v10
	v_cmp_gt_i32_e64 s[52:53], 0, v10
	v_cmp_lt_i32_e32 vcc, -1, v10
	v_ashrrev_i32_e32 v11, 31, v10
	v_max_i32_e32 v10, v10, v12
                                        ; implicit-def: $sgpr56
	s_and_saveexec_b64 s[54:55], vcc
	s_cbranch_execnz .LBB88_21
; %bb.19:                               ;   in Loop: Header=BB88_18 Depth=4
	s_or_b64 exec, exec, s[54:55]
	v_mov_b32_e32 v12, s56
	s_and_saveexec_b64 s[54:55], s[52:53]
	s_cbranch_execnz .LBB88_22
.LBB88_20:                              ;   in Loop: Header=BB88_18 Depth=4
	s_or_b64 exec, exec, s[54:55]
	s_andn2_b64 vcc, exec, s[38:39]
	s_cbranch_vccz .LBB88_23
	s_branch .LBB88_17
.LBB88_21:                              ;   in Loop: Header=BB88_18 Depth=4
	v_mul_hi_u32 v12, v10, v17
	v_mul_lo_u32 v12, v12, s73
	v_sub_u32_e32 v12, v10, v12
	v_subrev_u32_e32 v13, s73, v12
	v_cmp_le_u32_e32 vcc, s73, v12
	s_andn2_b64 s[52:53], s[52:53], exec
	s_mov_b32 s56, 1
	v_cndmask_b32_e32 v12, v12, v13, vcc
	v_subrev_u32_e32 v13, s73, v12
	v_cmp_le_u32_e32 vcc, s73, v12
	s_nop 1
	v_cndmask_b32_e32 v12, v12, v13, vcc
	v_xor_b32_e32 v12, v12, v11
	v_sub_u32_e32 v12, v12, v11
	v_cmp_ne_u32_e32 vcc, 0, v12
	s_and_b64 s[78:79], vcc, exec
	s_or_b64 s[52:53], s[52:53], s[78:79]
	s_or_b64 exec, exec, s[54:55]
	v_mov_b32_e32 v12, s56
	s_and_saveexec_b64 s[54:55], s[52:53]
	s_cbranch_execz .LBB88_20
.LBB88_22:                              ;   in Loop: Header=BB88_18 Depth=4
	v_mov_b32_e32 v12, 0
	s_or_b64 exec, exec, s[54:55]
	s_andn2_b64 vcc, exec, s[38:39]
	s_cbranch_vccnz .LBB88_17
.LBB88_23:                              ;   in Loop: Header=BB88_18 Depth=4
	v_mul_hi_u32 v13, v10, v17
	v_mul_lo_u32 v23, v13, s73
	v_sub_u32_e32 v10, v10, v23
	v_add_u32_e32 v23, 1, v13
	v_cmp_le_u32_e32 vcc, s73, v10
	v_xor_b32_e32 v11, s75, v11
	s_mov_b32 s77, s34
	v_cndmask_b32_e32 v13, v13, v23, vcc
	v_subrev_u32_e32 v23, s73, v10
	v_cndmask_b32_e32 v10, v10, v23, vcc
	v_add_u32_e32 v23, 1, v13
	v_cmp_le_u32_e32 vcc, s73, v10
	v_mov_b32_e32 v24, v21
	s_nop 0
	v_cndmask_b32_e32 v10, v13, v23, vcc
	v_xor_b32_e32 v10, v10, v11
	v_sub_u32_e32 v10, v10, v11
	v_cmp_gt_i32_e32 vcc, s63, v10
	s_nop 1
	v_cndmask_b32_e32 v11, 0, v12, vcc
	v_and_b32_e32 v23, v11, v22
	v_ashrrev_i32_e32 v11, 31, v10
	v_lshl_add_u64 v[10:11], v[8:9], 0, v[10:11]
	v_mul_lo_u32 v12, v11, s65
	v_mul_lo_u32 v13, v10, s64
	v_mad_u64_u32 v[10:11], s[52:53], v10, s65, 0
	v_add3_u32 v11, v11, v13, v12
	v_lshl_add_u64 v[10:11], v[10:11], 1, s[2:3]
	s_mov_b64 s[52:53], s[50:51]
	s_branch .LBB88_25
.LBB88_24:                              ;   in Loop: Header=BB88_25 Depth=5
	s_or_b64 exec, exec, s[54:55]
	s_add_i32 s77, s77, -1
	s_add_u32 s52, s52, 2
	s_addc_u32 s53, s53, 0
	s_cmp_eq_u32 s77, 0
	v_subrev_u32_e32 v24, s18, v24
	s_cbranch_scc1 .LBB88_17
.LBB88_25:                              ;   Parent Loop BB88_3 Depth=1
                                        ;     Parent Loop BB88_6 Depth=2
                                        ;       Parent Loop BB88_9 Depth=3
                                        ;         Parent Loop BB88_18 Depth=4
                                        ; =>        This Inner Loop Header: Depth=5
	v_sub_u32_e32 v13, 0, v24
	v_cmp_lt_i32_e32 vcc, -1, v24
	s_mov_b64 s[54:55], 0
	v_ashrrev_i32_e32 v12, 31, v24
	v_max_i32_e32 v27, v24, v13
                                        ; implicit-def: $sgpr78
                                        ; implicit-def: $vgpr13
                                        ; implicit-def: $vgpr25
                                        ; implicit-def: $vgpr26
	s_and_saveexec_b64 s[56:57], vcc
	s_xor_b64 s[56:57], exec, s[56:57]
	s_cbranch_execnz .LBB88_31
; %bb.26:                               ;   in Loop: Header=BB88_25 Depth=5
	s_andn2_saveexec_b64 s[56:57], s[56:57]
	s_cbranch_execnz .LBB88_32
.LBB88_27:                              ;   in Loop: Header=BB88_25 Depth=5
	s_or_b64 exec, exec, s[56:57]
	v_mov_b32_e32 v27, s78
	s_and_saveexec_b64 s[56:57], s[54:55]
.LBB88_28:                              ;   in Loop: Header=BB88_25 Depth=5
	v_mov_b32_e32 v27, 0
.LBB88_29:                              ;   in Loop: Header=BB88_25 Depth=5
	s_or_b64 exec, exec, s[56:57]
	v_add_u32_e32 v28, 1, v13
	v_cmp_le_u32_e32 vcc, s74, v25
	v_xor_b32_e32 v12, s76, v12
	s_nop 0
	v_cndmask_b32_e32 v13, v13, v28, vcc
	v_cndmask_b32_e32 v25, v25, v26, vcc
	v_add_u32_e32 v26, 1, v13
	v_cmp_le_u32_e32 vcc, s74, v25
	s_nop 1
	v_cndmask_b32_e32 v13, v13, v26, vcc
	v_xor_b32_e32 v13, v13, v12
	v_sub_u32_e32 v12, v13, v12
	v_cmp_gt_i32_e32 vcc, s65, v12
	s_nop 1
	v_cndmask_b32_e32 v13, 0, v27, vcc
	v_and_b32_e32 v13, v23, v13
	v_cmp_ne_u32_e32 vcc, 0, v13
	s_and_saveexec_b64 s[54:55], vcc
	s_cbranch_execz .LBB88_24
; %bb.30:                               ;   in Loop: Header=BB88_25 Depth=5
	v_ashrrev_i32_e32 v13, 31, v12
	v_lshl_add_u64 v[12:13], v[12:13], 1, v[10:11]
	global_load_ushort v12, v[12:13], off
	s_nop 0
	global_load_ushort v13, v19, s[52:53]
	s_waitcnt vmcnt(1)
	v_cvt_f32_f16_e32 v12, v12
	s_waitcnt vmcnt(0)
	v_cvt_f32_f16_e32 v25, v13
	v_cvt_f64_f32_e32 v[12:13], v12
	v_cvt_f64_f32_e32 v[26:27], v25
	v_fmac_f64_e32 v[4:5], v[12:13], v[26:27]
	s_branch .LBB88_24
.LBB88_31:                              ;   in Loop: Header=BB88_25 Depth=5
	v_mul_hi_u32 v13, v27, v18
	v_mul_lo_u32 v25, v13, s74
	v_sub_u32_e32 v25, v27, v25
	v_subrev_u32_e32 v26, s74, v25
	v_cmp_le_u32_e32 vcc, s74, v25
	v_ashrrev_i32_e32 v12, 31, v24
	s_mov_b32 s78, 1
	v_cndmask_b32_e32 v27, v25, v26, vcc
	v_subrev_u32_e32 v28, s74, v27
	v_cmp_le_u32_e32 vcc, s74, v27
	s_nop 1
	v_cndmask_b32_e32 v27, v27, v28, vcc
	v_xor_b32_e32 v27, v27, v12
	v_sub_u32_e32 v27, v27, v12
	v_cmp_ne_u32_e32 vcc, 0, v27
	s_and_b64 s[54:55], vcc, exec
                                        ; implicit-def: $vgpr27
	s_andn2_saveexec_b64 s[56:57], s[56:57]
	s_cbranch_execz .LBB88_27
.LBB88_32:                              ;   in Loop: Header=BB88_25 Depth=5
	v_mul_hi_u32 v13, v27, v18
	v_mul_lo_u32 v25, v13, s74
	v_sub_u32_e32 v25, v27, v25
	v_subrev_u32_e32 v26, s74, v25
	s_or_b64 s[54:55], s[54:55], exec
	s_or_b64 exec, exec, s[56:57]
	v_mov_b32_e32 v27, s78
	s_and_saveexec_b64 s[56:57], s[54:55]
	s_cbranch_execnz .LBB88_28
	s_branch .LBB88_29
.LBB88_33:                              ;   in Loop: Header=BB88_3 Depth=1
	v_mov_b64_e32 v[4:5], 0
.LBB88_34:                              ;   in Loop: Header=BB88_3 Depth=1
	v_ashrrev_i32_e32 v7, 31, v6
	v_mad_i64_i32 v[6:7], s[44:45], v3, s33, v[6:7]
	v_ashrrev_i32_e32 v3, 31, v2
	v_mad_u64_u32 v[2:3], s[44:45], v6, s6, v[2:3]
	v_mul_lo_u32 v6, v6, s58
	v_mul_lo_u32 v7, v7, s6
	v_add3_u32 v3, v7, v3, v6
	s_mov_b64 s[44:45], -1
	s_and_b64 vcc, exec, s[42:43]
	v_lshl_add_u64 v[2:3], v[2:3], 1, s[0:1]
	s_cbranch_vccz .LBB88_36
; %bb.35:                               ;   in Loop: Header=BB88_3 Depth=1
	global_load_ushort v6, v[2:3], off
	s_mov_b64 s[44:45], 0
	s_waitcnt vmcnt(0)
	v_cvt_f32_f16_e32 v6, v6
	v_cvt_f64_f32_e32 v[6:7], v6
	v_mul_f64 v[6:7], v[6:7], s[26:27]
	v_fmac_f64_e32 v[6:7], s[24:25], v[4:5]
	v_cvt_f32_f64_e32 v6, v[6:7]
	v_cvt_f16_f32_e32 v6, v6
	global_store_short v[2:3], v6, off
.LBB88_36:                              ;   in Loop: Header=BB88_3 Depth=1
	s_andn2_b64 vcc, exec, s[44:45]
	s_cbranch_vccnz .LBB88_2
; %bb.37:                               ;   in Loop: Header=BB88_3 Depth=1
	v_cvt_f32_f64_e32 v4, v[4:5]
	v_cvt_f16_f32_e32 v4, v4
	global_store_short v[2:3], v4, off
	s_branch .LBB88_2
.LBB88_38:
	s_endpgm
	.section	.rodata,"a",@progbits
	.p2align	6, 0x0
	.amdhsa_kernel naive_conv_ab_packed_bwd_ncdhw_half_double_half_0
		.amdhsa_group_segment_fixed_size 0
		.amdhsa_private_segment_fixed_size 0
		.amdhsa_kernarg_size 528
		.amdhsa_user_sgpr_count 2
		.amdhsa_user_sgpr_dispatch_ptr 0
		.amdhsa_user_sgpr_queue_ptr 0
		.amdhsa_user_sgpr_kernarg_segment_ptr 1
		.amdhsa_user_sgpr_dispatch_id 0
		.amdhsa_user_sgpr_kernarg_preload_length 0
		.amdhsa_user_sgpr_kernarg_preload_offset 0
		.amdhsa_user_sgpr_private_segment_size 0
		.amdhsa_uses_dynamic_stack 0
		.amdhsa_enable_private_segment 0
		.amdhsa_system_sgpr_workgroup_id_x 1
		.amdhsa_system_sgpr_workgroup_id_y 0
		.amdhsa_system_sgpr_workgroup_id_z 0
		.amdhsa_system_sgpr_workgroup_info 0
		.amdhsa_system_vgpr_workitem_id 0
		.amdhsa_next_free_vgpr 29
		.amdhsa_next_free_sgpr 80
		.amdhsa_accum_offset 32
		.amdhsa_reserve_vcc 1
		.amdhsa_float_round_mode_32 0
		.amdhsa_float_round_mode_16_64 0
		.amdhsa_float_denorm_mode_32 3
		.amdhsa_float_denorm_mode_16_64 3
		.amdhsa_dx10_clamp 1
		.amdhsa_ieee_mode 1
		.amdhsa_fp16_overflow 0
		.amdhsa_tg_split 0
		.amdhsa_exception_fp_ieee_invalid_op 0
		.amdhsa_exception_fp_denorm_src 0
		.amdhsa_exception_fp_ieee_div_zero 0
		.amdhsa_exception_fp_ieee_overflow 0
		.amdhsa_exception_fp_ieee_underflow 0
		.amdhsa_exception_fp_ieee_inexact 0
		.amdhsa_exception_int_div_zero 0
	.end_amdhsa_kernel
	.text
.Lfunc_end88:
	.size	naive_conv_ab_packed_bwd_ncdhw_half_double_half_0, .Lfunc_end88-naive_conv_ab_packed_bwd_ncdhw_half_double_half_0
                                        ; -- End function
	.section	.AMDGPU.csdata,"",@progbits
; Kernel info:
; codeLenInByte = 2728
; NumSgprs: 86
; NumVgprs: 29
; NumAgprs: 0
; TotalNumVgprs: 29
; ScratchSize: 0
; MemoryBound: 0
; FloatMode: 240
; IeeeMode: 1
; LDSByteSize: 0 bytes/workgroup (compile time only)
; SGPRBlocks: 10
; VGPRBlocks: 3
; NumSGPRsForWavesPerEU: 86
; NumVGPRsForWavesPerEU: 29
; AccumOffset: 32
; Occupancy: 8
; WaveLimiterHint : 1
; COMPUTE_PGM_RSRC2:SCRATCH_EN: 0
; COMPUTE_PGM_RSRC2:USER_SGPR: 2
; COMPUTE_PGM_RSRC2:TRAP_HANDLER: 0
; COMPUTE_PGM_RSRC2:TGID_X_EN: 1
; COMPUTE_PGM_RSRC2:TGID_Y_EN: 0
; COMPUTE_PGM_RSRC2:TGID_Z_EN: 0
; COMPUTE_PGM_RSRC2:TIDIG_COMP_CNT: 0
; COMPUTE_PGM_RSRC3_GFX90A:ACCUM_OFFSET: 7
; COMPUTE_PGM_RSRC3_GFX90A:TG_SPLIT: 0
	.text
	.protected	naive_conv_ab_nonpacked_bwd_ncdhw_half_double_half_0 ; -- Begin function naive_conv_ab_nonpacked_bwd_ncdhw_half_double_half_0
	.globl	naive_conv_ab_nonpacked_bwd_ncdhw_half_double_half_0
	.p2align	8
	.type	naive_conv_ab_nonpacked_bwd_ncdhw_half_double_half_0,@function
naive_conv_ab_nonpacked_bwd_ncdhw_half_double_half_0: ; @naive_conv_ab_nonpacked_bwd_ncdhw_half_double_half_0
; %bb.0:
	s_load_dwordx16 s[4:19], s[0:1], 0xb8
	s_abs_i32 s3, s2
	s_waitcnt lgkmcnt(0)
	s_abs_i32 s20, s9
	v_cvt_f32_u32_e32 v1, s20
	s_sub_i32 s21, 0, s20
	s_mul_i32 s28, s9, s7
	s_mul_i32 s68, s6, s5
	v_rcp_iflag_f32_e32 v1, v1
	s_nop 0
	v_mul_f32_e32 v1, 0x4f7ffffe, v1
	v_cvt_u32_f32_e32 v1, v1
	s_nop 0
	v_readfirstlane_b32 s22, v1
	s_mul_i32 s21, s21, s22
	s_mul_hi_u32 s21, s22, s21
	s_add_i32 s22, s22, s21
	s_mul_hi_u32 s21, s3, s22
	s_mul_i32 s22, s21, s20
	s_sub_i32 s22, s3, s22
	s_add_i32 s23, s21, 1
	s_sub_i32 s24, s22, s20
	s_cmp_ge_u32 s22, s20
	s_cselect_b32 s21, s23, s21
	s_cselect_b32 s22, s24, s22
	s_add_i32 s23, s21, 1
	s_cmp_ge_u32 s22, s20
	s_cselect_b32 s29, s23, s21
	s_abs_i32 s56, s7
	s_abs_i32 s33, s28
	v_cvt_f32_u32_e32 v1, s56
	v_cvt_f32_u32_e32 v2, s33
	s_mul_i32 s7, s68, s4
	v_cmp_gt_i32_e32 vcc, s7, v0
	v_rcp_iflag_f32_e32 v1, v1
	v_rcp_iflag_f32_e32 v2, v2
	v_mul_f32_e32 v1, 0x4f7ffffe, v1
	v_mul_f32_e32 v2, 0x4f7ffffe, v2
	v_cvt_u32_f32_e32 v1, v1
	v_cvt_u32_f32_e32 v2, v2
	v_readfirstlane_b32 s30, v1
	v_readfirstlane_b32 s4, v2
	s_and_saveexec_b64 s[20:21], vcc
	s_cbranch_execz .LBB89_38
; %bb.1:
	s_ashr_i32 s57, s2, 31
	s_ashr_i32 s31, s9, 31
	s_xor_b32 s31, s57, s31
	s_xor_b32 s29, s29, s31
	s_sub_i32 s58, s29, s31
	s_sub_i32 s29, 0, s56
	s_mul_i32 s29, s29, s30
	s_mul_hi_u32 s29, s30, s29
	s_abs_i32 s60, s58
	s_add_i32 s30, s30, s29
	s_mul_hi_u32 s61, s60, s30
	s_ashr_i32 s62, s28, 31
	s_sub_i32 s28, 0, s33
	s_ashr_i32 s59, s58, 31
	s_mul_i32 s28, s28, s4
	s_mul_i32 s58, s58, s9
	;; [unrolled: 1-line block ×3, first 2 shown]
	s_mul_hi_u32 s28, s4, s28
	s_sub_i32 s69, s2, s58
	s_sub_i32 s2, s60, s61
	s_add_i32 s4, s4, s28
	s_sub_i32 s9, s2, s56
	s_cmp_ge_u32 s2, s56
	s_cselect_b32 s2, s9, s2
	s_sub_i32 s9, s2, s56
	s_mul_hi_u32 s4, s3, s4
	s_cmp_ge_u32 s2, s56
	s_cselect_b32 s2, s9, s2
	s_mul_i32 s56, s4, s33
	s_xor_b32 s2, s2, s59
	s_sub_i32 s3, s3, s56
	s_sub_i32 s9, s2, s59
	s_xor_b32 s2, s57, s62
	s_add_i32 s56, s4, 1
	s_sub_i32 s57, s3, s33
	s_cmp_ge_u32 s3, s33
	s_cselect_b32 s4, s56, s4
	s_cselect_b32 s3, s57, s3
	s_add_i32 s56, s4, 1
	s_load_dwordx8 s[20:27], s[0:1], 0x0
	s_load_dwordx2 s[34:35], s[0:1], 0x20
	s_load_dwordx16 s[36:51], s[0:1], 0x28
	s_load_dwordx4 s[28:31], s[0:1], 0xf8
	s_load_dwordx4 s[52:55], s[0:1], 0xa8
	s_cmp_ge_u32 s3, s33
	s_cselect_b32 s3, s56, s4
	s_xor_b32 s3, s3, s2
	s_ashr_i32 s33, s9, 31
	s_sub_i32 s4, s3, s2
	s_waitcnt lgkmcnt(0)
	s_mul_i32 s2, s46, s33
	s_mul_hi_u32 s3, s46, s9
	s_add_i32 s2, s3, s2
	s_mul_i32 s3, s47, s9
	s_ashr_i32 s70, s4, 31
	s_add_i32 s3, s2, s3
	s_mul_i32 s2, s46, s9
	s_mul_i32 s46, s44, s70
	s_mul_hi_u32 s47, s44, s4
	s_add_i32 s46, s47, s46
	s_mul_i32 s45, s45, s4
	s_ashr_i32 s71, s69, 31
	s_add_i32 s45, s46, s45
	s_mul_i32 s46, s42, s71
	s_mul_hi_u32 s47, s42, s69
	s_add_i32 s46, s47, s46
	s_mul_i32 s43, s43, s69
	s_add_i32 s43, s46, s43
	s_lshl_b64 s[2:3], s[2:3], 1
	s_mul_i32 s44, s44, s4
	s_add_u32 s20, s20, s2
	s_addc_u32 s21, s21, s3
	s_lshl_b64 s[2:3], s[44:45], 1
	s_mul_i32 s42, s42, s69
	s_add_u32 s20, s20, s2
	s_addc_u32 s21, s21, s3
	s_lshl_b64 s[2:3], s[42:43], 1
	s_add_u32 s2, s20, s2
	s_addc_u32 s3, s21, s3
	s_mul_i32 s20, s54, s33
	s_mul_hi_u32 s21, s54, s9
	s_add_i32 s20, s21, s20
	s_mul_i32 s21, s55, s9
	s_add_i32 s21, s20, s21
	s_mul_i32 s20, s54, s9
	s_mul_i32 s9, s52, s70
	s_mul_hi_u32 s33, s52, s4
	s_add_i32 s9, s33, s9
	s_mul_i32 s33, s53, s4
	s_add_i32 s43, s9, s33
	s_lshl_b64 s[20:21], s[20:21], 1
	s_mul_i32 s42, s52, s4
	s_add_u32 s9, s34, s20
	s_addc_u32 s33, s35, s21
	s_lshl_b64 s[20:21], s[42:43], 1
	s_add_u32 s9, s9, s20
	s_load_dword s74, s[0:1], 0x108
	s_load_dword s72, s[0:1], 0x11c
	s_addc_u32 s33, s33, s21
	s_cmp_gt_i32 s8, 0
	s_cselect_b64 s[20:21], -1, 0
	s_cmp_gt_i32 s30, 0
	s_cselect_b64 s[34:35], -1, 0
	;; [unrolled: 2-line block ×3, first 2 shown]
	s_waitcnt lgkmcnt(0)
	s_cmp_gt_i32 s74, 0
	s_cselect_b64 s[44:45], -1, 0
	s_abs_i32 s83, s14
	v_cvt_f32_u32_e32 v8, s83
	s_abs_i32 s79, s6
	s_abs_i32 s80, s5
	v_cvt_f32_u32_e32 v1, s79
	v_rcp_iflag_f32_e32 v8, v8
	s_abs_i32 s77, s68
	v_cvt_f32_u32_e32 v3, s80
	v_cmp_neq_f64_e64 s[46:47], s[24:25], 1.0
	v_cmp_neq_f64_e64 s[52:53], s[26:27], 0
	s_ashr_i32 s81, s13, 31
	s_abs_i32 s13, s13
	v_cvt_f32_u32_e32 v5, s77
	s_or_b64 s[46:47], s[46:47], s[52:53]
	s_load_dwordx16 s[52:67], s[0:1], 0x68
	v_cvt_f32_u32_e32 v7, s13
	s_abs_i32 s85, s15
	v_rcp_iflag_f32_e32 v1, v1
	v_mul_f32_e32 v8, 0x4f7ffffe, v8
	v_rcp_iflag_f32_e32 v3, v3
	v_cvt_u32_f32_e32 v11, v8
	v_cvt_f32_u32_e32 v8, s85
	v_rcp_iflag_f32_e32 v5, v5
	v_rcp_iflag_f32_e32 v7, v7
	s_waitcnt lgkmcnt(0)
	s_mul_i32 s0, s54, s71
	s_mul_hi_u32 s1, s54, s69
	v_mul_f32_e32 v1, 0x4f7ffffe, v1
	s_add_i32 s0, s1, s0
	s_mul_i32 s1, s55, s69
	v_cvt_u32_f32_e32 v1, v1
	v_mul_f32_e32 v3, 0x4f7ffffe, v3
	v_rcp_iflag_f32_e32 v8, v8
	s_add_i32 s1, s0, s1
	s_mul_i32 s0, s54, s69
	s_mul_i32 s54, s58, s70
	s_mul_hi_u32 s55, s58, s4
	v_cvt_u32_f32_e32 v3, v3
	v_mul_f32_e32 v5, 0x4f7ffffe, v5
	s_add_i32 s54, s55, s54
	s_mul_i32 s55, s59, s4
	v_cvt_u32_f32_e32 v5, v5
	v_mul_f32_e32 v7, 0x4f7ffffe, v7
	s_add_i32 s55, s54, s55
	s_mul_i32 s54, s58, s4
	s_sub_i32 s4, 0, s79
	v_cvt_u32_f32_e32 v7, v7
	s_sub_i32 s5, 0, s80
	v_mul_lo_u32 v2, s4, v1
	v_mul_f32_e32 v8, 0x4f7ffffe, v8
	s_sub_i32 s58, 0, s77
	v_mul_lo_u32 v4, s5, v3
	v_cvt_u32_f32_e32 v13, v8
	v_mul_hi_u32 v2, v1, v2
	s_sub_i32 s59, 0, s13
	v_mul_lo_u32 v6, s58, v5
	v_add_u32_e32 v1, v1, v2
	v_mul_hi_u32 v2, v3, v4
	s_and_b32 s75, s72, 0xffff
	s_ashr_i32 s76, s68, 31
	s_lshl_b64 s[0:1], s[0:1], 1
	s_lshl_b64 s[54:55], s[54:55], 1
	s_ashr_i32 s78, s6, 31
	s_ashr_i32 s82, s14, 31
	s_sub_i32 s14, 0, s83
	s_ashr_i32 s84, s15, 31
	s_sub_i32 s15, 0, s85
	v_mul_lo_u32 v10, s59, v7
	v_add_u32_e32 v8, v3, v2
	v_mul_hi_u32 v2, v5, v6
	s_add_u32 s0, s0, s54
	v_mul_lo_u32 v12, s14, v11
	v_add_u32_e32 v9, v5, v2
	v_mul_hi_u32 v2, v7, v10
	s_addc_u32 s1, s1, s55
	v_mul_lo_u32 v14, s15, v13
	v_add_u32_e32 v10, v7, v2
	v_mul_hi_u32 v2, v11, v12
	s_add_u32 s0, s22, s0
	v_add_u32_e32 v11, v11, v2
	v_mul_hi_u32 v2, v13, v14
	s_addc_u32 s1, s23, s1
	v_add_u32_e32 v12, v13, v2
	v_mov_b32_e32 v13, 0
	s_mov_b64 s[4:5], 0
	s_lshl_b64 s[14:15], s[56:57], 1
	s_lshl_b64 s[22:23], s[52:53], 1
	;; [unrolled: 1-line block ×4, first 2 shown]
	s_branch .LBB89_3
.LBB89_2:                               ;   in Loop: Header=BB89_3 Depth=1
	v_add_u32_e32 v0, s75, v0
	v_cmp_le_i32_e32 vcc, s7, v0
	s_or_b64 s[4:5], vcc, s[4:5]
	s_andn2_b64 exec, exec, s[4:5]
	s_cbranch_execz .LBB89_38
.LBB89_3:                               ; =>This Loop Header: Depth=1
                                        ;     Child Loop BB89_6 Depth 2
                                        ;       Child Loop BB89_9 Depth 3
                                        ;         Child Loop BB89_18 Depth 4
                                        ;           Child Loop BB89_25 Depth 5
	v_sub_u32_e32 v4, 0, v0
	v_max_i32_e32 v4, v0, v4
	v_mul_hi_u32 v5, v4, v1
	v_mul_lo_u32 v6, v5, s79
	v_sub_u32_e32 v6, v4, v6
	v_add_u32_e32 v7, 1, v5
	v_cmp_le_u32_e32 vcc, s79, v6
	v_ashrrev_i32_e32 v2, 31, v0
	v_xor_b32_e32 v3, s78, v2
	v_cndmask_b32_e32 v5, v5, v7, vcc
	v_subrev_u32_e32 v7, s79, v6
	v_cndmask_b32_e32 v6, v6, v7, vcc
	v_add_u32_e32 v7, 1, v5
	v_cmp_le_u32_e32 vcc, s79, v6
	v_xor_b32_e32 v2, s76, v2
	s_nop 0
	v_cndmask_b32_e32 v5, v5, v7, vcc
	v_xor_b32_e32 v5, v5, v3
	v_sub_u32_e32 v3, v5, v3
	v_mul_lo_u32 v5, v3, s6
	v_sub_u32_e32 v6, 0, v3
	v_sub_u32_e32 v14, v0, v5
	v_ashrrev_i32_e32 v5, 31, v3
	v_max_i32_e32 v3, v3, v6
	v_mul_hi_u32 v6, v3, v8
	v_mul_lo_u32 v6, v6, s80
	v_sub_u32_e32 v3, v3, v6
	v_subrev_u32_e32 v6, s80, v3
	v_cmp_le_u32_e32 vcc, s80, v3
	s_nop 1
	v_cndmask_b32_e32 v3, v3, v6, vcc
	v_subrev_u32_e32 v6, s80, v3
	v_cmp_le_u32_e32 vcc, s80, v3
	s_nop 1
	v_cndmask_b32_e32 v3, v3, v6, vcc
	v_xor_b32_e32 v3, v3, v5
	v_sub_u32_e32 v15, v3, v5
	v_mul_hi_u32 v3, v4, v9
	v_mul_lo_u32 v5, v3, s77
	v_sub_u32_e32 v4, v4, v5
	v_add_u32_e32 v5, 1, v3
	v_cmp_le_u32_e32 vcc, s77, v4
	s_nop 1
	v_cndmask_b32_e32 v3, v3, v5, vcc
	v_subrev_u32_e32 v5, s77, v4
	v_cndmask_b32_e32 v4, v4, v5, vcc
	v_add_u32_e32 v5, 1, v3
	v_cmp_le_u32_e32 vcc, s77, v4
	s_nop 1
	v_cndmask_b32_e32 v3, v3, v5, vcc
	v_xor_b32_e32 v3, v3, v2
	s_andn2_b64 vcc, exec, s[20:21]
	v_sub_u32_e32 v16, v3, v2
	s_cbranch_vccnz .LBB89_33
; %bb.4:                                ;   in Loop: Header=BB89_3 Depth=1
	v_add_u32_e32 v17, s19, v16
	v_add_u32_e32 v18, s28, v15
	;; [unrolled: 1-line block ×3, first 2 shown]
	s_mov_b32 s86, 0
	v_mov_b64_e32 v[2:3], 0
	s_mov_b64 s[52:53], s[0:1]
	s_branch .LBB89_6
.LBB89_5:                               ;   in Loop: Header=BB89_6 Depth=2
	s_add_i32 s86, s86, 1
	s_add_u32 s52, s52, s14
	s_addc_u32 s53, s53, s15
	s_cmp_eq_u32 s86, s8
	s_cbranch_scc1 .LBB89_34
.LBB89_6:                               ;   Parent Loop BB89_3 Depth=1
                                        ; =>  This Loop Header: Depth=2
                                        ;       Child Loop BB89_9 Depth 3
                                        ;         Child Loop BB89_18 Depth 4
                                        ;           Child Loop BB89_25 Depth 5
	s_andn2_b64 vcc, exec, s[34:35]
	s_cbranch_vccnz .LBB89_5
; %bb.7:                                ;   in Loop: Header=BB89_6 Depth=2
	s_mul_i32 s54, s67, s86
	s_mul_hi_u32 s55, s66, s86
	s_add_i32 s55, s55, s54
	s_mul_i32 s54, s66, s86
	s_lshl_b64 s[54:55], s[54:55], 1
	s_add_u32 s54, s9, s54
	s_addc_u32 s55, s33, s55
	s_mov_b32 s87, 0
	s_mov_b64 s[56:57], s[52:53]
	s_branch .LBB89_9
.LBB89_8:                               ;   in Loop: Header=BB89_9 Depth=3
	s_add_i32 s87, s87, 1
	s_add_u32 s56, s56, s22
	s_addc_u32 s57, s57, s23
	s_cmp_eq_u32 s87, s30
	s_cbranch_scc1 .LBB89_5
.LBB89_9:                               ;   Parent Loop BB89_3 Depth=1
                                        ;     Parent Loop BB89_6 Depth=2
                                        ; =>    This Loop Header: Depth=3
                                        ;         Child Loop BB89_18 Depth 4
                                        ;           Child Loop BB89_25 Depth 5
	s_mul_i32 s58, s87, s16
	v_subrev_u32_e32 v21, s58, v17
	v_sub_u32_e32 v5, 0, v21
	v_cmp_lt_i32_e32 vcc, -1, v21
	s_mov_b64 s[58:59], 0
	v_ashrrev_i32_e32 v4, 31, v21
	v_max_i32_e32 v20, v21, v5
                                        ; implicit-def: $sgpr70
                                        ; implicit-def: $vgpr5
                                        ; implicit-def: $vgpr6
                                        ; implicit-def: $vgpr7
	s_and_saveexec_b64 s[68:69], vcc
	s_xor_b64 s[68:69], exec, s[68:69]
	s_cbranch_execnz .LBB89_13
; %bb.10:                               ;   in Loop: Header=BB89_9 Depth=3
	s_andn2_saveexec_b64 s[68:69], s[68:69]
	s_cbranch_execnz .LBB89_14
.LBB89_11:                              ;   in Loop: Header=BB89_9 Depth=3
	s_or_b64 exec, exec, s[68:69]
	v_mov_b32_e32 v20, s70
	s_and_saveexec_b64 s[68:69], s[58:59]
	s_cbranch_execnz .LBB89_15
.LBB89_12:                              ;   in Loop: Header=BB89_9 Depth=3
	s_or_b64 exec, exec, s[68:69]
	s_andn2_b64 vcc, exec, s[42:43]
	s_cbranch_vccz .LBB89_16
	s_branch .LBB89_8
.LBB89_13:                              ;   in Loop: Header=BB89_9 Depth=3
	v_mul_hi_u32 v5, v20, v10
	v_mul_lo_u32 v6, v5, s13
	v_sub_u32_e32 v6, v20, v6
	v_subrev_u32_e32 v7, s13, v6
	v_cmp_le_u32_e32 vcc, s13, v6
	v_ashrrev_i32_e32 v4, 31, v21
	s_mov_b32 s70, 1
	v_cndmask_b32_e32 v20, v6, v7, vcc
	v_subrev_u32_e32 v21, s13, v20
	v_cmp_le_u32_e32 vcc, s13, v20
	s_nop 1
	v_cndmask_b32_e32 v20, v20, v21, vcc
	v_xor_b32_e32 v20, v20, v4
	v_sub_u32_e32 v20, v20, v4
	v_cmp_ne_u32_e32 vcc, 0, v20
	s_and_b64 s[58:59], vcc, exec
                                        ; implicit-def: $vgpr20
	s_andn2_saveexec_b64 s[68:69], s[68:69]
	s_cbranch_execz .LBB89_11
.LBB89_14:                              ;   in Loop: Header=BB89_9 Depth=3
	v_mul_hi_u32 v5, v20, v10
	v_mul_lo_u32 v6, v5, s13
	v_sub_u32_e32 v6, v20, v6
	v_subrev_u32_e32 v7, s13, v6
	s_or_b64 s[58:59], s[58:59], exec
	s_or_b64 exec, exec, s[68:69]
	v_mov_b32_e32 v20, s70
	s_and_saveexec_b64 s[68:69], s[58:59]
	s_cbranch_execz .LBB89_12
.LBB89_15:                              ;   in Loop: Header=BB89_9 Depth=3
	v_mov_b32_e32 v20, 0
	s_or_b64 exec, exec, s[68:69]
	s_andn2_b64 vcc, exec, s[42:43]
	s_cbranch_vccnz .LBB89_8
.LBB89_16:                              ;   in Loop: Header=BB89_9 Depth=3
	v_add_u32_e32 v21, 1, v5
	v_cmp_le_u32_e32 vcc, s13, v6
	v_xor_b32_e32 v4, s81, v4
	s_mov_b32 s88, 0
	v_cndmask_b32_e32 v5, v5, v21, vcc
	v_cndmask_b32_e32 v6, v6, v7, vcc
	v_add_u32_e32 v7, 1, v5
	v_cmp_le_u32_e32 vcc, s13, v6
	s_nop 1
	v_cndmask_b32_e32 v5, v5, v7, vcc
	v_xor_b32_e32 v5, v5, v4
	v_sub_u32_e32 v4, v5, v4
	v_ashrrev_i32_e32 v5, 31, v4
	v_cmp_gt_i32_e32 vcc, s10, v4
	v_mul_lo_u32 v6, s64, v5
	v_mul_lo_u32 v7, s65, v4
	v_mad_u64_u32 v[4:5], s[58:59], s64, v4, 0
	v_add3_u32 v5, v5, v6, v7
	v_cndmask_b32_e32 v20, 0, v20, vcc
	v_lshl_add_u64 v[4:5], v[4:5], 1, s[54:55]
	s_mov_b64 s[58:59], s[56:57]
	s_branch .LBB89_18
.LBB89_17:                              ;   in Loop: Header=BB89_18 Depth=4
	s_add_i32 s88, s88, 1
	s_add_u32 s58, s58, s50
	s_addc_u32 s59, s59, s51
	s_cmp_eq_u32 s88, s31
	s_cbranch_scc1 .LBB89_8
.LBB89_18:                              ;   Parent Loop BB89_3 Depth=1
                                        ;     Parent Loop BB89_6 Depth=2
                                        ;       Parent Loop BB89_9 Depth=3
                                        ; =>      This Loop Header: Depth=4
                                        ;           Child Loop BB89_25 Depth 5
	s_mul_i32 s68, s88, s17
	v_subrev_u32_e32 v6, s68, v18
	v_sub_u32_e32 v21, 0, v6
	v_cmp_gt_i32_e64 s[68:69], 0, v6
	v_cmp_lt_i32_e32 vcc, -1, v6
	v_ashrrev_i32_e32 v7, 31, v6
	v_max_i32_e32 v6, v6, v21
                                        ; implicit-def: $sgpr72
	s_and_saveexec_b64 s[70:71], vcc
	s_cbranch_execnz .LBB89_21
; %bb.19:                               ;   in Loop: Header=BB89_18 Depth=4
	s_or_b64 exec, exec, s[70:71]
	v_mov_b32_e32 v21, s72
	s_and_saveexec_b64 s[70:71], s[68:69]
	s_cbranch_execnz .LBB89_22
.LBB89_20:                              ;   in Loop: Header=BB89_18 Depth=4
	s_or_b64 exec, exec, s[70:71]
	s_andn2_b64 vcc, exec, s[44:45]
	s_cbranch_vccz .LBB89_23
	s_branch .LBB89_17
.LBB89_21:                              ;   in Loop: Header=BB89_18 Depth=4
	v_mul_hi_u32 v21, v6, v11
	v_mul_lo_u32 v21, v21, s83
	v_sub_u32_e32 v21, v6, v21
	v_subrev_u32_e32 v22, s83, v21
	v_cmp_le_u32_e32 vcc, s83, v21
	s_andn2_b64 s[68:69], s[68:69], exec
	s_mov_b32 s72, 1
	v_cndmask_b32_e32 v21, v21, v22, vcc
	v_subrev_u32_e32 v22, s83, v21
	v_cmp_le_u32_e32 vcc, s83, v21
	s_nop 1
	v_cndmask_b32_e32 v21, v21, v22, vcc
	v_xor_b32_e32 v21, v21, v7
	v_sub_u32_e32 v21, v21, v7
	v_cmp_ne_u32_e32 vcc, 0, v21
	s_and_b64 s[90:91], vcc, exec
	s_or_b64 s[68:69], s[68:69], s[90:91]
	s_or_b64 exec, exec, s[70:71]
	v_mov_b32_e32 v21, s72
	s_and_saveexec_b64 s[70:71], s[68:69]
	s_cbranch_execz .LBB89_20
.LBB89_22:                              ;   in Loop: Header=BB89_18 Depth=4
	v_mov_b32_e32 v21, 0
	s_or_b64 exec, exec, s[70:71]
	s_andn2_b64 vcc, exec, s[44:45]
	s_cbranch_vccnz .LBB89_17
.LBB89_23:                              ;   in Loop: Header=BB89_18 Depth=4
	v_mul_hi_u32 v22, v6, v11
	v_mul_lo_u32 v23, v22, s83
	v_sub_u32_e32 v6, v6, v23
	v_add_u32_e32 v23, 1, v22
	v_cmp_le_u32_e32 vcc, s83, v6
	v_xor_b32_e32 v7, s82, v7
	s_mov_b32 s89, s74
	v_cndmask_b32_e32 v22, v22, v23, vcc
	v_subrev_u32_e32 v23, s83, v6
	v_cndmask_b32_e32 v6, v6, v23, vcc
	v_add_u32_e32 v23, 1, v22
	v_cmp_le_u32_e32 vcc, s83, v6
	s_nop 1
	v_cndmask_b32_e32 v6, v22, v23, vcc
	v_xor_b32_e32 v6, v6, v7
	v_sub_u32_e32 v6, v6, v7
	v_cmp_gt_i32_e32 vcc, s11, v6
	v_mul_lo_u32 v23, s63, v6
	s_nop 0
	v_cndmask_b32_e32 v7, 0, v21, vcc
	v_and_b32_e32 v21, v7, v20
	v_ashrrev_i32_e32 v7, 31, v6
	v_mul_lo_u32 v22, s62, v7
	v_mad_u64_u32 v[6:7], s[68:69], s62, v6, 0
	v_add3_u32 v7, v7, v22, v23
	v_lshl_add_u64 v[6:7], v[6:7], 1, v[4:5]
	s_mov_b64 s[68:69], s[58:59]
	v_mov_b32_e32 v22, v19
	s_branch .LBB89_25
.LBB89_24:                              ;   in Loop: Header=BB89_25 Depth=5
	s_or_b64 exec, exec, s[70:71]
	s_add_i32 s89, s89, -1
	s_add_u32 s68, s68, s48
	s_addc_u32 s69, s69, s49
	s_cmp_eq_u32 s89, 0
	v_subrev_u32_e32 v22, s18, v22
	s_cbranch_scc1 .LBB89_17
.LBB89_25:                              ;   Parent Loop BB89_3 Depth=1
                                        ;     Parent Loop BB89_6 Depth=2
                                        ;       Parent Loop BB89_9 Depth=3
                                        ;         Parent Loop BB89_18 Depth=4
                                        ; =>        This Inner Loop Header: Depth=5
	v_sub_u32_e32 v24, 0, v22
	v_cmp_lt_i32_e32 vcc, -1, v22
	s_mov_b64 s[70:71], 0
	v_ashrrev_i32_e32 v23, 31, v22
	v_max_i32_e32 v27, v22, v24
                                        ; implicit-def: $sgpr90
                                        ; implicit-def: $vgpr24
                                        ; implicit-def: $vgpr25
                                        ; implicit-def: $vgpr26
	s_and_saveexec_b64 s[72:73], vcc
	s_xor_b64 s[72:73], exec, s[72:73]
	s_cbranch_execnz .LBB89_31
; %bb.26:                               ;   in Loop: Header=BB89_25 Depth=5
	s_andn2_saveexec_b64 s[72:73], s[72:73]
	s_cbranch_execnz .LBB89_32
.LBB89_27:                              ;   in Loop: Header=BB89_25 Depth=5
	s_or_b64 exec, exec, s[72:73]
	v_mov_b32_e32 v27, s90
	s_and_saveexec_b64 s[72:73], s[70:71]
.LBB89_28:                              ;   in Loop: Header=BB89_25 Depth=5
	v_mov_b32_e32 v27, 0
.LBB89_29:                              ;   in Loop: Header=BB89_25 Depth=5
	s_or_b64 exec, exec, s[72:73]
	v_add_u32_e32 v28, 1, v24
	v_cmp_le_u32_e32 vcc, s85, v25
	v_xor_b32_e32 v23, s84, v23
	s_nop 0
	v_cndmask_b32_e32 v24, v24, v28, vcc
	v_cndmask_b32_e32 v25, v25, v26, vcc
	v_add_u32_e32 v26, 1, v24
	v_cmp_le_u32_e32 vcc, s85, v25
	s_nop 1
	v_cndmask_b32_e32 v24, v24, v26, vcc
	v_xor_b32_e32 v24, v24, v23
	v_sub_u32_e32 v23, v24, v23
	v_cmp_gt_i32_e32 vcc, s12, v23
	s_nop 1
	v_cndmask_b32_e32 v24, 0, v27, vcc
	v_and_b32_e32 v24, v21, v24
	v_cmp_ne_u32_e32 vcc, 0, v24
	s_and_saveexec_b64 s[70:71], vcc
	s_cbranch_execz .LBB89_24
; %bb.30:                               ;   in Loop: Header=BB89_25 Depth=5
	v_ashrrev_i32_e32 v24, 31, v23
	v_mul_lo_u32 v26, s61, v23
	v_mul_lo_u32 v27, s60, v24
	v_mad_u64_u32 v[24:25], s[72:73], s60, v23, 0
	v_add3_u32 v25, v25, v27, v26
	v_lshl_add_u64 v[24:25], v[24:25], 1, v[6:7]
	global_load_ushort v23, v[24:25], off
	s_nop 0
	global_load_ushort v24, v13, s[68:69]
	s_waitcnt vmcnt(1)
	v_cvt_f32_f16_e32 v23, v23
	s_waitcnt vmcnt(0)
	v_cvt_f32_f16_e32 v26, v24
	v_cvt_f64_f32_e32 v[24:25], v23
	v_cvt_f64_f32_e32 v[26:27], v26
	v_fmac_f64_e32 v[2:3], v[24:25], v[26:27]
	s_branch .LBB89_24
.LBB89_31:                              ;   in Loop: Header=BB89_25 Depth=5
	v_mul_hi_u32 v24, v27, v12
	v_mul_lo_u32 v25, v24, s85
	v_sub_u32_e32 v25, v27, v25
	v_subrev_u32_e32 v26, s85, v25
	v_cmp_le_u32_e32 vcc, s85, v25
	v_ashrrev_i32_e32 v23, 31, v22
	s_mov_b32 s90, 1
	v_cndmask_b32_e32 v27, v25, v26, vcc
	v_subrev_u32_e32 v28, s85, v27
	v_cmp_le_u32_e32 vcc, s85, v27
	s_nop 1
	v_cndmask_b32_e32 v27, v27, v28, vcc
	v_xor_b32_e32 v27, v27, v23
	v_sub_u32_e32 v27, v27, v23
	v_cmp_ne_u32_e32 vcc, 0, v27
	s_and_b64 s[70:71], vcc, exec
                                        ; implicit-def: $vgpr27
	s_andn2_saveexec_b64 s[72:73], s[72:73]
	s_cbranch_execz .LBB89_27
.LBB89_32:                              ;   in Loop: Header=BB89_25 Depth=5
	v_mul_hi_u32 v24, v27, v12
	v_mul_lo_u32 v25, v24, s85
	v_sub_u32_e32 v25, v27, v25
	v_subrev_u32_e32 v26, s85, v25
	s_or_b64 s[70:71], s[70:71], exec
	s_or_b64 exec, exec, s[72:73]
	v_mov_b32_e32 v27, s90
	s_and_saveexec_b64 s[72:73], s[70:71]
	s_cbranch_execnz .LBB89_28
	s_branch .LBB89_29
.LBB89_33:                              ;   in Loop: Header=BB89_3 Depth=1
	v_mov_b64_e32 v[2:3], 0
.LBB89_34:                              ;   in Loop: Header=BB89_3 Depth=1
	v_ashrrev_i32_e32 v4, 31, v14
	v_mul_lo_u32 v17, s37, v14
	v_mul_lo_u32 v18, s36, v4
	v_mad_u64_u32 v[4:5], s[52:53], s36, v14, 0
	v_ashrrev_i32_e32 v7, 31, v15
	v_add3_u32 v5, v5, v18, v17
	v_mad_u64_u32 v[4:5], s[52:53], s38, v15, v[4:5]
	v_mul_lo_u32 v14, s39, v15
	v_mul_lo_u32 v7, s38, v7
	v_ashrrev_i32_e32 v6, 31, v16
	v_add3_u32 v5, v14, v5, v7
	v_mad_u64_u32 v[4:5], s[52:53], s40, v16, v[4:5]
	v_mul_lo_u32 v7, s41, v16
	v_mul_lo_u32 v6, s40, v6
	v_add3_u32 v5, v7, v5, v6
	s_mov_b64 s[52:53], -1
	s_and_b64 vcc, exec, s[46:47]
	v_lshl_add_u64 v[4:5], v[4:5], 1, s[2:3]
	s_cbranch_vccz .LBB89_36
; %bb.35:                               ;   in Loop: Header=BB89_3 Depth=1
	global_load_ushort v6, v[4:5], off
	s_mov_b64 s[52:53], 0
	s_waitcnt vmcnt(0)
	v_cvt_f32_f16_e32 v6, v6
	v_cvt_f64_f32_e32 v[6:7], v6
	v_mul_f64 v[6:7], v[6:7], s[26:27]
	v_fmac_f64_e32 v[6:7], s[24:25], v[2:3]
	v_cvt_f32_f64_e32 v6, v[6:7]
	v_cvt_f16_f32_e32 v6, v6
	global_store_short v[4:5], v6, off
.LBB89_36:                              ;   in Loop: Header=BB89_3 Depth=1
	s_andn2_b64 vcc, exec, s[52:53]
	s_cbranch_vccnz .LBB89_2
; %bb.37:                               ;   in Loop: Header=BB89_3 Depth=1
	v_cvt_f32_f64_e32 v2, v[2:3]
	v_cvt_f16_f32_e32 v2, v2
	global_store_short v[4:5], v2, off
	s_branch .LBB89_2
.LBB89_38:
	s_endpgm
	.section	.rodata,"a",@progbits
	.p2align	6, 0x0
	.amdhsa_kernel naive_conv_ab_nonpacked_bwd_ncdhw_half_double_half_0
		.amdhsa_group_segment_fixed_size 0
		.amdhsa_private_segment_fixed_size 0
		.amdhsa_kernarg_size 528
		.amdhsa_user_sgpr_count 2
		.amdhsa_user_sgpr_dispatch_ptr 0
		.amdhsa_user_sgpr_queue_ptr 0
		.amdhsa_user_sgpr_kernarg_segment_ptr 1
		.amdhsa_user_sgpr_dispatch_id 0
		.amdhsa_user_sgpr_kernarg_preload_length 0
		.amdhsa_user_sgpr_kernarg_preload_offset 0
		.amdhsa_user_sgpr_private_segment_size 0
		.amdhsa_uses_dynamic_stack 0
		.amdhsa_enable_private_segment 0
		.amdhsa_system_sgpr_workgroup_id_x 1
		.amdhsa_system_sgpr_workgroup_id_y 0
		.amdhsa_system_sgpr_workgroup_id_z 0
		.amdhsa_system_sgpr_workgroup_info 0
		.amdhsa_system_vgpr_workitem_id 0
		.amdhsa_next_free_vgpr 29
		.amdhsa_next_free_sgpr 92
		.amdhsa_accum_offset 32
		.amdhsa_reserve_vcc 1
		.amdhsa_float_round_mode_32 0
		.amdhsa_float_round_mode_16_64 0
		.amdhsa_float_denorm_mode_32 3
		.amdhsa_float_denorm_mode_16_64 3
		.amdhsa_dx10_clamp 1
		.amdhsa_ieee_mode 1
		.amdhsa_fp16_overflow 0
		.amdhsa_tg_split 0
		.amdhsa_exception_fp_ieee_invalid_op 0
		.amdhsa_exception_fp_denorm_src 0
		.amdhsa_exception_fp_ieee_div_zero 0
		.amdhsa_exception_fp_ieee_overflow 0
		.amdhsa_exception_fp_ieee_underflow 0
		.amdhsa_exception_fp_ieee_inexact 0
		.amdhsa_exception_int_div_zero 0
	.end_amdhsa_kernel
	.text
.Lfunc_end89:
	.size	naive_conv_ab_nonpacked_bwd_ncdhw_half_double_half_0, .Lfunc_end89-naive_conv_ab_nonpacked_bwd_ncdhw_half_double_half_0
                                        ; -- End function
	.section	.AMDGPU.csdata,"",@progbits
; Kernel info:
; codeLenInByte = 2756
; NumSgprs: 98
; NumVgprs: 29
; NumAgprs: 0
; TotalNumVgprs: 29
; ScratchSize: 0
; MemoryBound: 0
; FloatMode: 240
; IeeeMode: 1
; LDSByteSize: 0 bytes/workgroup (compile time only)
; SGPRBlocks: 12
; VGPRBlocks: 3
; NumSGPRsForWavesPerEU: 98
; NumVGPRsForWavesPerEU: 29
; AccumOffset: 32
; Occupancy: 8
; WaveLimiterHint : 1
; COMPUTE_PGM_RSRC2:SCRATCH_EN: 0
; COMPUTE_PGM_RSRC2:USER_SGPR: 2
; COMPUTE_PGM_RSRC2:TRAP_HANDLER: 0
; COMPUTE_PGM_RSRC2:TGID_X_EN: 1
; COMPUTE_PGM_RSRC2:TGID_Y_EN: 0
; COMPUTE_PGM_RSRC2:TGID_Z_EN: 0
; COMPUTE_PGM_RSRC2:TIDIG_COMP_CNT: 0
; COMPUTE_PGM_RSRC3_GFX90A:ACCUM_OFFSET: 7
; COMPUTE_PGM_RSRC3_GFX90A:TG_SPLIT: 0
	.text
	.protected	naive_conv_ab_packed_bwd_ncdhw_ushort_double_ushort_0 ; -- Begin function naive_conv_ab_packed_bwd_ncdhw_ushort_double_ushort_0
	.globl	naive_conv_ab_packed_bwd_ncdhw_ushort_double_ushort_0
	.p2align	8
	.type	naive_conv_ab_packed_bwd_ncdhw_ushort_double_ushort_0,@function
naive_conv_ab_packed_bwd_ncdhw_ushort_double_ushort_0: ; @naive_conv_ab_packed_bwd_ncdhw_ushort_double_ushort_0
; %bb.0:
	s_load_dwordx16 s[4:19], s[0:1], 0xb8
	s_abs_i32 s3, s2
	s_waitcnt lgkmcnt(0)
	s_abs_i32 s20, s9
	v_cvt_f32_u32_e32 v1, s20
	s_sub_i32 s21, 0, s20
	s_mul_i32 s28, s9, s7
	s_mul_i32 s45, s6, s5
	v_rcp_iflag_f32_e32 v1, v1
	s_nop 0
	v_mul_f32_e32 v1, 0x4f7ffffe, v1
	v_cvt_u32_f32_e32 v1, v1
	s_nop 0
	v_readfirstlane_b32 s22, v1
	s_mul_i32 s21, s21, s22
	s_mul_hi_u32 s21, s22, s21
	s_add_i32 s22, s22, s21
	s_mul_hi_u32 s21, s3, s22
	s_mul_i32 s22, s21, s20
	s_sub_i32 s22, s3, s22
	s_add_i32 s23, s21, 1
	s_sub_i32 s24, s22, s20
	s_cmp_ge_u32 s22, s20
	s_cselect_b32 s21, s23, s21
	s_cselect_b32 s22, s24, s22
	s_add_i32 s23, s21, 1
	s_cmp_ge_u32 s22, s20
	s_cselect_b32 s29, s23, s21
	s_abs_i32 s38, s7
	s_abs_i32 s33, s28
	v_cvt_f32_u32_e32 v1, s38
	v_cvt_f32_u32_e32 v2, s33
	s_mul_i32 s7, s45, s4
	v_cmp_gt_i32_e32 vcc, s7, v0
	v_rcp_iflag_f32_e32 v1, v1
	v_rcp_iflag_f32_e32 v2, v2
	v_mul_f32_e32 v1, 0x4f7ffffe, v1
	v_mul_f32_e32 v2, 0x4f7ffffe, v2
	v_cvt_u32_f32_e32 v1, v1
	v_cvt_u32_f32_e32 v2, v2
	v_readfirstlane_b32 s31, v1
	v_readfirstlane_b32 s30, v2
	s_and_saveexec_b64 s[20:21], vcc
	s_cbranch_execz .LBB90_38
; %bb.1:
	s_ashr_i32 s39, s2, 31
	s_ashr_i32 s44, s9, 31
	s_xor_b32 s34, s39, s44
	s_xor_b32 s29, s29, s34
	s_sub_i32 s40, s29, s34
	s_sub_i32 s29, 0, s38
	s_mul_i32 s29, s29, s31
	s_mul_hi_u32 s29, s31, s29
	s_ashr_i32 s46, s28, 31
	s_sub_i32 s28, 0, s33
	s_abs_i32 s42, s40
	s_add_i32 s31, s31, s29
	s_mul_i32 s28, s28, s30
	s_mul_hi_u32 s43, s42, s31
	s_mul_hi_u32 s28, s30, s28
	s_add_i32 s30, s30, s28
	s_mul_i32 s43, s43, s38
	s_load_dwordx8 s[20:27], s[0:1], 0x0
	s_ashr_i32 s41, s40, 31
	s_load_dwordx2 s[34:35], s[0:1], 0x108
	s_mul_hi_u32 s47, s3, s30
	s_load_dwordx2 s[36:37], s[0:1], 0x20
	s_load_dwordx4 s[28:31], s[0:1], 0xf8
	s_load_dword s48, s[0:1], 0x11c
	s_mul_i32 s40, s40, s9
	s_sub_i32 s1, s42, s43
	s_sub_i32 s50, s2, s40
	s_sub_i32 s2, s1, s38
	s_cmp_ge_u32 s1, s38
	s_cselect_b32 s1, s2, s1
	s_sub_i32 s2, s1, s38
	s_cmp_ge_u32 s1, s38
	s_waitcnt lgkmcnt(0)
	s_mul_i32 s49, s35, s8
	s_mul_i32 s0, s35, s9
	s_cselect_b32 s1, s2, s1
	s_mul_i32 s35, s47, s33
	s_xor_b32 s1, s1, s41
	s_sub_i32 s3, s3, s35
	s_sub_i32 s2, s1, s41
	s_xor_b32 s1, s39, s46
	s_add_i32 s35, s47, 1
	s_sub_i32 s38, s3, s33
	s_cmp_ge_u32 s3, s33
	s_cselect_b32 s35, s35, s47
	s_cselect_b32 s3, s38, s3
	s_add_i32 s38, s35, 1
	s_cmp_ge_u32 s3, s33
	s_cselect_b32 s3, s38, s35
	s_xor_b32 s3, s3, s1
	s_sub_i32 s3, s3, s1
	s_mul_hi_i32 s1, s2, s0
	s_mul_i32 s0, s2, s0
	s_ashr_i32 s58, s6, 31
	s_ashr_i32 s51, s50, 31
	s_add_u32 s0, s0, s50
	s_mul_i32 s38, s3, s9
	s_addc_u32 s1, s1, s51
	s_mul_hi_i32 s35, s3, s9
	s_add_u32 s0, s0, s38
	s_addc_u32 s1, s1, s35
	s_mul_hi_i32 s35, s5, s4
	s_mul_i32 s4, s5, s4
	s_mul_i32 s38, s4, s58
	s_mul_hi_u32 s39, s4, s6
	s_add_i32 s38, s39, s38
	s_mul_i32 s35, s35, s6
	s_mul_i32 s4, s4, s6
	s_add_i32 s35, s38, s35
	s_mul_i32 s1, s4, s1
	s_mul_hi_u32 s38, s4, s0
	s_add_i32 s1, s38, s1
	s_mul_i32 s35, s35, s0
	s_add_i32 s1, s1, s35
	s_mul_i32 s0, s4, s0
	s_lshl_b64 s[0:1], s[0:1], 1
	s_add_u32 s0, s20, s0
	s_mul_hi_i32 s4, s3, s8
	s_mul_i32 s3, s3, s8
	s_addc_u32 s1, s21, s1
	s_mul_i32 s20, s3, s44
	s_mul_hi_u32 s21, s3, s9
	s_add_i32 s20, s21, s20
	s_mul_i32 s21, s4, s9
	s_add_i32 s52, s20, s21
	s_ashr_i32 s54, s30, 31
	s_ashr_i32 s35, s34, 31
	s_mul_hi_i32 s20, s2, s49
	s_mul_i32 s2, s2, s49
	s_ashr_i32 s60, s10, 31
	s_ashr_i32 s62, s11, 31
	;; [unrolled: 1-line block ×3, first 2 shown]
	s_add_u32 s2, s3, s2
	s_mul_i32 s53, s3, s9
	s_mov_b32 s61, s10
	s_addc_u32 s3, s4, s20
	s_mul_hi_i32 s4, s11, s10
	s_mul_i32 s10, s11, s10
	s_mov_b32 s63, s11
	s_mul_i32 s11, s10, s64
	s_mul_hi_u32 s20, s10, s12
	s_add_i32 s11, s20, s11
	s_mul_i32 s4, s4, s12
	s_mul_i32 s10, s10, s12
	s_add_i32 s4, s11, s4
	s_mul_i32 s3, s10, s3
	s_mul_hi_u32 s11, s10, s2
	s_add_i32 s3, s11, s3
	s_mul_i32 s4, s4, s2
	s_add_i32 s3, s3, s4
	s_mul_i32 s2, s10, s2
	s_lshl_b64 s[2:3], s[2:3], 1
	s_add_u32 s2, s36, s2
	s_addc_u32 s3, s37, s3
	s_cmp_gt_i32 s8, 0
	s_cselect_b64 s[10:11], -1, 0
	s_cmp_gt_i32 s30, 0
	s_cselect_b64 s[20:21], -1, 0
	;; [unrolled: 2-line block ×4, first 2 shown]
	s_abs_i32 s66, s6
	v_cvt_f32_u32_e32 v1, s66
	s_abs_i32 s67, s5
	v_cvt_f32_u32_e32 v2, s67
	s_abs_i32 s69, s45
	v_rcp_iflag_f32_e32 v1, v1
	v_cvt_f32_u32_e32 v4, s69
	v_rcp_iflag_f32_e32 v2, v2
	s_sub_i32 s4, 0, s66
	v_mul_f32_e32 v1, 0x4f7ffffe, v1
	v_cvt_u32_f32_e32 v1, v1
	v_mul_f32_e32 v2, 0x4f7ffffe, v2
	v_cvt_u32_f32_e32 v2, v2
	s_abs_i32 s70, s13
	v_mul_lo_u32 v3, s4, v1
	v_mul_hi_u32 v3, v1, v3
	v_add_u32_e32 v1, v1, v3
	v_rcp_iflag_f32_e32 v3, v4
	s_sub_i32 s4, 0, s67
	v_mul_lo_u32 v4, s4, v2
	v_mul_hi_u32 v4, v2, v4
	v_add_u32_e32 v14, v2, v4
	v_mul_f32_e32 v2, 0x4f7ffffe, v3
	v_cvt_f32_u32_e32 v3, s70
	v_cvt_u32_f32_e32 v2, v2
	s_sub_i32 s4, 0, s69
	s_abs_i32 s73, s14
	v_rcp_iflag_f32_e32 v3, v3
	v_mul_lo_u32 v4, s4, v2
	v_mul_hi_u32 v4, v2, v4
	v_add_u32_e32 v15, v2, v4
	v_mul_f32_e32 v2, 0x4f7ffffe, v3
	v_cvt_u32_f32_e32 v2, v2
	s_sub_i32 s4, 0, s70
	v_cvt_f32_u32_e32 v3, s73
	s_abs_i32 s74, s15
	v_mul_lo_u32 v4, s4, v2
	v_mul_hi_u32 v4, v2, v4
	v_add_u32_e32 v16, v2, v4
	v_cvt_f32_u32_e32 v2, s74
	v_rcp_iflag_f32_e32 v3, v3
	s_sub_i32 s4, 0, s73
	v_cmp_neq_f64_e64 s[42:43], s[24:25], 1.0
	v_rcp_iflag_f32_e32 v2, v2
	v_mul_f32_e32 v3, 0x4f7ffffe, v3
	v_cvt_u32_f32_e32 v3, v3
	v_cmp_neq_f64_e64 s[46:47], s[26:27], 0
	v_mul_f32_e32 v2, 0x4f7ffffe, v2
	v_cvt_u32_f32_e32 v2, v2
	v_mul_lo_u32 v4, s4, v3
	s_or_b64 s[42:43], s[42:43], s[46:47]
	s_and_b32 s68, s48, 0xffff
	s_ashr_i32 s71, s45, 31
	s_ashr_i32 s72, s13, 31
	;; [unrolled: 1-line block ×3, first 2 shown]
	v_mul_hi_u32 v4, v3, v4
	s_ashr_i32 s76, s15, 31
	s_sub_i32 s4, 0, s74
	v_add_u32_e32 v17, v3, v4
	v_mul_lo_u32 v3, s4, v2
	s_add_u32 s4, s53, s50
	s_mul_i32 s14, s34, s31
	s_mov_b32 s33, s5
	s_mov_b32 s65, s12
	s_addc_u32 s5, s52, s51
	s_mul_i32 s12, s14, s30
	s_mul_i32 s5, s12, s5
	s_mul_hi_u32 s13, s12, s4
	s_mov_b32 s59, s31
	s_add_i32 s5, s13, s5
	s_mul_hi_i32 s15, s34, s31
	s_mul_i32 s13, s14, s54
	s_mul_hi_u32 s31, s14, s30
	s_add_i32 s13, s31, s13
	s_mul_i32 s31, s15, s30
	s_add_i32 s13, s13, s31
	s_mul_i32 s31, s13, s4
	;; [unrolled: 2-line block ×3, first 2 shown]
	s_lshl_b64 s[4:5], s[4:5], 1
	s_add_u32 s4, s22, s4
	s_addc_u32 s5, s23, s5
	s_mul_i32 s22, s12, s44
	s_mul_hi_u32 s23, s12, s9
	s_add_i32 s22, s23, s22
	s_mul_i32 s13, s13, s9
	v_mul_hi_u32 v3, v2, v3
	s_add_i32 s13, s22, s13
	s_mul_i32 s12, s12, s9
	s_mov_b64 s[40:41], 0
	v_add_u32_e32 v18, v2, v3
	s_lshl_b64 s[12:13], s[12:13], 1
	s_lshl_b64 s[14:15], s[14:15], 1
	;; [unrolled: 1-line block ×3, first 2 shown]
	v_mov_b32_e32 v19, 0
	s_mov_b32 s9, 0x7f800000
	s_branch .LBB90_3
.LBB90_2:                               ;   in Loop: Header=BB90_3 Depth=1
	v_add_u32_e32 v0, s68, v0
	v_cmp_le_i32_e32 vcc, s7, v0
	s_or_b64 s[40:41], vcc, s[40:41]
	s_andn2_b64 exec, exec, s[40:41]
	s_cbranch_execz .LBB90_38
.LBB90_3:                               ; =>This Loop Header: Depth=1
                                        ;     Child Loop BB90_6 Depth 2
                                        ;       Child Loop BB90_9 Depth 3
                                        ;         Child Loop BB90_18 Depth 4
                                        ;           Child Loop BB90_25 Depth 5
	v_sub_u32_e32 v4, 0, v0
	v_max_i32_e32 v4, v0, v4
	v_mul_hi_u32 v5, v4, v1
	v_mul_lo_u32 v6, v5, s66
	v_sub_u32_e32 v6, v4, v6
	v_add_u32_e32 v7, 1, v5
	v_cmp_le_u32_e32 vcc, s66, v6
	v_ashrrev_i32_e32 v3, 31, v0
	v_xor_b32_e32 v2, s58, v3
	v_cndmask_b32_e32 v5, v5, v7, vcc
	v_subrev_u32_e32 v7, s66, v6
	v_cndmask_b32_e32 v6, v6, v7, vcc
	v_add_u32_e32 v7, 1, v5
	v_cmp_le_u32_e32 vcc, s66, v6
	v_xor_b32_e32 v3, s71, v3
	s_nop 0
	v_cndmask_b32_e32 v5, v5, v7, vcc
	v_xor_b32_e32 v5, v5, v2
	v_sub_u32_e32 v5, v5, v2
	v_sub_u32_e32 v7, 0, v5
	v_mul_lo_u32 v2, v5, s6
	v_ashrrev_i32_e32 v6, 31, v5
	v_max_i32_e32 v5, v5, v7
	v_mul_hi_u32 v7, v5, v14
	v_mul_lo_u32 v7, v7, s67
	v_sub_u32_e32 v5, v5, v7
	v_subrev_u32_e32 v7, s67, v5
	v_cmp_le_u32_e32 vcc, s67, v5
	v_sub_u32_e32 v2, v0, v2
	s_nop 0
	v_cndmask_b32_e32 v5, v5, v7, vcc
	v_subrev_u32_e32 v7, s67, v5
	v_cmp_le_u32_e32 vcc, s67, v5
	s_nop 1
	v_cndmask_b32_e32 v5, v5, v7, vcc
	v_xor_b32_e32 v5, v5, v6
	v_sub_u32_e32 v6, v5, v6
	v_mul_hi_u32 v5, v4, v15
	v_mul_lo_u32 v7, v5, s69
	v_sub_u32_e32 v4, v4, v7
	v_add_u32_e32 v7, 1, v5
	v_cmp_le_u32_e32 vcc, s69, v4
	s_nop 1
	v_cndmask_b32_e32 v5, v5, v7, vcc
	v_subrev_u32_e32 v7, s69, v4
	v_cndmask_b32_e32 v4, v4, v7, vcc
	v_add_u32_e32 v7, 1, v5
	v_cmp_le_u32_e32 vcc, s69, v4
	s_nop 1
	v_cndmask_b32_e32 v4, v5, v7, vcc
	v_xor_b32_e32 v4, v4, v3
	s_andn2_b64 vcc, exec, s[10:11]
	v_sub_u32_e32 v3, v4, v3
	s_cbranch_vccnz .LBB90_33
; %bb.4:                                ;   in Loop: Header=BB90_3 Depth=1
	v_add_u32_e32 v7, s19, v3
	v_add_u32_e32 v20, s28, v6
	;; [unrolled: 1-line block ×3, first 2 shown]
	s_mov_b32 s31, 0
	v_mov_b64_e32 v[4:5], 0
	s_mov_b64 s[44:45], s[4:5]
	s_branch .LBB90_6
.LBB90_5:                               ;   in Loop: Header=BB90_6 Depth=2
	s_add_i32 s31, s31, 1
	s_add_u32 s44, s44, s12
	s_addc_u32 s45, s45, s13
	s_cmp_eq_u32 s31, s8
	s_cbranch_scc1 .LBB90_34
.LBB90_6:                               ;   Parent Loop BB90_3 Depth=1
                                        ; =>  This Loop Header: Depth=2
                                        ;       Child Loop BB90_9 Depth 3
                                        ;         Child Loop BB90_18 Depth 4
                                        ;           Child Loop BB90_25 Depth 5
	s_andn2_b64 vcc, exec, s[20:21]
	s_cbranch_vccnz .LBB90_5
; %bb.7:                                ;   in Loop: Header=BB90_6 Depth=2
	s_mul_i32 s35, s31, s60
	s_mul_hi_u32 s46, s31, s61
	s_add_i32 s47, s46, s35
	s_mul_i32 s46, s31, s61
	s_mov_b32 s35, 0
	s_mov_b64 s[48:49], s[44:45]
	s_branch .LBB90_9
.LBB90_8:                               ;   in Loop: Header=BB90_9 Depth=3
	s_add_i32 s35, s35, 1
	s_add_u32 s48, s48, s14
	s_addc_u32 s49, s49, s15
	s_cmp_eq_u32 s35, s30
	s_cbranch_scc1 .LBB90_5
.LBB90_9:                               ;   Parent Loop BB90_3 Depth=1
                                        ;     Parent Loop BB90_6 Depth=2
                                        ; =>    This Loop Header: Depth=3
                                        ;         Child Loop BB90_18 Depth 4
                                        ;           Child Loop BB90_25 Depth 5
	s_mul_i32 s50, s35, s16
	v_subrev_u32_e32 v13, s50, v7
	v_sub_u32_e32 v9, 0, v13
	v_cmp_lt_i32_e32 vcc, -1, v13
	s_mov_b64 s[50:51], 0
	v_ashrrev_i32_e32 v8, 31, v13
	v_max_i32_e32 v12, v13, v9
                                        ; implicit-def: $sgpr54
                                        ; implicit-def: $vgpr9
                                        ; implicit-def: $vgpr10
                                        ; implicit-def: $vgpr11
	s_and_saveexec_b64 s[52:53], vcc
	s_xor_b64 s[52:53], exec, s[52:53]
	s_cbranch_execnz .LBB90_13
; %bb.10:                               ;   in Loop: Header=BB90_9 Depth=3
	s_andn2_saveexec_b64 s[52:53], s[52:53]
	s_cbranch_execnz .LBB90_14
.LBB90_11:                              ;   in Loop: Header=BB90_9 Depth=3
	s_or_b64 exec, exec, s[52:53]
	v_mov_b32_e32 v12, s54
	s_and_saveexec_b64 s[52:53], s[50:51]
	s_cbranch_execnz .LBB90_15
.LBB90_12:                              ;   in Loop: Header=BB90_9 Depth=3
	s_or_b64 exec, exec, s[52:53]
	s_andn2_b64 vcc, exec, s[36:37]
	s_cbranch_vccz .LBB90_16
	s_branch .LBB90_8
.LBB90_13:                              ;   in Loop: Header=BB90_9 Depth=3
	v_mul_hi_u32 v9, v12, v16
	v_mul_lo_u32 v10, v9, s70
	v_sub_u32_e32 v10, v12, v10
	v_subrev_u32_e32 v11, s70, v10
	v_cmp_le_u32_e32 vcc, s70, v10
	v_ashrrev_i32_e32 v8, 31, v13
	s_mov_b32 s54, 1
	v_cndmask_b32_e32 v12, v10, v11, vcc
	v_subrev_u32_e32 v13, s70, v12
	v_cmp_le_u32_e32 vcc, s70, v12
	s_nop 1
	v_cndmask_b32_e32 v12, v12, v13, vcc
	v_xor_b32_e32 v12, v12, v8
	v_sub_u32_e32 v12, v12, v8
	v_cmp_ne_u32_e32 vcc, 0, v12
	s_and_b64 s[50:51], vcc, exec
                                        ; implicit-def: $vgpr12
	s_andn2_saveexec_b64 s[52:53], s[52:53]
	s_cbranch_execz .LBB90_11
.LBB90_14:                              ;   in Loop: Header=BB90_9 Depth=3
	v_mul_hi_u32 v9, v12, v16
	v_mul_lo_u32 v10, v9, s70
	v_sub_u32_e32 v10, v12, v10
	v_subrev_u32_e32 v11, s70, v10
	s_or_b64 s[50:51], s[50:51], exec
	s_or_b64 exec, exec, s[52:53]
	v_mov_b32_e32 v12, s54
	s_and_saveexec_b64 s[52:53], s[50:51]
	s_cbranch_execz .LBB90_12
.LBB90_15:                              ;   in Loop: Header=BB90_9 Depth=3
	v_mov_b32_e32 v12, 0
	s_or_b64 exec, exec, s[52:53]
	s_andn2_b64 vcc, exec, s[36:37]
	s_cbranch_vccnz .LBB90_8
.LBB90_16:                              ;   in Loop: Header=BB90_9 Depth=3
	v_add_u32_e32 v13, 1, v9
	v_cmp_le_u32_e32 vcc, s70, v10
	v_xor_b32_e32 v8, s72, v8
	s_mov_b32 s77, 0
	v_cndmask_b32_e32 v9, v9, v13, vcc
	v_cndmask_b32_e32 v10, v10, v11, vcc
	v_add_u32_e32 v11, 1, v9
	v_cmp_le_u32_e32 vcc, s70, v10
	s_nop 1
	v_cndmask_b32_e32 v9, v9, v11, vcc
	v_xor_b32_e32 v9, v9, v8
	v_sub_u32_e32 v8, v9, v8
	v_ashrrev_i32_e32 v9, 31, v8
	v_cmp_gt_i32_e32 vcc, s61, v8
	v_lshl_add_u64 v[8:9], s[46:47], 0, v[8:9]
	v_mul_lo_u32 v10, v9, s63
	v_mul_lo_u32 v11, v8, s62
	v_mad_u64_u32 v[8:9], s[50:51], v8, s63, 0
	v_cndmask_b32_e32 v22, 0, v12, vcc
	v_add3_u32 v9, v9, v11, v10
	s_mov_b64 s[50:51], s[48:49]
	s_branch .LBB90_18
.LBB90_17:                              ;   in Loop: Header=BB90_18 Depth=4
	s_add_i32 s77, s77, 1
	s_add_u32 s50, s50, s22
	s_addc_u32 s51, s51, s23
	s_cmp_eq_u32 s77, s59
	s_cbranch_scc1 .LBB90_8
.LBB90_18:                              ;   Parent Loop BB90_3 Depth=1
                                        ;     Parent Loop BB90_6 Depth=2
                                        ;       Parent Loop BB90_9 Depth=3
                                        ; =>      This Loop Header: Depth=4
                                        ;           Child Loop BB90_25 Depth 5
	s_mul_i32 s52, s77, s17
	v_subrev_u32_e32 v10, s52, v20
	v_sub_u32_e32 v12, 0, v10
	v_cmp_gt_i32_e64 s[52:53], 0, v10
	v_cmp_lt_i32_e32 vcc, -1, v10
	v_ashrrev_i32_e32 v11, 31, v10
	v_max_i32_e32 v10, v10, v12
                                        ; implicit-def: $sgpr56
	s_and_saveexec_b64 s[54:55], vcc
	s_cbranch_execnz .LBB90_21
; %bb.19:                               ;   in Loop: Header=BB90_18 Depth=4
	s_or_b64 exec, exec, s[54:55]
	v_mov_b32_e32 v12, s56
	s_and_saveexec_b64 s[54:55], s[52:53]
	s_cbranch_execnz .LBB90_22
.LBB90_20:                              ;   in Loop: Header=BB90_18 Depth=4
	s_or_b64 exec, exec, s[54:55]
	s_andn2_b64 vcc, exec, s[38:39]
	s_cbranch_vccz .LBB90_23
	s_branch .LBB90_17
.LBB90_21:                              ;   in Loop: Header=BB90_18 Depth=4
	v_mul_hi_u32 v12, v10, v17
	v_mul_lo_u32 v12, v12, s73
	v_sub_u32_e32 v12, v10, v12
	v_subrev_u32_e32 v13, s73, v12
	v_cmp_le_u32_e32 vcc, s73, v12
	s_andn2_b64 s[52:53], s[52:53], exec
	s_mov_b32 s56, 1
	v_cndmask_b32_e32 v12, v12, v13, vcc
	v_subrev_u32_e32 v13, s73, v12
	v_cmp_le_u32_e32 vcc, s73, v12
	s_nop 1
	v_cndmask_b32_e32 v12, v12, v13, vcc
	v_xor_b32_e32 v12, v12, v11
	v_sub_u32_e32 v12, v12, v11
	v_cmp_ne_u32_e32 vcc, 0, v12
	s_and_b64 s[78:79], vcc, exec
	s_or_b64 s[52:53], s[52:53], s[78:79]
	s_or_b64 exec, exec, s[54:55]
	v_mov_b32_e32 v12, s56
	s_and_saveexec_b64 s[54:55], s[52:53]
	s_cbranch_execz .LBB90_20
.LBB90_22:                              ;   in Loop: Header=BB90_18 Depth=4
	v_mov_b32_e32 v12, 0
	s_or_b64 exec, exec, s[54:55]
	s_andn2_b64 vcc, exec, s[38:39]
	s_cbranch_vccnz .LBB90_17
.LBB90_23:                              ;   in Loop: Header=BB90_18 Depth=4
	v_mul_hi_u32 v13, v10, v17
	v_mul_lo_u32 v23, v13, s73
	v_sub_u32_e32 v10, v10, v23
	v_add_u32_e32 v23, 1, v13
	v_cmp_le_u32_e32 vcc, s73, v10
	v_xor_b32_e32 v11, s75, v11
	s_mov_b32 s78, s34
	v_cndmask_b32_e32 v13, v13, v23, vcc
	v_subrev_u32_e32 v23, s73, v10
	v_cndmask_b32_e32 v10, v10, v23, vcc
	v_add_u32_e32 v23, 1, v13
	v_cmp_le_u32_e32 vcc, s73, v10
	v_mov_b32_e32 v24, v21
	s_nop 0
	v_cndmask_b32_e32 v10, v13, v23, vcc
	v_xor_b32_e32 v10, v10, v11
	v_sub_u32_e32 v10, v10, v11
	v_cmp_gt_i32_e32 vcc, s63, v10
	s_nop 1
	v_cndmask_b32_e32 v11, 0, v12, vcc
	v_and_b32_e32 v23, v11, v22
	v_ashrrev_i32_e32 v11, 31, v10
	v_lshl_add_u64 v[10:11], v[8:9], 0, v[10:11]
	v_mul_lo_u32 v12, v11, s65
	v_mul_lo_u32 v13, v10, s64
	v_mad_u64_u32 v[10:11], s[52:53], v10, s65, 0
	v_add3_u32 v11, v11, v13, v12
	v_lshl_add_u64 v[10:11], v[10:11], 1, s[2:3]
	s_mov_b64 s[52:53], s[50:51]
	s_branch .LBB90_25
.LBB90_24:                              ;   in Loop: Header=BB90_25 Depth=5
	s_or_b64 exec, exec, s[54:55]
	s_add_i32 s78, s78, -1
	s_add_u32 s52, s52, 2
	s_addc_u32 s53, s53, 0
	s_cmp_eq_u32 s78, 0
	v_subrev_u32_e32 v24, s18, v24
	s_cbranch_scc1 .LBB90_17
.LBB90_25:                              ;   Parent Loop BB90_3 Depth=1
                                        ;     Parent Loop BB90_6 Depth=2
                                        ;       Parent Loop BB90_9 Depth=3
                                        ;         Parent Loop BB90_18 Depth=4
                                        ; =>        This Inner Loop Header: Depth=5
	v_sub_u32_e32 v13, 0, v24
	v_cmp_lt_i32_e32 vcc, -1, v24
	s_mov_b64 s[54:55], 0
	v_ashrrev_i32_e32 v12, 31, v24
	v_max_i32_e32 v27, v24, v13
                                        ; implicit-def: $sgpr79
                                        ; implicit-def: $vgpr13
                                        ; implicit-def: $vgpr25
                                        ; implicit-def: $vgpr26
	s_and_saveexec_b64 s[56:57], vcc
	s_xor_b64 s[56:57], exec, s[56:57]
	s_cbranch_execnz .LBB90_31
; %bb.26:                               ;   in Loop: Header=BB90_25 Depth=5
	s_andn2_saveexec_b64 s[56:57], s[56:57]
	s_cbranch_execnz .LBB90_32
.LBB90_27:                              ;   in Loop: Header=BB90_25 Depth=5
	s_or_b64 exec, exec, s[56:57]
	v_mov_b32_e32 v27, s79
	s_and_saveexec_b64 s[56:57], s[54:55]
.LBB90_28:                              ;   in Loop: Header=BB90_25 Depth=5
	v_mov_b32_e32 v27, 0
.LBB90_29:                              ;   in Loop: Header=BB90_25 Depth=5
	s_or_b64 exec, exec, s[56:57]
	v_add_u32_e32 v28, 1, v13
	v_cmp_le_u32_e32 vcc, s74, v25
	v_xor_b32_e32 v12, s76, v12
	s_nop 0
	v_cndmask_b32_e32 v13, v13, v28, vcc
	v_cndmask_b32_e32 v25, v25, v26, vcc
	v_add_u32_e32 v26, 1, v13
	v_cmp_le_u32_e32 vcc, s74, v25
	s_nop 1
	v_cndmask_b32_e32 v13, v13, v26, vcc
	v_xor_b32_e32 v13, v13, v12
	v_sub_u32_e32 v12, v13, v12
	v_cmp_gt_i32_e32 vcc, s65, v12
	s_nop 1
	v_cndmask_b32_e32 v13, 0, v27, vcc
	v_and_b32_e32 v13, v23, v13
	v_cmp_ne_u32_e32 vcc, 0, v13
	s_and_saveexec_b64 s[54:55], vcc
	s_cbranch_execz .LBB90_24
; %bb.30:                               ;   in Loop: Header=BB90_25 Depth=5
	v_ashrrev_i32_e32 v13, 31, v12
	v_lshl_add_u64 v[12:13], v[12:13], 1, v[10:11]
	global_load_ushort v25, v19, s[52:53]
	s_nop 0
	global_load_ushort v12, v[12:13], off
	s_waitcnt vmcnt(1)
	v_lshlrev_b32_e32 v25, 16, v25
	s_waitcnt vmcnt(0)
	v_lshlrev_b32_e32 v12, 16, v12
	v_cvt_f64_f32_e32 v[12:13], v12
	v_cvt_f64_f32_e32 v[26:27], v25
	v_fmac_f64_e32 v[4:5], v[12:13], v[26:27]
	s_branch .LBB90_24
.LBB90_31:                              ;   in Loop: Header=BB90_25 Depth=5
	v_mul_hi_u32 v13, v27, v18
	v_mul_lo_u32 v25, v13, s74
	v_sub_u32_e32 v25, v27, v25
	v_subrev_u32_e32 v26, s74, v25
	v_cmp_le_u32_e32 vcc, s74, v25
	v_ashrrev_i32_e32 v12, 31, v24
	s_mov_b32 s79, 1
	v_cndmask_b32_e32 v27, v25, v26, vcc
	v_subrev_u32_e32 v28, s74, v27
	v_cmp_le_u32_e32 vcc, s74, v27
	s_nop 1
	v_cndmask_b32_e32 v27, v27, v28, vcc
	v_xor_b32_e32 v27, v27, v12
	v_sub_u32_e32 v27, v27, v12
	v_cmp_ne_u32_e32 vcc, 0, v27
	s_and_b64 s[54:55], vcc, exec
                                        ; implicit-def: $vgpr27
	s_andn2_saveexec_b64 s[56:57], s[56:57]
	s_cbranch_execz .LBB90_27
.LBB90_32:                              ;   in Loop: Header=BB90_25 Depth=5
	v_mul_hi_u32 v13, v27, v18
	v_mul_lo_u32 v25, v13, s74
	v_sub_u32_e32 v25, v27, v25
	v_subrev_u32_e32 v26, s74, v25
	s_or_b64 s[54:55], s[54:55], exec
	s_or_b64 exec, exec, s[56:57]
	v_mov_b32_e32 v27, s79
	s_and_saveexec_b64 s[56:57], s[54:55]
	s_cbranch_execnz .LBB90_28
	s_branch .LBB90_29
.LBB90_33:                              ;   in Loop: Header=BB90_3 Depth=1
	v_mov_b64_e32 v[4:5], 0
.LBB90_34:                              ;   in Loop: Header=BB90_3 Depth=1
	v_ashrrev_i32_e32 v7, 31, v6
	v_mad_i64_i32 v[6:7], s[44:45], v3, s33, v[6:7]
	v_ashrrev_i32_e32 v3, 31, v2
	v_mad_u64_u32 v[2:3], s[44:45], v6, s6, v[2:3]
	v_mul_lo_u32 v6, v6, s58
	v_mul_lo_u32 v7, v7, s6
	v_add3_u32 v3, v7, v3, v6
	s_mov_b64 s[44:45], -1
	s_and_b64 vcc, exec, s[42:43]
	v_lshl_add_u64 v[2:3], v[2:3], 1, s[0:1]
	s_cbranch_vccz .LBB90_36
; %bb.35:                               ;   in Loop: Header=BB90_3 Depth=1
	global_load_ushort v6, v[2:3], off
	s_waitcnt vmcnt(0)
	v_lshlrev_b32_e32 v6, 16, v6
	v_cvt_f64_f32_e32 v[6:7], v6
	v_mul_f64 v[6:7], v[6:7], s[26:27]
	v_fmac_f64_e32 v[6:7], s[24:25], v[4:5]
	v_cvt_f32_f64_e32 v6, v[6:7]
	v_and_b32_e32 v7, 0x7f800000, v6
	v_cmp_ne_u32_sdwa s[44:45], v6, v19 src0_sel:WORD_0 src1_sel:DWORD
	v_cmp_eq_u32_e32 vcc, s9, v7
	s_and_b64 s[44:45], vcc, s[44:45]
	v_cndmask_b32_e64 v7, 0, 1, s[44:45]
	v_or_b32_sdwa v6, v6, v7 dst_sel:DWORD dst_unused:UNUSED_PAD src0_sel:WORD_1 src1_sel:DWORD
	global_store_short v[2:3], v6, off
	s_mov_b64 s[44:45], 0
.LBB90_36:                              ;   in Loop: Header=BB90_3 Depth=1
	s_andn2_b64 vcc, exec, s[44:45]
	s_cbranch_vccnz .LBB90_2
; %bb.37:                               ;   in Loop: Header=BB90_3 Depth=1
	v_cvt_f32_f64_e32 v4, v[4:5]
	v_and_b32_e32 v5, 0x7f800000, v4
	v_cmp_eq_u32_e32 vcc, s9, v5
	v_cmp_ne_u32_sdwa s[44:45], v4, v19 src0_sel:WORD_0 src1_sel:DWORD
	s_and_b64 s[44:45], vcc, s[44:45]
	s_nop 0
	v_cndmask_b32_e64 v5, 0, 1, s[44:45]
	v_or_b32_sdwa v4, v4, v5 dst_sel:DWORD dst_unused:UNUSED_PAD src0_sel:WORD_1 src1_sel:DWORD
	global_store_short v[2:3], v4, off
	s_branch .LBB90_2
.LBB90_38:
	s_endpgm
	.section	.rodata,"a",@progbits
	.p2align	6, 0x0
	.amdhsa_kernel naive_conv_ab_packed_bwd_ncdhw_ushort_double_ushort_0
		.amdhsa_group_segment_fixed_size 0
		.amdhsa_private_segment_fixed_size 0
		.amdhsa_kernarg_size 528
		.amdhsa_user_sgpr_count 2
		.amdhsa_user_sgpr_dispatch_ptr 0
		.amdhsa_user_sgpr_queue_ptr 0
		.amdhsa_user_sgpr_kernarg_segment_ptr 1
		.amdhsa_user_sgpr_dispatch_id 0
		.amdhsa_user_sgpr_kernarg_preload_length 0
		.amdhsa_user_sgpr_kernarg_preload_offset 0
		.amdhsa_user_sgpr_private_segment_size 0
		.amdhsa_uses_dynamic_stack 0
		.amdhsa_enable_private_segment 0
		.amdhsa_system_sgpr_workgroup_id_x 1
		.amdhsa_system_sgpr_workgroup_id_y 0
		.amdhsa_system_sgpr_workgroup_id_z 0
		.amdhsa_system_sgpr_workgroup_info 0
		.amdhsa_system_vgpr_workitem_id 0
		.amdhsa_next_free_vgpr 29
		.amdhsa_next_free_sgpr 80
		.amdhsa_accum_offset 32
		.amdhsa_reserve_vcc 1
		.amdhsa_float_round_mode_32 0
		.amdhsa_float_round_mode_16_64 0
		.amdhsa_float_denorm_mode_32 3
		.amdhsa_float_denorm_mode_16_64 3
		.amdhsa_dx10_clamp 1
		.amdhsa_ieee_mode 1
		.amdhsa_fp16_overflow 0
		.amdhsa_tg_split 0
		.amdhsa_exception_fp_ieee_invalid_op 0
		.amdhsa_exception_fp_denorm_src 0
		.amdhsa_exception_fp_ieee_div_zero 0
		.amdhsa_exception_fp_ieee_overflow 0
		.amdhsa_exception_fp_ieee_underflow 0
		.amdhsa_exception_fp_ieee_inexact 0
		.amdhsa_exception_int_div_zero 0
	.end_amdhsa_kernel
	.text
.Lfunc_end90:
	.size	naive_conv_ab_packed_bwd_ncdhw_ushort_double_ushort_0, .Lfunc_end90-naive_conv_ab_packed_bwd_ncdhw_ushort_double_ushort_0
                                        ; -- End function
	.section	.AMDGPU.csdata,"",@progbits
; Kernel info:
; codeLenInByte = 2812
; NumSgprs: 86
; NumVgprs: 29
; NumAgprs: 0
; TotalNumVgprs: 29
; ScratchSize: 0
; MemoryBound: 0
; FloatMode: 240
; IeeeMode: 1
; LDSByteSize: 0 bytes/workgroup (compile time only)
; SGPRBlocks: 10
; VGPRBlocks: 3
; NumSGPRsForWavesPerEU: 86
; NumVGPRsForWavesPerEU: 29
; AccumOffset: 32
; Occupancy: 8
; WaveLimiterHint : 1
; COMPUTE_PGM_RSRC2:SCRATCH_EN: 0
; COMPUTE_PGM_RSRC2:USER_SGPR: 2
; COMPUTE_PGM_RSRC2:TRAP_HANDLER: 0
; COMPUTE_PGM_RSRC2:TGID_X_EN: 1
; COMPUTE_PGM_RSRC2:TGID_Y_EN: 0
; COMPUTE_PGM_RSRC2:TGID_Z_EN: 0
; COMPUTE_PGM_RSRC2:TIDIG_COMP_CNT: 0
; COMPUTE_PGM_RSRC3_GFX90A:ACCUM_OFFSET: 7
; COMPUTE_PGM_RSRC3_GFX90A:TG_SPLIT: 0
	.text
	.protected	naive_conv_ab_nonpacked_bwd_ncdhw_ushort_double_ushort_0 ; -- Begin function naive_conv_ab_nonpacked_bwd_ncdhw_ushort_double_ushort_0
	.globl	naive_conv_ab_nonpacked_bwd_ncdhw_ushort_double_ushort_0
	.p2align	8
	.type	naive_conv_ab_nonpacked_bwd_ncdhw_ushort_double_ushort_0,@function
naive_conv_ab_nonpacked_bwd_ncdhw_ushort_double_ushort_0: ; @naive_conv_ab_nonpacked_bwd_ncdhw_ushort_double_ushort_0
; %bb.0:
	s_load_dwordx16 s[4:19], s[0:1], 0xb8
	s_abs_i32 s3, s2
	s_waitcnt lgkmcnt(0)
	s_abs_i32 s20, s9
	v_cvt_f32_u32_e32 v1, s20
	s_sub_i32 s21, 0, s20
	s_mul_i32 s28, s9, s7
	s_mul_i32 s68, s6, s5
	v_rcp_iflag_f32_e32 v1, v1
	s_nop 0
	v_mul_f32_e32 v1, 0x4f7ffffe, v1
	v_cvt_u32_f32_e32 v1, v1
	s_nop 0
	v_readfirstlane_b32 s22, v1
	s_mul_i32 s21, s21, s22
	s_mul_hi_u32 s21, s22, s21
	s_add_i32 s22, s22, s21
	s_mul_hi_u32 s21, s3, s22
	s_mul_i32 s22, s21, s20
	s_sub_i32 s22, s3, s22
	s_add_i32 s23, s21, 1
	s_sub_i32 s24, s22, s20
	s_cmp_ge_u32 s22, s20
	s_cselect_b32 s21, s23, s21
	s_cselect_b32 s22, s24, s22
	s_add_i32 s23, s21, 1
	s_cmp_ge_u32 s22, s20
	s_cselect_b32 s29, s23, s21
	s_abs_i32 s56, s7
	s_abs_i32 s33, s28
	v_cvt_f32_u32_e32 v1, s56
	v_cvt_f32_u32_e32 v2, s33
	s_mul_i32 s7, s68, s4
	v_cmp_gt_i32_e32 vcc, s7, v0
	v_rcp_iflag_f32_e32 v1, v1
	v_rcp_iflag_f32_e32 v2, v2
	v_mul_f32_e32 v1, 0x4f7ffffe, v1
	v_mul_f32_e32 v2, 0x4f7ffffe, v2
	v_cvt_u32_f32_e32 v1, v1
	v_cvt_u32_f32_e32 v2, v2
	v_readfirstlane_b32 s30, v1
	v_readfirstlane_b32 s4, v2
	s_and_saveexec_b64 s[20:21], vcc
	s_cbranch_execz .LBB91_38
; %bb.1:
	s_ashr_i32 s57, s2, 31
	s_ashr_i32 s31, s9, 31
	s_xor_b32 s31, s57, s31
	s_xor_b32 s29, s29, s31
	s_sub_i32 s58, s29, s31
	s_sub_i32 s29, 0, s56
	s_mul_i32 s29, s29, s30
	s_mul_hi_u32 s29, s30, s29
	s_abs_i32 s60, s58
	s_add_i32 s30, s30, s29
	s_mul_hi_u32 s61, s60, s30
	s_ashr_i32 s62, s28, 31
	s_sub_i32 s28, 0, s33
	s_ashr_i32 s59, s58, 31
	s_mul_i32 s28, s28, s4
	s_mul_i32 s58, s58, s9
	;; [unrolled: 1-line block ×3, first 2 shown]
	s_mul_hi_u32 s28, s4, s28
	s_sub_i32 s69, s2, s58
	s_sub_i32 s2, s60, s61
	s_add_i32 s4, s4, s28
	s_sub_i32 s9, s2, s56
	s_cmp_ge_u32 s2, s56
	s_cselect_b32 s2, s9, s2
	s_sub_i32 s9, s2, s56
	s_mul_hi_u32 s4, s3, s4
	s_cmp_ge_u32 s2, s56
	s_cselect_b32 s2, s9, s2
	s_mul_i32 s56, s4, s33
	s_xor_b32 s2, s2, s59
	s_sub_i32 s3, s3, s56
	s_sub_i32 s9, s2, s59
	s_xor_b32 s2, s57, s62
	s_add_i32 s56, s4, 1
	s_sub_i32 s57, s3, s33
	s_cmp_ge_u32 s3, s33
	s_cselect_b32 s4, s56, s4
	s_cselect_b32 s3, s57, s3
	s_add_i32 s56, s4, 1
	s_load_dwordx8 s[20:27], s[0:1], 0x0
	s_load_dwordx2 s[34:35], s[0:1], 0x20
	s_load_dwordx16 s[36:51], s[0:1], 0x28
	s_load_dwordx4 s[28:31], s[0:1], 0xf8
	s_load_dwordx4 s[52:55], s[0:1], 0xa8
	s_cmp_ge_u32 s3, s33
	s_cselect_b32 s3, s56, s4
	s_xor_b32 s3, s3, s2
	s_ashr_i32 s33, s9, 31
	s_sub_i32 s4, s3, s2
	s_waitcnt lgkmcnt(0)
	s_mul_i32 s2, s46, s33
	s_mul_hi_u32 s3, s46, s9
	s_add_i32 s2, s3, s2
	s_mul_i32 s3, s47, s9
	s_ashr_i32 s70, s4, 31
	s_add_i32 s3, s2, s3
	s_mul_i32 s2, s46, s9
	s_mul_i32 s46, s44, s70
	s_mul_hi_u32 s47, s44, s4
	s_add_i32 s46, s47, s46
	s_mul_i32 s45, s45, s4
	s_ashr_i32 s71, s69, 31
	s_add_i32 s45, s46, s45
	s_mul_i32 s46, s42, s71
	s_mul_hi_u32 s47, s42, s69
	s_add_i32 s46, s47, s46
	s_mul_i32 s43, s43, s69
	s_add_i32 s43, s46, s43
	s_lshl_b64 s[2:3], s[2:3], 1
	s_mul_i32 s44, s44, s4
	s_add_u32 s20, s20, s2
	s_addc_u32 s21, s21, s3
	s_lshl_b64 s[2:3], s[44:45], 1
	s_mul_i32 s42, s42, s69
	s_add_u32 s20, s20, s2
	s_addc_u32 s21, s21, s3
	s_lshl_b64 s[2:3], s[42:43], 1
	s_add_u32 s2, s20, s2
	s_addc_u32 s3, s21, s3
	s_mul_i32 s20, s54, s33
	s_mul_hi_u32 s21, s54, s9
	s_add_i32 s20, s21, s20
	s_mul_i32 s21, s55, s9
	s_add_i32 s21, s20, s21
	s_mul_i32 s20, s54, s9
	s_mul_i32 s9, s52, s70
	s_mul_hi_u32 s33, s52, s4
	s_add_i32 s9, s33, s9
	s_mul_i32 s33, s53, s4
	s_add_i32 s43, s9, s33
	s_lshl_b64 s[20:21], s[20:21], 1
	s_mul_i32 s42, s52, s4
	s_add_u32 s9, s34, s20
	s_addc_u32 s33, s35, s21
	s_lshl_b64 s[20:21], s[42:43], 1
	s_add_u32 s9, s9, s20
	s_load_dword s74, s[0:1], 0x108
	s_load_dword s72, s[0:1], 0x11c
	s_addc_u32 s33, s33, s21
	s_cmp_gt_i32 s8, 0
	s_cselect_b64 s[20:21], -1, 0
	s_cmp_gt_i32 s30, 0
	s_cselect_b64 s[34:35], -1, 0
	;; [unrolled: 2-line block ×3, first 2 shown]
	s_waitcnt lgkmcnt(0)
	s_cmp_gt_i32 s74, 0
	s_cselect_b64 s[44:45], -1, 0
	s_abs_i32 s83, s14
	v_cvt_f32_u32_e32 v8, s83
	s_abs_i32 s79, s6
	s_abs_i32 s80, s5
	v_cvt_f32_u32_e32 v1, s79
	v_rcp_iflag_f32_e32 v8, v8
	s_abs_i32 s77, s68
	v_cvt_f32_u32_e32 v3, s80
	v_cmp_neq_f64_e64 s[46:47], s[24:25], 1.0
	v_cmp_neq_f64_e64 s[52:53], s[26:27], 0
	s_ashr_i32 s81, s13, 31
	s_abs_i32 s13, s13
	v_cvt_f32_u32_e32 v5, s77
	s_or_b64 s[46:47], s[46:47], s[52:53]
	s_load_dwordx16 s[52:67], s[0:1], 0x68
	v_cvt_f32_u32_e32 v7, s13
	s_abs_i32 s85, s15
	v_rcp_iflag_f32_e32 v1, v1
	v_mul_f32_e32 v8, 0x4f7ffffe, v8
	v_rcp_iflag_f32_e32 v3, v3
	v_cvt_u32_f32_e32 v11, v8
	v_cvt_f32_u32_e32 v8, s85
	v_rcp_iflag_f32_e32 v5, v5
	v_rcp_iflag_f32_e32 v7, v7
	s_waitcnt lgkmcnt(0)
	s_mul_i32 s0, s54, s71
	s_mul_hi_u32 s1, s54, s69
	v_mul_f32_e32 v1, 0x4f7ffffe, v1
	s_add_i32 s0, s1, s0
	s_mul_i32 s1, s55, s69
	v_cvt_u32_f32_e32 v1, v1
	v_mul_f32_e32 v3, 0x4f7ffffe, v3
	v_rcp_iflag_f32_e32 v8, v8
	s_add_i32 s1, s0, s1
	s_mul_i32 s0, s54, s69
	s_mul_i32 s54, s58, s70
	s_mul_hi_u32 s55, s58, s4
	v_cvt_u32_f32_e32 v3, v3
	v_mul_f32_e32 v5, 0x4f7ffffe, v5
	s_add_i32 s54, s55, s54
	s_mul_i32 s55, s59, s4
	v_cvt_u32_f32_e32 v5, v5
	v_mul_f32_e32 v7, 0x4f7ffffe, v7
	s_add_i32 s55, s54, s55
	s_mul_i32 s54, s58, s4
	s_sub_i32 s4, 0, s79
	v_cvt_u32_f32_e32 v7, v7
	s_sub_i32 s5, 0, s80
	v_mul_lo_u32 v2, s4, v1
	v_mul_f32_e32 v8, 0x4f7ffffe, v8
	s_sub_i32 s58, 0, s77
	v_mul_lo_u32 v4, s5, v3
	v_cvt_u32_f32_e32 v13, v8
	v_mul_hi_u32 v2, v1, v2
	s_sub_i32 s59, 0, s13
	v_mul_lo_u32 v6, s58, v5
	v_add_u32_e32 v1, v1, v2
	v_mul_hi_u32 v2, v3, v4
	s_and_b32 s75, s72, 0xffff
	s_ashr_i32 s76, s68, 31
	s_lshl_b64 s[0:1], s[0:1], 1
	s_lshl_b64 s[54:55], s[54:55], 1
	s_ashr_i32 s78, s6, 31
	s_ashr_i32 s82, s14, 31
	s_sub_i32 s14, 0, s83
	s_ashr_i32 s84, s15, 31
	s_sub_i32 s15, 0, s85
	v_mul_lo_u32 v10, s59, v7
	v_add_u32_e32 v8, v3, v2
	v_mul_hi_u32 v2, v5, v6
	s_add_u32 s0, s0, s54
	v_mul_lo_u32 v12, s14, v11
	v_add_u32_e32 v9, v5, v2
	v_mul_hi_u32 v2, v7, v10
	s_addc_u32 s1, s1, s55
	v_mul_lo_u32 v14, s15, v13
	v_add_u32_e32 v10, v7, v2
	v_mul_hi_u32 v2, v11, v12
	s_add_u32 s0, s22, s0
	v_add_u32_e32 v11, v11, v2
	v_mul_hi_u32 v2, v13, v14
	s_addc_u32 s1, s23, s1
	v_add_u32_e32 v12, v13, v2
	v_mov_b32_e32 v13, 0
	s_mov_b32 s86, 0x7f800000
	s_mov_b64 s[4:5], 0
	s_lshl_b64 s[14:15], s[56:57], 1
	s_lshl_b64 s[22:23], s[52:53], 1
	;; [unrolled: 1-line block ×4, first 2 shown]
	s_branch .LBB91_3
.LBB91_2:                               ;   in Loop: Header=BB91_3 Depth=1
	v_add_u32_e32 v0, s75, v0
	v_cmp_le_i32_e32 vcc, s7, v0
	s_or_b64 s[4:5], vcc, s[4:5]
	s_andn2_b64 exec, exec, s[4:5]
	s_cbranch_execz .LBB91_38
.LBB91_3:                               ; =>This Loop Header: Depth=1
                                        ;     Child Loop BB91_6 Depth 2
                                        ;       Child Loop BB91_9 Depth 3
                                        ;         Child Loop BB91_18 Depth 4
                                        ;           Child Loop BB91_25 Depth 5
	v_sub_u32_e32 v4, 0, v0
	v_max_i32_e32 v4, v0, v4
	v_mul_hi_u32 v5, v4, v1
	v_mul_lo_u32 v6, v5, s79
	v_sub_u32_e32 v6, v4, v6
	v_add_u32_e32 v7, 1, v5
	v_cmp_le_u32_e32 vcc, s79, v6
	v_ashrrev_i32_e32 v2, 31, v0
	v_xor_b32_e32 v3, s78, v2
	v_cndmask_b32_e32 v5, v5, v7, vcc
	v_subrev_u32_e32 v7, s79, v6
	v_cndmask_b32_e32 v6, v6, v7, vcc
	v_add_u32_e32 v7, 1, v5
	v_cmp_le_u32_e32 vcc, s79, v6
	v_xor_b32_e32 v2, s76, v2
	s_nop 0
	v_cndmask_b32_e32 v5, v5, v7, vcc
	v_xor_b32_e32 v5, v5, v3
	v_sub_u32_e32 v3, v5, v3
	v_mul_lo_u32 v5, v3, s6
	v_sub_u32_e32 v6, 0, v3
	v_sub_u32_e32 v14, v0, v5
	v_ashrrev_i32_e32 v5, 31, v3
	v_max_i32_e32 v3, v3, v6
	v_mul_hi_u32 v6, v3, v8
	v_mul_lo_u32 v6, v6, s80
	v_sub_u32_e32 v3, v3, v6
	v_subrev_u32_e32 v6, s80, v3
	v_cmp_le_u32_e32 vcc, s80, v3
	s_nop 1
	v_cndmask_b32_e32 v3, v3, v6, vcc
	v_subrev_u32_e32 v6, s80, v3
	v_cmp_le_u32_e32 vcc, s80, v3
	s_nop 1
	v_cndmask_b32_e32 v3, v3, v6, vcc
	v_xor_b32_e32 v3, v3, v5
	v_sub_u32_e32 v15, v3, v5
	v_mul_hi_u32 v3, v4, v9
	v_mul_lo_u32 v5, v3, s77
	v_sub_u32_e32 v4, v4, v5
	v_add_u32_e32 v5, 1, v3
	v_cmp_le_u32_e32 vcc, s77, v4
	s_nop 1
	v_cndmask_b32_e32 v3, v3, v5, vcc
	v_subrev_u32_e32 v5, s77, v4
	v_cndmask_b32_e32 v4, v4, v5, vcc
	v_add_u32_e32 v5, 1, v3
	v_cmp_le_u32_e32 vcc, s77, v4
	s_nop 1
	v_cndmask_b32_e32 v3, v3, v5, vcc
	v_xor_b32_e32 v3, v3, v2
	s_andn2_b64 vcc, exec, s[20:21]
	v_sub_u32_e32 v16, v3, v2
	s_cbranch_vccnz .LBB91_33
; %bb.4:                                ;   in Loop: Header=BB91_3 Depth=1
	v_add_u32_e32 v17, s19, v16
	v_add_u32_e32 v18, s28, v15
	;; [unrolled: 1-line block ×3, first 2 shown]
	s_mov_b32 s87, 0
	v_mov_b64_e32 v[2:3], 0
	s_mov_b64 s[52:53], s[0:1]
	s_branch .LBB91_6
.LBB91_5:                               ;   in Loop: Header=BB91_6 Depth=2
	s_add_i32 s87, s87, 1
	s_add_u32 s52, s52, s14
	s_addc_u32 s53, s53, s15
	s_cmp_eq_u32 s87, s8
	s_cbranch_scc1 .LBB91_34
.LBB91_6:                               ;   Parent Loop BB91_3 Depth=1
                                        ; =>  This Loop Header: Depth=2
                                        ;       Child Loop BB91_9 Depth 3
                                        ;         Child Loop BB91_18 Depth 4
                                        ;           Child Loop BB91_25 Depth 5
	s_andn2_b64 vcc, exec, s[34:35]
	s_cbranch_vccnz .LBB91_5
; %bb.7:                                ;   in Loop: Header=BB91_6 Depth=2
	s_mul_i32 s54, s67, s87
	s_mul_hi_u32 s55, s66, s87
	s_add_i32 s55, s55, s54
	s_mul_i32 s54, s66, s87
	s_lshl_b64 s[54:55], s[54:55], 1
	s_add_u32 s54, s9, s54
	s_addc_u32 s55, s33, s55
	s_mov_b32 s88, 0
	s_mov_b64 s[56:57], s[52:53]
	s_branch .LBB91_9
.LBB91_8:                               ;   in Loop: Header=BB91_9 Depth=3
	s_add_i32 s88, s88, 1
	s_add_u32 s56, s56, s22
	s_addc_u32 s57, s57, s23
	s_cmp_eq_u32 s88, s30
	s_cbranch_scc1 .LBB91_5
.LBB91_9:                               ;   Parent Loop BB91_3 Depth=1
                                        ;     Parent Loop BB91_6 Depth=2
                                        ; =>    This Loop Header: Depth=3
                                        ;         Child Loop BB91_18 Depth 4
                                        ;           Child Loop BB91_25 Depth 5
	s_mul_i32 s58, s88, s16
	v_subrev_u32_e32 v21, s58, v17
	v_sub_u32_e32 v5, 0, v21
	v_cmp_lt_i32_e32 vcc, -1, v21
	s_mov_b64 s[58:59], 0
	v_ashrrev_i32_e32 v4, 31, v21
	v_max_i32_e32 v20, v21, v5
                                        ; implicit-def: $sgpr70
                                        ; implicit-def: $vgpr5
                                        ; implicit-def: $vgpr6
                                        ; implicit-def: $vgpr7
	s_and_saveexec_b64 s[68:69], vcc
	s_xor_b64 s[68:69], exec, s[68:69]
	s_cbranch_execnz .LBB91_13
; %bb.10:                               ;   in Loop: Header=BB91_9 Depth=3
	s_andn2_saveexec_b64 s[68:69], s[68:69]
	s_cbranch_execnz .LBB91_14
.LBB91_11:                              ;   in Loop: Header=BB91_9 Depth=3
	s_or_b64 exec, exec, s[68:69]
	v_mov_b32_e32 v20, s70
	s_and_saveexec_b64 s[68:69], s[58:59]
	s_cbranch_execnz .LBB91_15
.LBB91_12:                              ;   in Loop: Header=BB91_9 Depth=3
	s_or_b64 exec, exec, s[68:69]
	s_andn2_b64 vcc, exec, s[42:43]
	s_cbranch_vccz .LBB91_16
	s_branch .LBB91_8
.LBB91_13:                              ;   in Loop: Header=BB91_9 Depth=3
	v_mul_hi_u32 v5, v20, v10
	v_mul_lo_u32 v6, v5, s13
	v_sub_u32_e32 v6, v20, v6
	v_subrev_u32_e32 v7, s13, v6
	v_cmp_le_u32_e32 vcc, s13, v6
	v_ashrrev_i32_e32 v4, 31, v21
	s_mov_b32 s70, 1
	v_cndmask_b32_e32 v20, v6, v7, vcc
	v_subrev_u32_e32 v21, s13, v20
	v_cmp_le_u32_e32 vcc, s13, v20
	s_nop 1
	v_cndmask_b32_e32 v20, v20, v21, vcc
	v_xor_b32_e32 v20, v20, v4
	v_sub_u32_e32 v20, v20, v4
	v_cmp_ne_u32_e32 vcc, 0, v20
	s_and_b64 s[58:59], vcc, exec
                                        ; implicit-def: $vgpr20
	s_andn2_saveexec_b64 s[68:69], s[68:69]
	s_cbranch_execz .LBB91_11
.LBB91_14:                              ;   in Loop: Header=BB91_9 Depth=3
	v_mul_hi_u32 v5, v20, v10
	v_mul_lo_u32 v6, v5, s13
	v_sub_u32_e32 v6, v20, v6
	v_subrev_u32_e32 v7, s13, v6
	s_or_b64 s[58:59], s[58:59], exec
	s_or_b64 exec, exec, s[68:69]
	v_mov_b32_e32 v20, s70
	s_and_saveexec_b64 s[68:69], s[58:59]
	s_cbranch_execz .LBB91_12
.LBB91_15:                              ;   in Loop: Header=BB91_9 Depth=3
	v_mov_b32_e32 v20, 0
	s_or_b64 exec, exec, s[68:69]
	s_andn2_b64 vcc, exec, s[42:43]
	s_cbranch_vccnz .LBB91_8
.LBB91_16:                              ;   in Loop: Header=BB91_9 Depth=3
	v_add_u32_e32 v21, 1, v5
	v_cmp_le_u32_e32 vcc, s13, v6
	v_xor_b32_e32 v4, s81, v4
	s_mov_b32 s89, 0
	v_cndmask_b32_e32 v5, v5, v21, vcc
	v_cndmask_b32_e32 v6, v6, v7, vcc
	v_add_u32_e32 v7, 1, v5
	v_cmp_le_u32_e32 vcc, s13, v6
	s_nop 1
	v_cndmask_b32_e32 v5, v5, v7, vcc
	v_xor_b32_e32 v5, v5, v4
	v_sub_u32_e32 v4, v5, v4
	v_ashrrev_i32_e32 v5, 31, v4
	v_cmp_gt_i32_e32 vcc, s10, v4
	v_mul_lo_u32 v6, s64, v5
	v_mul_lo_u32 v7, s65, v4
	v_mad_u64_u32 v[4:5], s[58:59], s64, v4, 0
	v_add3_u32 v5, v5, v6, v7
	v_cndmask_b32_e32 v20, 0, v20, vcc
	v_lshl_add_u64 v[4:5], v[4:5], 1, s[54:55]
	s_mov_b64 s[58:59], s[56:57]
	s_branch .LBB91_18
.LBB91_17:                              ;   in Loop: Header=BB91_18 Depth=4
	s_add_i32 s89, s89, 1
	s_add_u32 s58, s58, s50
	s_addc_u32 s59, s59, s51
	s_cmp_eq_u32 s89, s31
	s_cbranch_scc1 .LBB91_8
.LBB91_18:                              ;   Parent Loop BB91_3 Depth=1
                                        ;     Parent Loop BB91_6 Depth=2
                                        ;       Parent Loop BB91_9 Depth=3
                                        ; =>      This Loop Header: Depth=4
                                        ;           Child Loop BB91_25 Depth 5
	s_mul_i32 s68, s89, s17
	v_subrev_u32_e32 v6, s68, v18
	v_sub_u32_e32 v21, 0, v6
	v_cmp_gt_i32_e64 s[68:69], 0, v6
	v_cmp_lt_i32_e32 vcc, -1, v6
	v_ashrrev_i32_e32 v7, 31, v6
	v_max_i32_e32 v6, v6, v21
                                        ; implicit-def: $sgpr72
	s_and_saveexec_b64 s[70:71], vcc
	s_cbranch_execnz .LBB91_21
; %bb.19:                               ;   in Loop: Header=BB91_18 Depth=4
	s_or_b64 exec, exec, s[70:71]
	v_mov_b32_e32 v21, s72
	s_and_saveexec_b64 s[70:71], s[68:69]
	s_cbranch_execnz .LBB91_22
.LBB91_20:                              ;   in Loop: Header=BB91_18 Depth=4
	s_or_b64 exec, exec, s[70:71]
	s_andn2_b64 vcc, exec, s[44:45]
	s_cbranch_vccz .LBB91_23
	s_branch .LBB91_17
.LBB91_21:                              ;   in Loop: Header=BB91_18 Depth=4
	v_mul_hi_u32 v21, v6, v11
	v_mul_lo_u32 v21, v21, s83
	v_sub_u32_e32 v21, v6, v21
	v_subrev_u32_e32 v22, s83, v21
	v_cmp_le_u32_e32 vcc, s83, v21
	s_andn2_b64 s[68:69], s[68:69], exec
	s_mov_b32 s72, 1
	v_cndmask_b32_e32 v21, v21, v22, vcc
	v_subrev_u32_e32 v22, s83, v21
	v_cmp_le_u32_e32 vcc, s83, v21
	s_nop 1
	v_cndmask_b32_e32 v21, v21, v22, vcc
	v_xor_b32_e32 v21, v21, v7
	v_sub_u32_e32 v21, v21, v7
	v_cmp_ne_u32_e32 vcc, 0, v21
	s_and_b64 s[90:91], vcc, exec
	s_or_b64 s[68:69], s[68:69], s[90:91]
	s_or_b64 exec, exec, s[70:71]
	v_mov_b32_e32 v21, s72
	s_and_saveexec_b64 s[70:71], s[68:69]
	s_cbranch_execz .LBB91_20
.LBB91_22:                              ;   in Loop: Header=BB91_18 Depth=4
	v_mov_b32_e32 v21, 0
	s_or_b64 exec, exec, s[70:71]
	s_andn2_b64 vcc, exec, s[44:45]
	s_cbranch_vccnz .LBB91_17
.LBB91_23:                              ;   in Loop: Header=BB91_18 Depth=4
	v_mul_hi_u32 v22, v6, v11
	v_mul_lo_u32 v23, v22, s83
	v_sub_u32_e32 v6, v6, v23
	v_add_u32_e32 v23, 1, v22
	v_cmp_le_u32_e32 vcc, s83, v6
	v_xor_b32_e32 v7, s82, v7
	s_mov_b32 s90, s74
	v_cndmask_b32_e32 v22, v22, v23, vcc
	v_subrev_u32_e32 v23, s83, v6
	v_cndmask_b32_e32 v6, v6, v23, vcc
	v_add_u32_e32 v23, 1, v22
	v_cmp_le_u32_e32 vcc, s83, v6
	s_nop 1
	v_cndmask_b32_e32 v6, v22, v23, vcc
	v_xor_b32_e32 v6, v6, v7
	v_sub_u32_e32 v6, v6, v7
	v_cmp_gt_i32_e32 vcc, s11, v6
	v_mul_lo_u32 v23, s63, v6
	s_nop 0
	v_cndmask_b32_e32 v7, 0, v21, vcc
	v_and_b32_e32 v21, v7, v20
	v_ashrrev_i32_e32 v7, 31, v6
	v_mul_lo_u32 v22, s62, v7
	v_mad_u64_u32 v[6:7], s[68:69], s62, v6, 0
	v_add3_u32 v7, v7, v22, v23
	v_lshl_add_u64 v[6:7], v[6:7], 1, v[4:5]
	s_mov_b64 s[68:69], s[58:59]
	v_mov_b32_e32 v22, v19
	s_branch .LBB91_25
.LBB91_24:                              ;   in Loop: Header=BB91_25 Depth=5
	s_or_b64 exec, exec, s[70:71]
	s_add_i32 s90, s90, -1
	s_add_u32 s68, s68, s48
	s_addc_u32 s69, s69, s49
	s_cmp_eq_u32 s90, 0
	v_subrev_u32_e32 v22, s18, v22
	s_cbranch_scc1 .LBB91_17
.LBB91_25:                              ;   Parent Loop BB91_3 Depth=1
                                        ;     Parent Loop BB91_6 Depth=2
                                        ;       Parent Loop BB91_9 Depth=3
                                        ;         Parent Loop BB91_18 Depth=4
                                        ; =>        This Inner Loop Header: Depth=5
	v_sub_u32_e32 v24, 0, v22
	v_cmp_lt_i32_e32 vcc, -1, v22
	s_mov_b64 s[70:71], 0
	v_ashrrev_i32_e32 v23, 31, v22
	v_max_i32_e32 v27, v22, v24
                                        ; implicit-def: $sgpr91
                                        ; implicit-def: $vgpr24
                                        ; implicit-def: $vgpr25
                                        ; implicit-def: $vgpr26
	s_and_saveexec_b64 s[72:73], vcc
	s_xor_b64 s[72:73], exec, s[72:73]
	s_cbranch_execnz .LBB91_31
; %bb.26:                               ;   in Loop: Header=BB91_25 Depth=5
	s_andn2_saveexec_b64 s[72:73], s[72:73]
	s_cbranch_execnz .LBB91_32
.LBB91_27:                              ;   in Loop: Header=BB91_25 Depth=5
	s_or_b64 exec, exec, s[72:73]
	v_mov_b32_e32 v27, s91
	s_and_saveexec_b64 s[72:73], s[70:71]
.LBB91_28:                              ;   in Loop: Header=BB91_25 Depth=5
	v_mov_b32_e32 v27, 0
.LBB91_29:                              ;   in Loop: Header=BB91_25 Depth=5
	s_or_b64 exec, exec, s[72:73]
	v_add_u32_e32 v28, 1, v24
	v_cmp_le_u32_e32 vcc, s85, v25
	v_xor_b32_e32 v23, s84, v23
	s_nop 0
	v_cndmask_b32_e32 v24, v24, v28, vcc
	v_cndmask_b32_e32 v25, v25, v26, vcc
	v_add_u32_e32 v26, 1, v24
	v_cmp_le_u32_e32 vcc, s85, v25
	s_nop 1
	v_cndmask_b32_e32 v24, v24, v26, vcc
	v_xor_b32_e32 v24, v24, v23
	v_sub_u32_e32 v23, v24, v23
	v_cmp_gt_i32_e32 vcc, s12, v23
	s_nop 1
	v_cndmask_b32_e32 v24, 0, v27, vcc
	v_and_b32_e32 v24, v21, v24
	v_cmp_ne_u32_e32 vcc, 0, v24
	s_and_saveexec_b64 s[70:71], vcc
	s_cbranch_execz .LBB91_24
; %bb.30:                               ;   in Loop: Header=BB91_25 Depth=5
	v_ashrrev_i32_e32 v24, 31, v23
	v_mul_lo_u32 v26, s61, v23
	v_mul_lo_u32 v27, s60, v24
	v_mad_u64_u32 v[24:25], s[72:73], s60, v23, 0
	v_add3_u32 v25, v25, v27, v26
	v_lshl_add_u64 v[24:25], v[24:25], 1, v[6:7]
	global_load_ushort v23, v13, s[68:69]
	s_nop 0
	global_load_ushort v24, v[24:25], off
	s_waitcnt vmcnt(1)
	v_lshlrev_b32_e32 v23, 16, v23
	s_waitcnt vmcnt(0)
	v_lshlrev_b32_e32 v24, 16, v24
	v_cvt_f64_f32_e32 v[24:25], v24
	v_cvt_f64_f32_e32 v[26:27], v23
	v_fmac_f64_e32 v[2:3], v[24:25], v[26:27]
	s_branch .LBB91_24
.LBB91_31:                              ;   in Loop: Header=BB91_25 Depth=5
	v_mul_hi_u32 v24, v27, v12
	v_mul_lo_u32 v25, v24, s85
	v_sub_u32_e32 v25, v27, v25
	v_subrev_u32_e32 v26, s85, v25
	v_cmp_le_u32_e32 vcc, s85, v25
	v_ashrrev_i32_e32 v23, 31, v22
	s_mov_b32 s91, 1
	v_cndmask_b32_e32 v27, v25, v26, vcc
	v_subrev_u32_e32 v28, s85, v27
	v_cmp_le_u32_e32 vcc, s85, v27
	s_nop 1
	v_cndmask_b32_e32 v27, v27, v28, vcc
	v_xor_b32_e32 v27, v27, v23
	v_sub_u32_e32 v27, v27, v23
	v_cmp_ne_u32_e32 vcc, 0, v27
	s_and_b64 s[70:71], vcc, exec
                                        ; implicit-def: $vgpr27
	s_andn2_saveexec_b64 s[72:73], s[72:73]
	s_cbranch_execz .LBB91_27
.LBB91_32:                              ;   in Loop: Header=BB91_25 Depth=5
	v_mul_hi_u32 v24, v27, v12
	v_mul_lo_u32 v25, v24, s85
	v_sub_u32_e32 v25, v27, v25
	v_subrev_u32_e32 v26, s85, v25
	s_or_b64 s[70:71], s[70:71], exec
	s_or_b64 exec, exec, s[72:73]
	v_mov_b32_e32 v27, s91
	s_and_saveexec_b64 s[72:73], s[70:71]
	s_cbranch_execnz .LBB91_28
	s_branch .LBB91_29
.LBB91_33:                              ;   in Loop: Header=BB91_3 Depth=1
	v_mov_b64_e32 v[2:3], 0
.LBB91_34:                              ;   in Loop: Header=BB91_3 Depth=1
	v_ashrrev_i32_e32 v4, 31, v14
	v_mul_lo_u32 v17, s37, v14
	v_mul_lo_u32 v18, s36, v4
	v_mad_u64_u32 v[4:5], s[52:53], s36, v14, 0
	v_ashrrev_i32_e32 v7, 31, v15
	v_add3_u32 v5, v5, v18, v17
	v_mad_u64_u32 v[4:5], s[52:53], s38, v15, v[4:5]
	v_mul_lo_u32 v14, s39, v15
	v_mul_lo_u32 v7, s38, v7
	v_ashrrev_i32_e32 v6, 31, v16
	v_add3_u32 v5, v14, v5, v7
	v_mad_u64_u32 v[4:5], s[52:53], s40, v16, v[4:5]
	v_mul_lo_u32 v7, s41, v16
	v_mul_lo_u32 v6, s40, v6
	v_add3_u32 v5, v7, v5, v6
	s_mov_b64 s[52:53], -1
	s_and_b64 vcc, exec, s[46:47]
	v_lshl_add_u64 v[4:5], v[4:5], 1, s[2:3]
	s_cbranch_vccz .LBB91_36
; %bb.35:                               ;   in Loop: Header=BB91_3 Depth=1
	global_load_ushort v6, v[4:5], off
	s_waitcnt vmcnt(0)
	v_lshlrev_b32_e32 v6, 16, v6
	v_cvt_f64_f32_e32 v[6:7], v6
	v_mul_f64 v[6:7], v[6:7], s[26:27]
	v_fmac_f64_e32 v[6:7], s[24:25], v[2:3]
	v_cvt_f32_f64_e32 v6, v[6:7]
	v_and_b32_e32 v7, 0x7f800000, v6
	v_cmp_ne_u32_sdwa s[52:53], v6, v13 src0_sel:WORD_0 src1_sel:DWORD
	v_cmp_eq_u32_e32 vcc, s86, v7
	s_and_b64 s[52:53], vcc, s[52:53]
	v_cndmask_b32_e64 v7, 0, 1, s[52:53]
	v_or_b32_sdwa v6, v6, v7 dst_sel:DWORD dst_unused:UNUSED_PAD src0_sel:WORD_1 src1_sel:DWORD
	global_store_short v[4:5], v6, off
	s_mov_b64 s[52:53], 0
.LBB91_36:                              ;   in Loop: Header=BB91_3 Depth=1
	s_andn2_b64 vcc, exec, s[52:53]
	s_cbranch_vccnz .LBB91_2
; %bb.37:                               ;   in Loop: Header=BB91_3 Depth=1
	v_cvt_f32_f64_e32 v2, v[2:3]
	v_and_b32_e32 v3, 0x7f800000, v2
	v_cmp_eq_u32_e32 vcc, s86, v3
	v_cmp_ne_u32_sdwa s[52:53], v2, v13 src0_sel:WORD_0 src1_sel:DWORD
	s_and_b64 s[52:53], vcc, s[52:53]
	s_nop 0
	v_cndmask_b32_e64 v3, 0, 1, s[52:53]
	v_or_b32_sdwa v2, v2, v3 dst_sel:DWORD dst_unused:UNUSED_PAD src0_sel:WORD_1 src1_sel:DWORD
	global_store_short v[4:5], v2, off
	s_branch .LBB91_2
.LBB91_38:
	s_endpgm
	.section	.rodata,"a",@progbits
	.p2align	6, 0x0
	.amdhsa_kernel naive_conv_ab_nonpacked_bwd_ncdhw_ushort_double_ushort_0
		.amdhsa_group_segment_fixed_size 0
		.amdhsa_private_segment_fixed_size 0
		.amdhsa_kernarg_size 528
		.amdhsa_user_sgpr_count 2
		.amdhsa_user_sgpr_dispatch_ptr 0
		.amdhsa_user_sgpr_queue_ptr 0
		.amdhsa_user_sgpr_kernarg_segment_ptr 1
		.amdhsa_user_sgpr_dispatch_id 0
		.amdhsa_user_sgpr_kernarg_preload_length 0
		.amdhsa_user_sgpr_kernarg_preload_offset 0
		.amdhsa_user_sgpr_private_segment_size 0
		.amdhsa_uses_dynamic_stack 0
		.amdhsa_enable_private_segment 0
		.amdhsa_system_sgpr_workgroup_id_x 1
		.amdhsa_system_sgpr_workgroup_id_y 0
		.amdhsa_system_sgpr_workgroup_id_z 0
		.amdhsa_system_sgpr_workgroup_info 0
		.amdhsa_system_vgpr_workitem_id 0
		.amdhsa_next_free_vgpr 29
		.amdhsa_next_free_sgpr 92
		.amdhsa_accum_offset 32
		.amdhsa_reserve_vcc 1
		.amdhsa_float_round_mode_32 0
		.amdhsa_float_round_mode_16_64 0
		.amdhsa_float_denorm_mode_32 3
		.amdhsa_float_denorm_mode_16_64 3
		.amdhsa_dx10_clamp 1
		.amdhsa_ieee_mode 1
		.amdhsa_fp16_overflow 0
		.amdhsa_tg_split 0
		.amdhsa_exception_fp_ieee_invalid_op 0
		.amdhsa_exception_fp_denorm_src 0
		.amdhsa_exception_fp_ieee_div_zero 0
		.amdhsa_exception_fp_ieee_overflow 0
		.amdhsa_exception_fp_ieee_underflow 0
		.amdhsa_exception_fp_ieee_inexact 0
		.amdhsa_exception_int_div_zero 0
	.end_amdhsa_kernel
	.text
.Lfunc_end91:
	.size	naive_conv_ab_nonpacked_bwd_ncdhw_ushort_double_ushort_0, .Lfunc_end91-naive_conv_ab_nonpacked_bwd_ncdhw_ushort_double_ushort_0
                                        ; -- End function
	.section	.AMDGPU.csdata,"",@progbits
; Kernel info:
; codeLenInByte = 2840
; NumSgprs: 98
; NumVgprs: 29
; NumAgprs: 0
; TotalNumVgprs: 29
; ScratchSize: 0
; MemoryBound: 0
; FloatMode: 240
; IeeeMode: 1
; LDSByteSize: 0 bytes/workgroup (compile time only)
; SGPRBlocks: 12
; VGPRBlocks: 3
; NumSGPRsForWavesPerEU: 98
; NumVGPRsForWavesPerEU: 29
; AccumOffset: 32
; Occupancy: 8
; WaveLimiterHint : 1
; COMPUTE_PGM_RSRC2:SCRATCH_EN: 0
; COMPUTE_PGM_RSRC2:USER_SGPR: 2
; COMPUTE_PGM_RSRC2:TRAP_HANDLER: 0
; COMPUTE_PGM_RSRC2:TGID_X_EN: 1
; COMPUTE_PGM_RSRC2:TGID_Y_EN: 0
; COMPUTE_PGM_RSRC2:TGID_Z_EN: 0
; COMPUTE_PGM_RSRC2:TIDIG_COMP_CNT: 0
; COMPUTE_PGM_RSRC3_GFX90A:ACCUM_OFFSET: 7
; COMPUTE_PGM_RSRC3_GFX90A:TG_SPLIT: 0
	.text
	.protected	naive_conv_ab_packed_bwd_ndhwc_float_double_float_0 ; -- Begin function naive_conv_ab_packed_bwd_ndhwc_float_double_float_0
	.globl	naive_conv_ab_packed_bwd_ndhwc_float_double_float_0
	.p2align	8
	.type	naive_conv_ab_packed_bwd_ndhwc_float_double_float_0,@function
naive_conv_ab_packed_bwd_ndhwc_float_double_float_0: ; @naive_conv_ab_packed_bwd_ndhwc_float_double_float_0
; %bb.0:
	s_load_dwordx16 s[4:19], s[0:1], 0xb8
	s_abs_i32 s36, s2
	s_waitcnt lgkmcnt(0)
	s_abs_i32 s3, s4
	v_cvt_f32_u32_e32 v1, s3
	s_sub_i32 s20, 0, s3
	s_mul_i32 s28, s7, s4
	v_rcp_iflag_f32_e32 v1, v1
	s_nop 0
	v_mul_f32_e32 v1, 0x4f7ffffe, v1
	v_cvt_u32_f32_e32 v1, v1
	s_nop 0
	v_readfirstlane_b32 s21, v1
	s_mul_i32 s20, s20, s21
	s_mul_hi_u32 s20, s21, s20
	s_add_i32 s21, s21, s20
	s_mul_hi_u32 s20, s36, s21
	s_mul_i32 s21, s20, s3
	s_sub_i32 s21, s36, s21
	s_add_i32 s22, s20, 1
	s_sub_i32 s23, s21, s3
	s_cmp_ge_u32 s21, s3
	s_cselect_b32 s20, s22, s20
	s_cselect_b32 s21, s23, s21
	s_add_i32 s22, s20, 1
	s_cmp_ge_u32 s21, s3
	s_cselect_b32 s29, s22, s20
	s_abs_i32 s38, s7
	s_abs_i32 s37, s28
	v_cvt_f32_u32_e32 v1, s38
	v_cvt_f32_u32_e32 v2, s37
	s_mul_i32 s3, s9, s6
	s_mul_i32 s7, s3, s5
	v_rcp_iflag_f32_e32 v1, v1
	v_rcp_iflag_f32_e32 v2, v2
	v_cmp_gt_i32_e32 vcc, s7, v0
	v_mul_f32_e32 v1, 0x4f7ffffe, v1
	v_mul_f32_e32 v2, 0x4f7ffffe, v2
	v_cvt_u32_f32_e32 v1, v1
	v_cvt_u32_f32_e32 v2, v2
	v_readfirstlane_b32 s31, v1
	v_readfirstlane_b32 s30, v2
	s_and_saveexec_b64 s[20:21], vcc
	s_cbranch_execz .LBB92_36
; %bb.1:
	s_ashr_i32 s39, s2, 31
	s_ashr_i32 s33, s4, 31
	s_xor_b32 s33, s39, s33
	s_xor_b32 s29, s29, s33
	s_sub_i32 s40, s29, s33
	s_sub_i32 s29, 0, s38
	s_mul_i32 s29, s29, s31
	s_mul_hi_u32 s29, s31, s29
	s_ashr_i32 s44, s28, 31
	s_sub_i32 s28, 0, s37
	s_abs_i32 s42, s40
	s_add_i32 s31, s31, s29
	s_mul_i32 s28, s28, s30
	s_mul_hi_u32 s43, s42, s31
	s_mul_hi_u32 s28, s30, s28
	s_add_i32 s30, s30, s28
	s_mul_i32 s43, s43, s38
	s_load_dwordx8 s[20:27], s[0:1], 0x0
	s_ashr_i32 s41, s40, 31
	s_load_dwordx2 s[34:35], s[0:1], 0x108
	s_mul_hi_u32 s45, s36, s30
	s_load_dwordx2 s[48:49], s[0:1], 0x20
	s_load_dwordx4 s[28:31], s[0:1], 0xf8
	s_load_dword s50, s[0:1], 0x11c
	s_mul_i32 s40, s40, s4
	s_sub_i32 s0, s42, s43
	s_sub_i32 s2, s2, s40
	;; [unrolled: 1-line block ×3, first 2 shown]
	s_cmp_ge_u32 s0, s38
	s_cselect_b32 s0, s1, s0
	s_sub_i32 s1, s0, s38
	s_cmp_ge_u32 s0, s38
	s_cselect_b32 s0, s1, s0
	s_mul_i32 s1, s45, s37
	s_xor_b32 s0, s0, s41
	s_sub_i32 s1, s36, s1
	s_sub_i32 s51, s0, s41
	s_xor_b32 s0, s39, s44
	s_add_i32 s36, s45, 1
	s_sub_i32 s38, s1, s37
	s_cmp_ge_u32 s1, s37
	s_cselect_b32 s36, s36, s45
	s_cselect_b32 s1, s38, s1
	s_add_i32 s38, s36, 1
	s_cmp_ge_u32 s1, s37
	s_cselect_b32 s1, s38, s36
	s_waitcnt lgkmcnt(0)
	s_mul_i32 s33, s35, s8
	s_mul_i32 s35, s35, s9
	s_xor_b32 s1, s1, s0
	s_sub_i32 s36, s1, s0
	s_ashr_i32 s52, s51, 31
	s_mul_hi_i32 s0, s51, s4
	s_mul_i32 s1, s51, s4
	s_ashr_i32 s62, s35, 31
	s_ashr_i32 s4, s2, 31
	s_add_u32 s37, s1, s2
	s_addc_u32 s0, s0, s4
	s_mul_i32 s4, s6, s5
	s_mul_hi_i32 s1, s6, s5
	s_mul_hi_u32 s5, s4, s35
	s_mul_i32 s38, s4, s62
	s_add_i32 s5, s5, s38
	s_mul_i32 s1, s1, s35
	s_mul_i32 s4, s4, s35
	s_add_i32 s1, s5, s1
	s_mul_i32 s0, s4, s0
	s_mul_hi_u32 s5, s4, s37
	s_add_i32 s0, s5, s0
	s_mul_i32 s1, s1, s37
	s_add_i32 s1, s0, s1
	s_mul_i32 s0, s4, s37
	s_ashr_i32 s37, s9, 31
	s_lshl_b64 s[0:1], s[0:1], 2
	s_mul_hi_i32 s5, s36, s9
	s_mul_i32 s4, s36, s9
	s_add_u32 s20, s20, s0
	s_addc_u32 s21, s21, s1
	s_lshl_b64 s[0:1], s[4:5], 2
	s_add_u32 s20, s20, s0
	s_addc_u32 s21, s21, s1
	s_ashr_i32 s53, s30, 31
	s_ashr_i32 s54, s10, 31
	;; [unrolled: 1-line block ×4, first 2 shown]
	s_cmp_lt_i32 s30, 1
	s_cselect_b64 s[38:39], -1, 0
	s_add_i32 s19, s2, s19
	s_cmp_gt_i32 s31, 0
	s_cselect_b64 s[40:41], -1, 0
	s_cmp_gt_i32 s34, 0
	s_cselect_b64 s[42:43], -1, 0
	;; [unrolled: 2-line block ×3, first 2 shown]
	s_abs_i32 s66, s13
	v_cvt_f32_u32_e32 v1, s66
	v_cmp_neq_f64_e64 s[0:1], s[24:25], 1.0
	v_cmp_neq_f64_e64 s[4:5], s[26:27], 0
	s_abs_i32 s67, s9
	v_rcp_iflag_f32_e32 v1, v1
	s_or_b64 s[46:47], s[0:1], s[4:5]
	s_sub_i32 s0, 0, s66
	s_abs_i32 s68, s6
	v_mul_f32_e32 v1, 0x4f7ffffe, v1
	v_cvt_u32_f32_e32 v1, v1
	s_abs_i32 s70, s3
	s_abs_i32 s74, s14
	s_abs_i32 s76, s15
	v_readfirstlane_b32 s1, v1
	v_cvt_f32_u32_e32 v1, s67
	s_mul_i32 s0, s0, s1
	s_mul_hi_u32 s0, s1, s0
	s_add_i32 s72, s1, s0
	v_rcp_iflag_f32_e32 v1, v1
	s_mul_hi_i32 s1, s8, s36
	s_mul_i32 s0, s8, s36
	s_and_b32 s65, s50, 0xffff
	s_sub_i32 s50, 0, s67
	s_sub_i32 s55, 0, s68
	s_ashr_i32 s69, s3, 31
	s_sub_i32 s58, 0, s70
	s_ashr_i32 s71, s13, 31
	s_ashr_i32 s73, s14, 31
	s_sub_i32 s13, 0, s74
	s_ashr_i32 s75, s15, 31
	s_sub_i32 s59, 0, s76
	s_lshl_b64 s[2:3], s[0:1], 2
	s_add_u32 s14, s48, s2
	s_mul_i32 s2, s12, s11
	v_cvt_f32_u32_e32 v3, s68
	s_addc_u32 s15, s49, s3
	s_mul_i32 s3, s2, s54
	s_mul_hi_u32 s4, s2, s10
	v_mul_f32_e32 v1, 0x4f7ffffe, v1
	v_cvt_f32_u32_e32 v4, s70
	s_add_i32 s3, s4, s3
	s_mul_hi_i32 s4, s12, s11
	v_cvt_u32_f32_e32 v1, v1
	v_cvt_f32_u32_e32 v5, s74
	s_mul_i32 s4, s4, s10
	s_mul_i32 s2, s2, s10
	s_add_i32 s3, s3, s4
	s_mul_i32 s4, s2, s52
	s_mul_hi_u32 s5, s2, s51
	v_rcp_iflag_f32_e32 v3, v3
	v_cvt_f32_u32_e32 v9, s76
	s_add_i32 s4, s5, s4
	s_mul_i32 s3, s3, s51
	v_rcp_iflag_f32_e32 v4, v4
	s_add_i32 s3, s4, s3
	s_mul_i32 s4, s34, s31
	v_mul_lo_u32 v2, s50, v1
	v_rcp_iflag_f32_e32 v5, v5
	s_mul_i32 s5, s4, s37
	s_mul_hi_u32 s36, s4, s9
	v_mul_hi_u32 v2, v1, v2
	s_add_i32 s5, s36, s5
	s_mul_hi_i32 s36, s34, s31
	v_mul_f32_e32 v3, 0x4f7ffffe, v3
	v_add_u32_e32 v1, v1, v2
	v_rcp_iflag_f32_e32 v2, v9
	s_mul_i32 s36, s36, s9
	s_mul_i32 s4, s4, s9
	v_cvt_u32_f32_e32 v3, v3
	v_mul_f32_e32 v4, 0x4f7ffffe, v4
	s_add_i32 s5, s5, s36
	s_mul_i32 s36, s4, s53
	s_mul_hi_u32 s48, s4, s30
	v_cvt_u32_f32_e32 v4, v4
	v_mul_f32_e32 v5, 0x4f7ffffe, v5
	s_add_i32 s36, s48, s36
	s_mul_i32 s48, s5, s30
	v_cvt_u32_f32_e32 v5, v5
	s_add_i32 s57, s36, s48
	s_mul_i32 s56, s4, s30
	v_mul_f32_e32 v2, 0x4f7ffffe, v2
	s_mul_i32 s36, s0, s57
	s_mul_hi_u32 s48, s0, s56
	v_mul_lo_u32 v6, s55, v3
	v_cvt_u32_f32_e32 v2, v2
	s_add_i32 s36, s48, s36
	s_mul_i32 s1, s1, s56
	v_mul_lo_u32 v7, s58, v4
	v_mul_hi_u32 v6, v3, v6
	s_mul_i32 s2, s2, s51
	s_add_i32 s1, s36, s1
	s_mul_i32 s0, s0, s56
	v_mul_lo_u32 v8, s13, v5
	v_add_u32_e32 v20, v3, v6
	v_mul_hi_u32 v3, v4, v7
	s_lshl_b64 s[48:49], s[2:3], 2
	s_lshl_b64 s[0:1], s[0:1], 2
	v_add_u32_e32 v21, v4, v3
	v_mul_hi_u32 v3, v5, v8
	s_add_u32 s22, s22, s0
	v_add_u32_e32 v22, v5, v3
	v_mul_lo_u32 v3, s59, v2
	s_addc_u32 s23, s23, s1
	s_mov_b32 s36, s9
	v_mul_hi_u32 v3, v2, v3
	s_mul_hi_i32 s1, s34, s9
	s_mul_i32 s0, s34, s9
	s_mov_b32 s77, s12
	s_mov_b64 s[12:13], 0
	v_add_u32_e32 v23, v2, v3
	s_lshl_b64 s[50:51], s[4:5], 2
	s_lshl_b64 s[52:53], s[0:1], 2
	;; [unrolled: 1-line block ×4, first 2 shown]
	s_branch .LBB92_3
.LBB92_2:                               ;   in Loop: Header=BB92_3 Depth=1
	v_add_u32_e32 v0, s65, v0
	v_cmp_le_i32_e32 vcc, s7, v0
	v_cvt_f32_f64_e32 v4, v[4:5]
	s_or_b64 s[12:13], vcc, s[12:13]
	global_store_dword v[2:3], v4, off
	s_andn2_b64 exec, exec, s[12:13]
	s_cbranch_execz .LBB92_36
.LBB92_3:                               ; =>This Loop Header: Depth=1
                                        ;     Child Loop BB92_9 Depth 2
                                        ;       Child Loop BB92_18 Depth 3
                                        ;         Child Loop BB92_25 Depth 4
                                        ;           Child Loop BB92_32 Depth 5
	v_sub_u32_e32 v3, 0, v0
	v_max_i32_e32 v3, v0, v3
	v_mul_hi_u32 v5, v3, v1
	v_mul_lo_u32 v6, v5, s67
	v_sub_u32_e32 v6, v3, v6
	v_add_u32_e32 v7, 1, v5
	v_cmp_le_u32_e32 vcc, s67, v6
	v_ashrrev_i32_e32 v4, 31, v0
	v_xor_b32_e32 v2, s37, v4
	v_cndmask_b32_e32 v5, v5, v7, vcc
	v_subrev_u32_e32 v7, s67, v6
	v_cndmask_b32_e32 v6, v6, v7, vcc
	v_add_u32_e32 v7, 1, v5
	v_cmp_le_u32_e32 vcc, s67, v6
	s_nop 1
	v_cndmask_b32_e32 v5, v5, v7, vcc
	v_xor_b32_e32 v5, v5, v2
	v_sub_u32_e32 v5, v5, v2
	v_sub_u32_e32 v6, 0, v5
	v_max_i32_e32 v6, v5, v6
	v_mul_hi_u32 v7, v6, v20
	v_mul_lo_u32 v7, v7, s68
	v_sub_u32_e32 v6, v6, v7
	v_subrev_u32_e32 v7, s68, v6
	v_cmp_le_u32_e32 vcc, s68, v6
	v_mul_lo_u32 v2, v5, s36
	v_sub_u32_e32 v2, v0, v2
	v_cndmask_b32_e32 v6, v6, v7, vcc
	v_mul_hi_u32 v7, v3, v21
	v_mul_lo_u32 v8, v7, s70
	v_sub_u32_e32 v3, v3, v8
	v_subrev_u32_e32 v8, s70, v3
	v_cmp_le_u32_e64 s[2:3], s70, v3
	v_cmp_le_u32_e64 s[0:1], s68, v6
	s_andn2_b64 vcc, exec, s[38:39]
	v_cndmask_b32_e64 v3, v3, v8, s[2:3]
	v_cmp_le_u32_e64 s[4:5], s70, v3
	s_cbranch_vccnz .LBB92_5
; %bb.4:                                ;   in Loop: Header=BB92_3 Depth=1
	v_ashrrev_i32_e32 v3, 31, v2
	s_mov_b64 s[58:59], 0
	s_mov_b64 s[60:61], 0
	s_branch .LBB92_6
.LBB92_5:                               ;   in Loop: Header=BB92_3 Depth=1
	s_mov_b64 s[58:59], -1
                                        ; implicit-def: $sgpr60_sgpr61
.LBB92_6:                               ;   in Loop: Header=BB92_3 Depth=1
	v_subrev_u32_e32 v8, s68, v6
	v_ashrrev_i32_e32 v5, 31, v5
	v_cndmask_b32_e64 v6, v6, v8, s[0:1]
	v_xor_b32_e32 v6, v6, v5
	v_sub_u32_e32 v6, v6, v5
	v_add_u32_e32 v5, 1, v7
	v_cndmask_b32_e64 v5, v7, v5, s[2:3]
	v_add_u32_e32 v7, 1, v5
	v_xor_b32_e32 v4, s69, v4
	v_cndmask_b32_e64 v5, v5, v7, s[4:5]
	v_xor_b32_e32 v5, v5, v4
	v_sub_u32_e32 v24, v5, v4
	s_andn2_b64 vcc, exec, s[58:59]
	v_mov_b64_e32 v[4:5], s[60:61]
	s_cbranch_vccnz .LBB92_34
; %bb.7:                                ;   in Loop: Header=BB92_3 Depth=1
	v_ashrrev_i32_e32 v3, 31, v2
	v_add_u32_e32 v7, s28, v24
	v_add_u32_e32 v25, s29, v6
	v_lshl_add_u64 v[8:9], v[2:3], 2, s[22:23]
	s_mov_b32 s9, 0
	v_mov_b64_e32 v[4:5], 0
	s_branch .LBB92_9
.LBB92_8:                               ;   in Loop: Header=BB92_9 Depth=2
	s_add_i32 s9, s9, 1
	s_cmp_eq_u32 s9, s30
	v_lshl_add_u64 v[8:9], v[8:9], 0, s[50:51]
	s_cbranch_scc1 .LBB92_34
.LBB92_9:                               ;   Parent Loop BB92_3 Depth=1
                                        ; =>  This Loop Header: Depth=2
                                        ;       Child Loop BB92_18 Depth 3
                                        ;         Child Loop BB92_25 Depth 4
                                        ;           Child Loop BB92_32 Depth 5
	s_mul_i32 s0, s9, s16
	s_sub_i32 s61, s19, s0
	s_cmp_gt_i32 s61, -1
	s_cbranch_scc0 .LBB92_11
; %bb.10:                               ;   in Loop: Header=BB92_9 Depth=2
	s_abs_i32 s0, s61
	s_mul_hi_u32 s5, s0, s72
	s_mul_i32 s1, s5, s66
	s_sub_i32 s58, s0, s1
	s_ashr_i32 s4, s61, 31
	s_sub_i32 s59, s58, s66
	s_cmp_ge_u32 s58, s66
	s_cselect_b32 s0, s59, s58
	s_sub_i32 s1, s0, s66
	s_cmp_ge_u32 s0, s66
	s_cselect_b32 s0, s1, s0
	s_xor_b32 s0, s0, s4
	s_sub_i32 s0, s0, s4
	s_cmp_lg_u32 s0, 0
	s_mov_b32 s60, 1
	s_cselect_b64 s[0:1], -1, 0
	s_cbranch_execz .LBB92_12
	s_branch .LBB92_13
.LBB92_11:                              ;   in Loop: Header=BB92_9 Depth=2
	s_mov_b64 s[0:1], 0
                                        ; implicit-def: $sgpr60
                                        ; implicit-def: $sgpr4
                                        ; implicit-def: $sgpr5
                                        ; implicit-def: $sgpr58
                                        ; implicit-def: $sgpr59
.LBB92_12:                              ;   in Loop: Header=BB92_9 Depth=2
	s_abs_i32 s0, s61
	s_mul_hi_u32 s5, s0, s72
	s_mul_i32 s1, s5, s66
	s_sub_i32 s58, s0, s1
	s_ashr_i32 s4, s61, 31
	s_sub_i32 s59, s58, s66
	s_mov_b64 s[0:1], -1
                                        ; implicit-def: $sgpr60
.LBB92_13:                              ;   in Loop: Header=BB92_9 Depth=2
	s_andn2_b64 vcc, exec, s[0:1]
	s_cbranch_vccz .LBB92_15
; %bb.14:                               ;   in Loop: Header=BB92_9 Depth=2
	s_andn2_b64 vcc, exec, s[40:41]
	s_cbranch_vccz .LBB92_16
	s_branch .LBB92_8
.LBB92_15:                              ;   in Loop: Header=BB92_9 Depth=2
	s_mov_b32 s60, 0
	s_andn2_b64 vcc, exec, s[40:41]
	s_cbranch_vccnz .LBB92_8
.LBB92_16:                              ;   in Loop: Header=BB92_9 Depth=2
	s_xor_b32 s0, s4, s71
	s_add_i32 s1, s5, 1
	s_cmp_ge_u32 s58, s66
	s_cselect_b32 s1, s1, s5
	s_cselect_b32 s2, s59, s58
	s_add_i32 s3, s1, 1
	s_cmp_ge_u32 s2, s66
	s_cselect_b32 s1, s3, s1
	s_xor_b32 s1, s1, s0
	s_sub_i32 s0, s1, s0
	s_cmp_lt_i32 s0, s10
	s_mov_b32 s58, 0
	s_cselect_b32 s59, s60, 0
	s_mul_hi_i32 s1, s0, s11
	s_mul_i32 s0, s0, s11
	v_mov_b64_e32 v[10:11], v[8:9]
	s_branch .LBB92_18
.LBB92_17:                              ;   in Loop: Header=BB92_18 Depth=3
	s_add_i32 s58, s58, 1
	s_cmp_eq_u32 s58, s31
	v_lshl_add_u64 v[10:11], v[10:11], 0, s[52:53]
	s_cbranch_scc1 .LBB92_8
.LBB92_18:                              ;   Parent Loop BB92_3 Depth=1
                                        ;     Parent Loop BB92_9 Depth=2
                                        ; =>    This Loop Header: Depth=3
                                        ;         Child Loop BB92_25 Depth 4
                                        ;           Child Loop BB92_32 Depth 5
	s_mul_i32 s2, s58, s17
	v_subrev_u32_e32 v12, s2, v7
	v_cmp_gt_i32_e64 s[2:3], 0, v12
	v_cmp_lt_i32_e32 vcc, -1, v12
	v_ashrrev_i32_e32 v14, 31, v12
	v_sub_u32_e32 v13, 0, v12
                                        ; implicit-def: $sgpr60
	s_and_saveexec_b64 s[4:5], vcc
	s_cbranch_execnz .LBB92_21
; %bb.19:                               ;   in Loop: Header=BB92_18 Depth=3
	s_or_b64 exec, exec, s[4:5]
	v_mov_b32_e32 v15, s60
	s_and_saveexec_b64 s[4:5], s[2:3]
	s_cbranch_execnz .LBB92_22
.LBB92_20:                              ;   in Loop: Header=BB92_18 Depth=3
	s_or_b64 exec, exec, s[4:5]
	s_andn2_b64 vcc, exec, s[42:43]
	s_cbranch_vccz .LBB92_23
	s_branch .LBB92_17
.LBB92_21:                              ;   in Loop: Header=BB92_18 Depth=3
	v_max_i32_e32 v15, v12, v13
	v_mul_hi_u32 v16, v15, v22
	v_mul_lo_u32 v16, v16, s74
	v_sub_u32_e32 v15, v15, v16
	v_subrev_u32_e32 v16, s74, v15
	v_cmp_le_u32_e32 vcc, s74, v15
	s_andn2_b64 s[2:3], s[2:3], exec
	s_mov_b32 s60, 1
	v_cndmask_b32_e32 v15, v15, v16, vcc
	v_subrev_u32_e32 v16, s74, v15
	v_cmp_le_u32_e32 vcc, s74, v15
	s_nop 1
	v_cndmask_b32_e32 v15, v15, v16, vcc
	v_xor_b32_e32 v15, v15, v14
	v_sub_u32_e32 v15, v15, v14
	v_cmp_ne_u32_e32 vcc, 0, v15
	s_and_b64 s[78:79], vcc, exec
	s_or_b64 s[2:3], s[2:3], s[78:79]
	s_or_b64 exec, exec, s[4:5]
	v_mov_b32_e32 v15, s60
	s_and_saveexec_b64 s[4:5], s[2:3]
	s_cbranch_execz .LBB92_20
.LBB92_22:                              ;   in Loop: Header=BB92_18 Depth=3
	v_mov_b32_e32 v15, 0
	s_or_b64 exec, exec, s[4:5]
	s_andn2_b64 vcc, exec, s[42:43]
	s_cbranch_vccnz .LBB92_17
.LBB92_23:                              ;   in Loop: Header=BB92_18 Depth=3
	v_max_i32_e32 v12, v12, v13
	v_mul_hi_u32 v13, v12, v22
	v_mul_lo_u32 v16, v13, s74
	v_sub_u32_e32 v12, v12, v16
	v_add_u32_e32 v16, 1, v13
	v_cmp_le_u32_e32 vcc, s74, v12
	v_xor_b32_e32 v14, s73, v14
	s_mov_b32 s60, 0
	v_cndmask_b32_e32 v13, v13, v16, vcc
	v_subrev_u32_e32 v16, s74, v12
	v_cndmask_b32_e32 v12, v12, v16, vcc
	v_add_u32_e32 v16, 1, v13
	v_cmp_le_u32_e32 vcc, s74, v12
	s_nop 1
	v_cndmask_b32_e32 v12, v13, v16, vcc
	v_xor_b32_e32 v12, v12, v14
	v_sub_u32_e32 v12, v12, v14
	v_cmp_gt_i32_e32 vcc, s11, v12
	s_nop 1
	v_cndmask_b32_e32 v13, 0, v15, vcc
	v_and_b32_e32 v26, s59, v13
	v_ashrrev_i32_e32 v13, 31, v12
	v_lshl_add_u64 v[12:13], s[0:1], 0, v[12:13]
	v_mul_lo_u32 v14, v13, s77
	v_mul_lo_u32 v15, v12, s63
	v_mad_u64_u32 v[12:13], s[2:3], v12, s77, 0
	v_add3_u32 v13, v13, v15, v14
	v_mov_b64_e32 v[14:15], v[10:11]
	s_branch .LBB92_25
.LBB92_24:                              ;   in Loop: Header=BB92_25 Depth=4
	s_add_i32 s60, s60, 1
	s_cmp_eq_u32 s60, s34
	v_lshl_add_u64 v[14:15], v[14:15], 0, s[54:55]
	s_cbranch_scc1 .LBB92_17
.LBB92_25:                              ;   Parent Loop BB92_3 Depth=1
                                        ;     Parent Loop BB92_9 Depth=2
                                        ;       Parent Loop BB92_18 Depth=3
                                        ; =>      This Loop Header: Depth=4
                                        ;           Child Loop BB92_32 Depth 5
	s_mul_i32 s2, s60, s18
	v_subrev_u32_e32 v16, s2, v25
	v_sub_u32_e32 v18, 0, v16
	v_cmp_gt_i32_e64 s[2:3], 0, v16
	v_cmp_lt_i32_e32 vcc, -1, v16
	v_ashrrev_i32_e32 v17, 31, v16
	v_max_i32_e32 v16, v16, v18
                                        ; implicit-def: $sgpr61
	s_and_saveexec_b64 s[4:5], vcc
	s_cbranch_execnz .LBB92_28
; %bb.26:                               ;   in Loop: Header=BB92_25 Depth=4
	s_or_b64 exec, exec, s[4:5]
	v_mov_b32_e32 v18, s61
	s_and_saveexec_b64 s[4:5], s[2:3]
	s_cbranch_execnz .LBB92_29
.LBB92_27:                              ;   in Loop: Header=BB92_25 Depth=4
	s_or_b64 exec, exec, s[4:5]
	s_andn2_b64 vcc, exec, s[44:45]
	s_cbranch_vccz .LBB92_30
	s_branch .LBB92_24
.LBB92_28:                              ;   in Loop: Header=BB92_25 Depth=4
	v_mul_hi_u32 v18, v16, v23
	v_mul_lo_u32 v18, v18, s76
	v_sub_u32_e32 v18, v16, v18
	v_subrev_u32_e32 v19, s76, v18
	v_cmp_le_u32_e32 vcc, s76, v18
	s_andn2_b64 s[2:3], s[2:3], exec
	s_mov_b32 s61, 1
	v_cndmask_b32_e32 v18, v18, v19, vcc
	v_subrev_u32_e32 v19, s76, v18
	v_cmp_le_u32_e32 vcc, s76, v18
	s_nop 1
	v_cndmask_b32_e32 v18, v18, v19, vcc
	v_xor_b32_e32 v18, v18, v17
	v_sub_u32_e32 v18, v18, v17
	v_cmp_ne_u32_e32 vcc, 0, v18
	s_and_b64 s[78:79], vcc, exec
	s_or_b64 s[2:3], s[2:3], s[78:79]
	s_or_b64 exec, exec, s[4:5]
	v_mov_b32_e32 v18, s61
	s_and_saveexec_b64 s[4:5], s[2:3]
	s_cbranch_execz .LBB92_27
.LBB92_29:                              ;   in Loop: Header=BB92_25 Depth=4
	v_mov_b32_e32 v18, 0
	s_or_b64 exec, exec, s[4:5]
	s_andn2_b64 vcc, exec, s[44:45]
	s_cbranch_vccnz .LBB92_24
.LBB92_30:                              ;   in Loop: Header=BB92_25 Depth=4
	v_mul_hi_u32 v19, v16, v23
	v_mul_lo_u32 v27, v19, s76
	v_sub_u32_e32 v16, v16, v27
	v_add_u32_e32 v27, 1, v19
	v_cmp_le_u32_e32 vcc, s76, v16
	v_xor_b32_e32 v17, s75, v17
	s_mov_b32 s4, s8
	v_cndmask_b32_e32 v19, v19, v27, vcc
	v_subrev_u32_e32 v27, s76, v16
	v_cndmask_b32_e32 v16, v16, v27, vcc
	v_add_u32_e32 v27, 1, v19
	v_cmp_le_u32_e32 vcc, s76, v16
	s_nop 1
	v_cndmask_b32_e32 v16, v19, v27, vcc
	v_xor_b32_e32 v16, v16, v17
	v_sub_u32_e32 v16, v16, v17
	v_cmp_gt_i32_e32 vcc, s77, v16
	s_nop 1
	v_cndmask_b32_e32 v17, 0, v18, vcc
	v_and_b32_e32 v17, v26, v17
	v_cmp_ne_u32_e32 vcc, 0, v17
	v_ashrrev_i32_e32 v17, 31, v16
	v_lshl_add_u64 v[16:17], v[12:13], 0, v[16:17]
	v_lshl_add_u64 v[16:17], v[16:17], 2, s[48:49]
	v_mov_b64_e32 v[18:19], s[14:15]
	v_mul_lo_u32 v27, s33, v17
	v_mul_lo_u32 v28, s64, v16
	v_mad_u64_u32 v[16:17], s[2:3], s33, v16, v[18:19]
	v_add3_u32 v17, v28, v17, v27
	v_mov_b64_e32 v[18:19], v[14:15]
	s_branch .LBB92_32
.LBB92_31:                              ;   in Loop: Header=BB92_32 Depth=5
	s_or_b64 exec, exec, s[2:3]
	s_add_i32 s4, s4, -1
	v_lshl_add_u64 v[16:17], v[16:17], 0, 4
	s_cmp_eq_u32 s4, 0
	v_lshl_add_u64 v[18:19], v[18:19], 0, s[56:57]
	s_cbranch_scc1 .LBB92_24
.LBB92_32:                              ;   Parent Loop BB92_3 Depth=1
                                        ;     Parent Loop BB92_9 Depth=2
                                        ;       Parent Loop BB92_18 Depth=3
                                        ;         Parent Loop BB92_25 Depth=4
                                        ; =>        This Inner Loop Header: Depth=5
	s_and_saveexec_b64 s[2:3], vcc
	s_cbranch_execz .LBB92_31
; %bb.33:                               ;   in Loop: Header=BB92_32 Depth=5
	global_load_dword v27, v[16:17], off
	global_load_dword v30, v[18:19], off
	s_waitcnt vmcnt(1)
	v_cvt_f64_f32_e32 v[28:29], v27
	s_waitcnt vmcnt(0)
	v_cvt_f64_f32_e32 v[30:31], v30
	v_fmac_f64_e32 v[4:5], v[28:29], v[30:31]
	s_branch .LBB92_31
.LBB92_34:                              ;   in Loop: Header=BB92_3 Depth=1
	v_ashrrev_i32_e32 v7, 31, v6
	v_mad_i64_i32 v[6:7], s[0:1], v24, s6, v[6:7]
	v_mul_lo_u32 v8, v7, s35
	v_mul_lo_u32 v9, v6, s62
	v_mad_u64_u32 v[6:7], s[0:1], v6, s35, 0
	v_add3_u32 v7, v7, v9, v8
	v_lshl_add_u64 v[6:7], v[6:7], 2, s[20:21]
	s_andn2_b64 vcc, exec, s[46:47]
	v_lshl_add_u64 v[2:3], v[2:3], 2, v[6:7]
	s_cbranch_vccnz .LBB92_2
; %bb.35:                               ;   in Loop: Header=BB92_3 Depth=1
	global_load_dword v6, v[2:3], off
	s_waitcnt vmcnt(0)
	v_cvt_f64_f32_e32 v[6:7], v6
	v_mul_f64 v[6:7], v[6:7], s[26:27]
	v_fmac_f64_e32 v[6:7], s[24:25], v[4:5]
	v_mov_b64_e32 v[4:5], v[6:7]
	s_branch .LBB92_2
.LBB92_36:
	s_endpgm
	.section	.rodata,"a",@progbits
	.p2align	6, 0x0
	.amdhsa_kernel naive_conv_ab_packed_bwd_ndhwc_float_double_float_0
		.amdhsa_group_segment_fixed_size 0
		.amdhsa_private_segment_fixed_size 0
		.amdhsa_kernarg_size 528
		.amdhsa_user_sgpr_count 2
		.amdhsa_user_sgpr_dispatch_ptr 0
		.amdhsa_user_sgpr_queue_ptr 0
		.amdhsa_user_sgpr_kernarg_segment_ptr 1
		.amdhsa_user_sgpr_dispatch_id 0
		.amdhsa_user_sgpr_kernarg_preload_length 0
		.amdhsa_user_sgpr_kernarg_preload_offset 0
		.amdhsa_user_sgpr_private_segment_size 0
		.amdhsa_uses_dynamic_stack 0
		.amdhsa_enable_private_segment 0
		.amdhsa_system_sgpr_workgroup_id_x 1
		.amdhsa_system_sgpr_workgroup_id_y 0
		.amdhsa_system_sgpr_workgroup_id_z 0
		.amdhsa_system_sgpr_workgroup_info 0
		.amdhsa_system_vgpr_workitem_id 0
		.amdhsa_next_free_vgpr 32
		.amdhsa_next_free_sgpr 80
		.amdhsa_accum_offset 32
		.amdhsa_reserve_vcc 1
		.amdhsa_float_round_mode_32 0
		.amdhsa_float_round_mode_16_64 0
		.amdhsa_float_denorm_mode_32 3
		.amdhsa_float_denorm_mode_16_64 3
		.amdhsa_dx10_clamp 1
		.amdhsa_ieee_mode 1
		.amdhsa_fp16_overflow 0
		.amdhsa_tg_split 0
		.amdhsa_exception_fp_ieee_invalid_op 0
		.amdhsa_exception_fp_denorm_src 0
		.amdhsa_exception_fp_ieee_div_zero 0
		.amdhsa_exception_fp_ieee_overflow 0
		.amdhsa_exception_fp_ieee_underflow 0
		.amdhsa_exception_fp_ieee_inexact 0
		.amdhsa_exception_int_div_zero 0
	.end_amdhsa_kernel
	.text
.Lfunc_end92:
	.size	naive_conv_ab_packed_bwd_ndhwc_float_double_float_0, .Lfunc_end92-naive_conv_ab_packed_bwd_ndhwc_float_double_float_0
                                        ; -- End function
	.section	.AMDGPU.csdata,"",@progbits
; Kernel info:
; codeLenInByte = 2608
; NumSgprs: 86
; NumVgprs: 32
; NumAgprs: 0
; TotalNumVgprs: 32
; ScratchSize: 0
; MemoryBound: 0
; FloatMode: 240
; IeeeMode: 1
; LDSByteSize: 0 bytes/workgroup (compile time only)
; SGPRBlocks: 10
; VGPRBlocks: 3
; NumSGPRsForWavesPerEU: 86
; NumVGPRsForWavesPerEU: 32
; AccumOffset: 32
; Occupancy: 8
; WaveLimiterHint : 1
; COMPUTE_PGM_RSRC2:SCRATCH_EN: 0
; COMPUTE_PGM_RSRC2:USER_SGPR: 2
; COMPUTE_PGM_RSRC2:TRAP_HANDLER: 0
; COMPUTE_PGM_RSRC2:TGID_X_EN: 1
; COMPUTE_PGM_RSRC2:TGID_Y_EN: 0
; COMPUTE_PGM_RSRC2:TGID_Z_EN: 0
; COMPUTE_PGM_RSRC2:TIDIG_COMP_CNT: 0
; COMPUTE_PGM_RSRC3_GFX90A:ACCUM_OFFSET: 7
; COMPUTE_PGM_RSRC3_GFX90A:TG_SPLIT: 0
	.text
	.protected	naive_conv_ab_nonpacked_bwd_ndhwc_float_double_float_0 ; -- Begin function naive_conv_ab_nonpacked_bwd_ndhwc_float_double_float_0
	.globl	naive_conv_ab_nonpacked_bwd_ndhwc_float_double_float_0
	.p2align	8
	.type	naive_conv_ab_nonpacked_bwd_ndhwc_float_double_float_0,@function
naive_conv_ab_nonpacked_bwd_ndhwc_float_double_float_0: ; @naive_conv_ab_nonpacked_bwd_ndhwc_float_double_float_0
; %bb.0:
	s_load_dwordx16 s[4:19], s[0:1], 0xb8
	s_abs_i32 s34, s2
	s_waitcnt lgkmcnt(0)
	s_abs_i32 s3, s4
	v_cvt_f32_u32_e32 v1, s3
	s_sub_i32 s20, 0, s3
	s_mul_i32 s28, s7, s4
	v_rcp_iflag_f32_e32 v1, v1
	s_nop 0
	v_mul_f32_e32 v1, 0x4f7ffffe, v1
	v_cvt_u32_f32_e32 v1, v1
	s_nop 0
	v_readfirstlane_b32 s21, v1
	s_mul_i32 s20, s20, s21
	s_mul_hi_u32 s20, s21, s20
	s_add_i32 s21, s21, s20
	s_mul_hi_u32 s20, s34, s21
	s_mul_i32 s21, s20, s3
	s_sub_i32 s21, s34, s21
	s_add_i32 s22, s20, 1
	s_sub_i32 s23, s21, s3
	s_cmp_ge_u32 s21, s3
	s_cselect_b32 s20, s22, s20
	s_cselect_b32 s21, s23, s21
	s_add_i32 s22, s20, 1
	s_cmp_ge_u32 s21, s3
	s_cselect_b32 s29, s22, s20
	s_abs_i32 s35, s7
	s_abs_i32 s7, s28
	v_cvt_f32_u32_e32 v1, s35
	v_cvt_f32_u32_e32 v2, s7
	s_mul_i32 s3, s9, s6
	s_mul_i32 s33, s3, s5
	v_rcp_iflag_f32_e32 v1, v1
	v_rcp_iflag_f32_e32 v2, v2
	v_cmp_gt_i32_e32 vcc, s33, v0
	v_mul_f32_e32 v1, 0x4f7ffffe, v1
	v_mul_f32_e32 v2, 0x4f7ffffe, v2
	v_cvt_u32_f32_e32 v1, v1
	v_cvt_u32_f32_e32 v2, v2
	v_readfirstlane_b32 s30, v1
	v_readfirstlane_b32 s5, v2
	s_and_saveexec_b64 s[20:21], vcc
	s_cbranch_execz .LBB93_36
; %bb.1:
	s_ashr_i32 s52, s2, 31
	s_ashr_i32 s31, s4, 31
	s_xor_b32 s31, s52, s31
	s_xor_b32 s29, s29, s31
	s_sub_i32 s53, s29, s31
	s_sub_i32 s29, 0, s35
	s_mul_i32 s29, s29, s30
	s_mul_hi_u32 s29, s30, s29
	s_abs_i32 s55, s53
	s_add_i32 s30, s30, s29
	s_mul_hi_u32 s56, s55, s30
	s_ashr_i32 s57, s28, 31
	s_sub_i32 s28, 0, s7
	s_mul_i32 s28, s28, s5
	s_mul_i32 s56, s56, s35
	s_ashr_i32 s54, s53, 31
	s_mul_hi_u32 s28, s5, s28
	s_mul_i32 s53, s53, s4
	s_sub_i32 s4, s55, s56
	s_add_i32 s5, s5, s28
	s_sub_i32 s2, s2, s53
	s_sub_i32 s53, s4, s35
	s_cmp_ge_u32 s4, s35
	s_cselect_b32 s4, s53, s4
	s_sub_i32 s53, s4, s35
	s_mul_hi_u32 s5, s34, s5
	s_cmp_ge_u32 s4, s35
	s_cselect_b32 s4, s53, s4
	s_mul_i32 s35, s5, s7
	s_xor_b32 s4, s4, s54
	s_sub_i32 s34, s34, s35
	s_sub_i32 s87, s4, s54
	s_xor_b32 s4, s52, s57
	s_add_i32 s35, s5, 1
	s_sub_i32 s52, s34, s7
	s_cmp_ge_u32 s34, s7
	s_cselect_b32 s5, s35, s5
	s_cselect_b32 s34, s52, s34
	s_add_i32 s35, s5, 1
	s_load_dwordx16 s[36:51], s[0:1], 0x28
	s_load_dwordx4 s[28:31], s[0:1], 0xf8
	s_load_dwordx4 s[68:71], s[0:1], 0xa8
	s_cmp_ge_u32 s34, s7
	s_cselect_b32 s5, s35, s5
	s_xor_b32 s5, s5, s4
	s_ashr_i32 s7, s2, 31
	s_load_dwordx8 s[20:27], s[0:1], 0x0
	s_sub_i32 s88, s5, s4
	s_ashr_i32 s89, s87, 31
	s_waitcnt lgkmcnt(0)
	s_mul_i32 s7, s44, s7
	s_mul_hi_u32 s34, s44, s2
	s_mul_i32 s4, s46, s89
	s_mul_hi_u32 s5, s46, s87
	s_add_i32 s7, s34, s7
	s_mul_i32 s34, s45, s2
	s_ashr_i32 s90, s88, 31
	s_add_i32 s4, s5, s4
	s_mul_i32 s5, s47, s87
	s_add_i32 s35, s7, s34
	s_mul_i32 s34, s44, s2
	s_mul_i32 s7, s38, s90
	s_mul_hi_u32 s44, s38, s88
	s_add_i32 s5, s4, s5
	s_mul_i32 s4, s46, s87
	s_add_i32 s7, s44, s7
	s_mul_i32 s39, s39, s88
	s_add_i32 s39, s7, s39
	s_lshl_b64 s[4:5], s[4:5], 2
	s_add_u32 s7, s20, s4
	s_addc_u32 s20, s21, s5
	s_lshl_b64 s[4:5], s[34:35], 2
	s_mul_i32 s38, s38, s88
	s_add_u32 s7, s7, s4
	s_addc_u32 s21, s20, s5
	s_lshl_b64 s[4:5], s[38:39], 2
	s_add_u32 s20, s7, s4
	s_load_dword s74, s[0:1], 0x108
	s_addc_u32 s21, s21, s5
	s_cmp_lt_i32 s30, 1
	s_cselect_b64 s[34:35], -1, 0
	s_add_i32 s19, s2, s19
	s_load_dword s2, s[0:1], 0x11c
	s_cmp_gt_i32 s31, 0
	s_cselect_b64 s[38:39], -1, 0
	s_waitcnt lgkmcnt(0)
	s_cmp_gt_i32 s74, 0
	s_cselect_b64 s[44:45], -1, 0
	s_cmp_gt_i32 s8, 0
	s_cselect_b64 s[46:47], -1, 0
	s_abs_i32 s75, s13
	v_cvt_f32_u32_e32 v1, s75
	v_cmp_neq_f64_e64 s[4:5], s[24:25], 1.0
	v_cmp_neq_f64_e64 s[52:53], s[26:27], 0
	s_abs_i32 s81, s9
	v_rcp_iflag_f32_e32 v1, v1
	s_or_b64 s[72:73], s[4:5], s[52:53]
	s_abs_i32 s82, s6
	s_abs_i32 s79, s3
	v_mul_f32_e32 v1, 0x4f7ffffe, v1
	v_cvt_u32_f32_e32 v1, v1
	v_cvt_f32_u32_e32 v3, s82
	s_load_dwordx16 s[52:67], s[0:1], 0x68
	s_abs_i32 s84, s14
	v_readfirstlane_b32 s5, v1
	v_cvt_f32_u32_e32 v1, s81
	v_cvt_f32_u32_e32 v5, s79
	s_abs_i32 s86, s15
	v_cvt_f32_u32_e32 v7, s84
	s_sub_i32 s4, 0, s75
	v_rcp_iflag_f32_e32 v1, v1
	v_cvt_f32_u32_e32 v9, s86
	s_mul_i32 s4, s4, s5
	v_rcp_iflag_f32_e32 v3, v3
	s_mul_hi_u32 s4, s5, s4
	v_rcp_iflag_f32_e32 v5, v5
	s_add_i32 s76, s5, s4
	s_waitcnt lgkmcnt(0)
	s_mul_i32 s4, s58, s90
	s_mul_hi_u32 s5, s58, s88
	v_rcp_iflag_f32_e32 v7, v7
	s_add_i32 s4, s5, s4
	s_and_b32 s77, s2, 0xffff
	s_mul_i32 s2, s59, s88
	v_mul_f32_e32 v1, 0x4f7ffffe, v1
	v_rcp_iflag_f32_e32 v9, v9
	s_ashr_i32 s78, s3, 31
	s_add_i32 s3, s4, s2
	s_mul_i32 s2, s58, s88
	v_cvt_u32_f32_e32 v1, v1
	v_mul_f32_e32 v3, 0x4f7ffffe, v3
	s_lshl_b64 s[2:3], s[2:3], 2
	s_ashr_i32 s80, s9, 31
	s_sub_i32 s91, 0, s81
	s_sub_i32 s92, 0, s82
	;; [unrolled: 1-line block ×3, first 2 shown]
	s_ashr_i32 s13, s13, 31
	s_ashr_i32 s83, s14, 31
	s_sub_i32 s94, 0, s84
	s_ashr_i32 s85, s15, 31
	s_sub_i32 s95, 0, s86
	v_cvt_u32_f32_e32 v3, v3
	v_mul_f32_e32 v5, 0x4f7ffffe, v5
	s_add_u32 s6, s22, s2
	v_cvt_u32_f32_e32 v5, v5
	v_mul_f32_e32 v7, 0x4f7ffffe, v7
	s_addc_u32 s7, s23, s3
	s_mul_i32 s2, s62, s90
	s_mul_hi_u32 s3, s62, s88
	s_mul_i32 s4, s70, s89
	s_mul_hi_u32 s5, s70, s87
	v_cvt_u32_f32_e32 v7, v7
	v_mul_f32_e32 v9, 0x4f7ffffe, v9
	s_add_i32 s2, s3, s2
	s_mul_i32 s3, s63, s88
	s_add_i32 s4, s5, s4
	s_mul_i32 s5, s71, s87
	s_load_dwordx2 s[0:1], s[0:1], 0x20
	v_mul_lo_u32 v2, s91, v1
	v_cvt_u32_f32_e32 v9, v9
	s_add_i32 s3, s2, s3
	s_mul_i32 s2, s62, s88
	s_add_i32 s5, s4, s5
	s_mul_i32 s4, s70, s87
	v_mul_lo_u32 v4, s92, v3
	v_mul_hi_u32 v2, v1, v2
	s_lshl_b64 s[2:3], s[2:3], 2
	s_lshl_b64 s[4:5], s[4:5], 2
	;; [unrolled: 1-line block ×7, first 2 shown]
	v_mul_lo_u32 v6, s93, v5
	v_add_u32_e32 v1, v1, v2
	v_mul_hi_u32 v2, v3, v4
	s_add_u32 s2, s2, s4
	v_mul_lo_u32 v8, s94, v7
	v_add_u32_e32 v20, v3, v2
	v_mul_hi_u32 v2, v5, v6
	s_addc_u32 s3, s3, s5
	v_mul_lo_u32 v10, s95, v9
	v_add_u32_e32 v21, v5, v2
	v_mul_hi_u32 v2, v7, v8
	s_waitcnt lgkmcnt(0)
	s_add_u32 s70, s0, s2
	v_add_u32_e32 v22, v7, v2
	v_mul_hi_u32 v2, v9, v10
	s_addc_u32 s71, s1, s3
	s_lshl_b64 s[54:55], s[66:67], 2
	s_lshl_b64 s[56:57], s[64:65], 2
	;; [unrolled: 1-line block ×4, first 2 shown]
	v_add_u32_e32 v23, v9, v2
	s_mov_b64 s[62:63], 0
	s_branch .LBB93_3
.LBB93_2:                               ;   in Loop: Header=BB93_3 Depth=1
	v_add_u32_e32 v0, s77, v0
	v_cmp_le_i32_e32 vcc, s33, v0
	v_cvt_f32_f64_e32 v4, v[6:7]
	s_or_b64 s[62:63], vcc, s[62:63]
	global_store_dword v[2:3], v4, off
	s_andn2_b64 exec, exec, s[62:63]
	s_cbranch_execz .LBB93_36
.LBB93_3:                               ; =>This Loop Header: Depth=1
                                        ;     Child Loop BB93_9 Depth 2
                                        ;       Child Loop BB93_18 Depth 3
                                        ;         Child Loop BB93_25 Depth 4
                                        ;           Child Loop BB93_32 Depth 5
	v_sub_u32_e32 v3, 0, v0
	v_max_i32_e32 v4, v0, v3
	v_mul_hi_u32 v3, v4, v1
	v_mul_lo_u32 v5, v3, s81
	v_sub_u32_e32 v5, v4, v5
	v_add_u32_e32 v7, 1, v3
	v_cmp_le_u32_e32 vcc, s81, v5
	v_ashrrev_i32_e32 v6, 31, v0
	v_xor_b32_e32 v2, s80, v6
	v_cndmask_b32_e32 v3, v3, v7, vcc
	v_subrev_u32_e32 v7, s81, v5
	v_cndmask_b32_e32 v5, v5, v7, vcc
	v_add_u32_e32 v7, 1, v3
	v_cmp_le_u32_e32 vcc, s81, v5
	s_nop 1
	v_cndmask_b32_e32 v3, v3, v7, vcc
	v_xor_b32_e32 v3, v3, v2
	v_sub_u32_e32 v3, v3, v2
	v_sub_u32_e32 v5, 0, v3
	v_max_i32_e32 v5, v3, v5
	v_mul_hi_u32 v7, v5, v20
	v_mul_lo_u32 v7, v7, s82
	v_sub_u32_e32 v5, v5, v7
	v_subrev_u32_e32 v7, s82, v5
	v_cmp_le_u32_e32 vcc, s82, v5
	v_mul_lo_u32 v2, v3, s9
	v_sub_u32_e32 v2, v0, v2
	v_cndmask_b32_e32 v8, v5, v7, vcc
	v_mul_hi_u32 v7, v4, v21
	v_mul_lo_u32 v5, v7, s79
	v_sub_u32_e32 v4, v4, v5
	v_subrev_u32_e32 v5, s79, v4
	v_cmp_le_u32_e64 s[2:3], s79, v4
	v_cmp_le_u32_e64 s[0:1], s82, v8
	s_andn2_b64 vcc, exec, s[34:35]
	v_cndmask_b32_e64 v4, v4, v5, s[2:3]
	v_cmp_le_u32_e64 s[4:5], s79, v4
	s_cbranch_vccnz .LBB93_5
; %bb.4:                                ;   in Loop: Header=BB93_3 Depth=1
	v_ashrrev_i32_e32 v5, 31, v2
	s_mov_b64 s[64:65], 0
	s_mov_b64 s[66:67], 0
	s_branch .LBB93_6
.LBB93_5:                               ;   in Loop: Header=BB93_3 Depth=1
	s_mov_b64 s[64:65], -1
                                        ; implicit-def: $sgpr66_sgpr67
                                        ; implicit-def: $vgpr4_vgpr5
.LBB93_6:                               ;   in Loop: Header=BB93_3 Depth=1
	v_subrev_u32_e32 v4, s82, v8
	v_ashrrev_i32_e32 v3, 31, v3
	v_cndmask_b32_e64 v4, v8, v4, s[0:1]
	v_xor_b32_e32 v4, v4, v3
	v_sub_u32_e32 v3, v4, v3
	v_xor_b32_e32 v4, s78, v6
	v_add_u32_e32 v6, 1, v7
	v_cndmask_b32_e64 v6, v7, v6, s[2:3]
	v_add_u32_e32 v7, 1, v6
	v_cndmask_b32_e64 v6, v6, v7, s[4:5]
	v_xor_b32_e32 v6, v6, v4
	v_sub_u32_e32 v4, v6, v4
	s_andn2_b64 vcc, exec, s[64:65]
	v_mov_b64_e32 v[6:7], s[66:67]
	s_cbranch_vccnz .LBB93_34
; %bb.7:                                ;   in Loop: Header=BB93_3 Depth=1
	v_ashrrev_i32_e32 v5, 31, v2
	v_mov_b64_e32 v[6:7], s[6:7]
	v_mad_u64_u32 v[8:9], s[0:1], s14, v2, v[6:7]
	v_mul_lo_u32 v6, s15, v2
	v_mul_lo_u32 v7, s14, v5
	v_add_u32_e32 v24, s28, v4
	v_add_u32_e32 v25, s29, v3
	v_add3_u32 v9, v6, v9, v7
	s_mov_b32 s64, 0
	v_mov_b64_e32 v[6:7], 0
	s_branch .LBB93_9
.LBB93_8:                               ;   in Loop: Header=BB93_9 Depth=2
	s_add_i32 s64, s64, 1
	s_cmp_eq_u32 s64, s30
	v_lshl_add_u64 v[8:9], v[8:9], 0, s[22:23]
	s_cbranch_scc1 .LBB93_34
.LBB93_9:                               ;   Parent Loop BB93_3 Depth=1
                                        ; =>  This Loop Header: Depth=2
                                        ;       Child Loop BB93_18 Depth 3
                                        ;         Child Loop BB93_25 Depth 4
                                        ;           Child Loop BB93_32 Depth 5
	s_mul_i32 s0, s64, s16
	s_sub_i32 s68, s19, s0
	s_cmp_gt_i32 s68, -1
	s_cbranch_scc0 .LBB93_11
; %bb.10:                               ;   in Loop: Header=BB93_9 Depth=2
	s_abs_i32 s0, s68
	s_mul_hi_u32 s5, s0, s76
	s_mul_i32 s1, s5, s75
	s_sub_i32 s65, s0, s1
	s_ashr_i32 s4, s68, 31
	s_sub_i32 s66, s65, s75
	s_cmp_ge_u32 s65, s75
	s_cselect_b32 s0, s66, s65
	s_sub_i32 s1, s0, s75
	s_cmp_ge_u32 s0, s75
	s_cselect_b32 s0, s1, s0
	s_xor_b32 s0, s0, s4
	s_sub_i32 s0, s0, s4
	s_cmp_lg_u32 s0, 0
	s_mov_b32 s67, 1
	s_cselect_b64 s[0:1], -1, 0
	s_cbranch_execz .LBB93_12
	s_branch .LBB93_13
.LBB93_11:                              ;   in Loop: Header=BB93_9 Depth=2
	s_mov_b64 s[0:1], 0
                                        ; implicit-def: $sgpr67
                                        ; implicit-def: $sgpr4
                                        ; implicit-def: $sgpr5
                                        ; implicit-def: $sgpr65
                                        ; implicit-def: $sgpr66
.LBB93_12:                              ;   in Loop: Header=BB93_9 Depth=2
	s_abs_i32 s0, s68
	s_mul_hi_u32 s5, s0, s76
	s_mul_i32 s1, s5, s75
	s_sub_i32 s65, s0, s1
	s_ashr_i32 s4, s68, 31
	s_sub_i32 s66, s65, s75
	s_mov_b64 s[0:1], -1
                                        ; implicit-def: $sgpr67
.LBB93_13:                              ;   in Loop: Header=BB93_9 Depth=2
	s_andn2_b64 vcc, exec, s[0:1]
	s_cbranch_vccz .LBB93_15
; %bb.14:                               ;   in Loop: Header=BB93_9 Depth=2
	s_andn2_b64 vcc, exec, s[38:39]
	s_cbranch_vccz .LBB93_16
	s_branch .LBB93_8
.LBB93_15:                              ;   in Loop: Header=BB93_9 Depth=2
	s_mov_b32 s67, 0
	s_andn2_b64 vcc, exec, s[38:39]
	s_cbranch_vccnz .LBB93_8
.LBB93_16:                              ;   in Loop: Header=BB93_9 Depth=2
	s_xor_b32 s0, s4, s13
	s_add_i32 s1, s5, 1
	s_cmp_ge_u32 s65, s75
	s_cselect_b32 s1, s1, s5
	s_cselect_b32 s2, s66, s65
	s_add_i32 s3, s1, 1
	s_cmp_ge_u32 s2, s75
	s_cselect_b32 s1, s3, s1
	s_xor_b32 s1, s1, s0
	s_sub_i32 s0, s1, s0
	s_cmp_lt_i32 s0, s10
	s_cselect_b32 s66, s67, 0
	s_ashr_i32 s1, s0, 31
	s_mul_i32 s1, s60, s1
	s_mul_hi_u32 s2, s60, s0
	s_add_i32 s1, s2, s1
	s_mul_i32 s2, s61, s0
	s_add_i32 s1, s1, s2
	s_mul_i32 s0, s60, s0
	s_add_u32 s0, s70, s0
	s_mov_b32 s65, 0
	s_addc_u32 s1, s71, s1
	v_mov_b64_e32 v[10:11], v[8:9]
	s_branch .LBB93_18
.LBB93_17:                              ;   in Loop: Header=BB93_18 Depth=3
	s_add_i32 s65, s65, 1
	s_cmp_eq_u32 s65, s31
	v_lshl_add_u64 v[10:11], v[10:11], 0, s[48:49]
	s_cbranch_scc1 .LBB93_8
.LBB93_18:                              ;   Parent Loop BB93_3 Depth=1
                                        ;     Parent Loop BB93_9 Depth=2
                                        ; =>    This Loop Header: Depth=3
                                        ;         Child Loop BB93_25 Depth 4
                                        ;           Child Loop BB93_32 Depth 5
	s_mul_i32 s2, s65, s17
	v_subrev_u32_e32 v12, s2, v24
	v_cmp_gt_i32_e64 s[2:3], 0, v12
	v_cmp_lt_i32_e32 vcc, -1, v12
	v_ashrrev_i32_e32 v14, 31, v12
	v_sub_u32_e32 v13, 0, v12
                                        ; implicit-def: $sgpr67
	s_and_saveexec_b64 s[4:5], vcc
	s_cbranch_execnz .LBB93_21
; %bb.19:                               ;   in Loop: Header=BB93_18 Depth=3
	s_or_b64 exec, exec, s[4:5]
	v_mov_b32_e32 v15, s67
	s_and_saveexec_b64 s[4:5], s[2:3]
	s_cbranch_execnz .LBB93_22
.LBB93_20:                              ;   in Loop: Header=BB93_18 Depth=3
	s_or_b64 exec, exec, s[4:5]
	s_andn2_b64 vcc, exec, s[44:45]
	s_cbranch_vccz .LBB93_23
	s_branch .LBB93_17
.LBB93_21:                              ;   in Loop: Header=BB93_18 Depth=3
	v_max_i32_e32 v15, v12, v13
	v_mul_hi_u32 v16, v15, v22
	v_mul_lo_u32 v16, v16, s84
	v_sub_u32_e32 v15, v15, v16
	v_subrev_u32_e32 v16, s84, v15
	v_cmp_le_u32_e32 vcc, s84, v15
	s_andn2_b64 s[2:3], s[2:3], exec
	s_mov_b32 s67, 1
	v_cndmask_b32_e32 v15, v15, v16, vcc
	v_subrev_u32_e32 v16, s84, v15
	v_cmp_le_u32_e32 vcc, s84, v15
	s_nop 1
	v_cndmask_b32_e32 v15, v15, v16, vcc
	v_xor_b32_e32 v15, v15, v14
	v_sub_u32_e32 v15, v15, v14
	v_cmp_ne_u32_e32 vcc, 0, v15
	s_and_b64 s[68:69], vcc, exec
	s_or_b64 s[2:3], s[2:3], s[68:69]
	s_or_b64 exec, exec, s[4:5]
	v_mov_b32_e32 v15, s67
	s_and_saveexec_b64 s[4:5], s[2:3]
	s_cbranch_execz .LBB93_20
.LBB93_22:                              ;   in Loop: Header=BB93_18 Depth=3
	v_mov_b32_e32 v15, 0
	s_or_b64 exec, exec, s[4:5]
	s_andn2_b64 vcc, exec, s[44:45]
	s_cbranch_vccnz .LBB93_17
.LBB93_23:                              ;   in Loop: Header=BB93_18 Depth=3
	v_max_i32_e32 v12, v12, v13
	v_mul_hi_u32 v13, v12, v22
	v_mul_lo_u32 v16, v13, s84
	v_sub_u32_e32 v12, v12, v16
	v_add_u32_e32 v16, 1, v13
	v_cmp_le_u32_e32 vcc, s84, v12
	v_xor_b32_e32 v14, s83, v14
	s_mov_b32 s67, 0
	v_cndmask_b32_e32 v13, v13, v16, vcc
	v_subrev_u32_e32 v16, s84, v12
	v_cndmask_b32_e32 v12, v12, v16, vcc
	v_add_u32_e32 v16, 1, v13
	v_cmp_le_u32_e32 vcc, s84, v12
	s_nop 1
	v_cndmask_b32_e32 v12, v13, v16, vcc
	v_xor_b32_e32 v12, v12, v14
	v_sub_u32_e32 v14, v12, v14
	v_cmp_gt_i32_e32 vcc, s11, v14
	v_mul_lo_u32 v16, s55, v14
	s_nop 0
	v_cndmask_b32_e32 v12, 0, v15, vcc
	v_and_b32_e32 v26, s66, v12
	v_ashrrev_i32_e32 v12, 31, v14
	v_mul_lo_u32 v15, s54, v12
	v_mov_b64_e32 v[12:13], s[0:1]
	v_mad_u64_u32 v[12:13], s[2:3], s54, v14, v[12:13]
	v_add3_u32 v13, v16, v13, v15
	v_mov_b64_e32 v[14:15], v[10:11]
	s_branch .LBB93_25
.LBB93_24:                              ;   in Loop: Header=BB93_25 Depth=4
	s_add_i32 s67, s67, 1
	s_cmp_eq_u32 s67, s74
	v_lshl_add_u64 v[14:15], v[14:15], 0, s[50:51]
	s_cbranch_scc1 .LBB93_17
.LBB93_25:                              ;   Parent Loop BB93_3 Depth=1
                                        ;     Parent Loop BB93_9 Depth=2
                                        ;       Parent Loop BB93_18 Depth=3
                                        ; =>      This Loop Header: Depth=4
                                        ;           Child Loop BB93_32 Depth 5
	s_mul_i32 s2, s67, s18
	v_subrev_u32_e32 v16, s2, v25
	v_sub_u32_e32 v18, 0, v16
	v_cmp_gt_i32_e64 s[2:3], 0, v16
	v_cmp_lt_i32_e32 vcc, -1, v16
	v_ashrrev_i32_e32 v17, 31, v16
	v_max_i32_e32 v16, v16, v18
                                        ; implicit-def: $sgpr68
	s_and_saveexec_b64 s[4:5], vcc
	s_cbranch_execnz .LBB93_28
; %bb.26:                               ;   in Loop: Header=BB93_25 Depth=4
	s_or_b64 exec, exec, s[4:5]
	v_mov_b32_e32 v18, s68
	s_and_saveexec_b64 s[4:5], s[2:3]
	s_cbranch_execnz .LBB93_29
.LBB93_27:                              ;   in Loop: Header=BB93_25 Depth=4
	s_or_b64 exec, exec, s[4:5]
	s_andn2_b64 vcc, exec, s[46:47]
	s_cbranch_vccz .LBB93_30
	s_branch .LBB93_24
.LBB93_28:                              ;   in Loop: Header=BB93_25 Depth=4
	v_mul_hi_u32 v18, v16, v23
	v_mul_lo_u32 v18, v18, s86
	v_sub_u32_e32 v18, v16, v18
	v_subrev_u32_e32 v19, s86, v18
	v_cmp_le_u32_e32 vcc, s86, v18
	s_andn2_b64 s[2:3], s[2:3], exec
	s_mov_b32 s68, 1
	v_cndmask_b32_e32 v18, v18, v19, vcc
	v_subrev_u32_e32 v19, s86, v18
	v_cmp_le_u32_e32 vcc, s86, v18
	s_nop 1
	v_cndmask_b32_e32 v18, v18, v19, vcc
	v_xor_b32_e32 v18, v18, v17
	v_sub_u32_e32 v18, v18, v17
	v_cmp_ne_u32_e32 vcc, 0, v18
	s_and_b64 s[88:89], vcc, exec
	s_or_b64 s[2:3], s[2:3], s[88:89]
	s_or_b64 exec, exec, s[4:5]
	v_mov_b32_e32 v18, s68
	s_and_saveexec_b64 s[4:5], s[2:3]
	s_cbranch_execz .LBB93_27
.LBB93_29:                              ;   in Loop: Header=BB93_25 Depth=4
	v_mov_b32_e32 v18, 0
	s_or_b64 exec, exec, s[4:5]
	s_andn2_b64 vcc, exec, s[46:47]
	s_cbranch_vccnz .LBB93_24
.LBB93_30:                              ;   in Loop: Header=BB93_25 Depth=4
	v_mul_hi_u32 v19, v16, v23
	v_mul_lo_u32 v27, v19, s86
	v_sub_u32_e32 v16, v16, v27
	v_add_u32_e32 v27, 1, v19
	v_cmp_le_u32_e32 vcc, s86, v16
	v_xor_b32_e32 v17, s85, v17
	s_mov_b32 s4, s8
	v_cndmask_b32_e32 v19, v19, v27, vcc
	v_subrev_u32_e32 v27, s86, v16
	v_cndmask_b32_e32 v16, v16, v27, vcc
	v_add_u32_e32 v27, 1, v19
	v_cmp_le_u32_e32 vcc, s86, v16
	s_nop 1
	v_cndmask_b32_e32 v16, v19, v27, vcc
	v_xor_b32_e32 v16, v16, v17
	v_sub_u32_e32 v16, v16, v17
	v_cmp_gt_i32_e32 vcc, s12, v16
	v_mul_lo_u32 v19, s57, v16
	s_nop 0
	v_cndmask_b32_e32 v17, 0, v18, vcc
	v_and_b32_e32 v17, v26, v17
	v_cmp_ne_u32_e32 vcc, 0, v17
	v_ashrrev_i32_e32 v17, 31, v16
	v_mul_lo_u32 v18, s56, v17
	v_mad_u64_u32 v[16:17], s[2:3], s56, v16, v[12:13]
	v_add3_u32 v17, v19, v17, v18
	v_mov_b64_e32 v[18:19], v[14:15]
	s_branch .LBB93_32
.LBB93_31:                              ;   in Loop: Header=BB93_32 Depth=5
	s_or_b64 exec, exec, s[2:3]
	s_add_i32 s4, s4, -1
	v_lshl_add_u64 v[18:19], v[18:19], 0, s[52:53]
	s_cmp_eq_u32 s4, 0
	v_lshl_add_u64 v[16:17], v[16:17], 0, s[58:59]
	s_cbranch_scc1 .LBB93_24
.LBB93_32:                              ;   Parent Loop BB93_3 Depth=1
                                        ;     Parent Loop BB93_9 Depth=2
                                        ;       Parent Loop BB93_18 Depth=3
                                        ;         Parent Loop BB93_25 Depth=4
                                        ; =>        This Inner Loop Header: Depth=5
	s_and_saveexec_b64 s[2:3], vcc
	s_cbranch_execz .LBB93_31
; %bb.33:                               ;   in Loop: Header=BB93_32 Depth=5
	global_load_dword v27, v[16:17], off
	global_load_dword v30, v[18:19], off
	s_waitcnt vmcnt(1)
	v_cvt_f64_f32_e32 v[28:29], v27
	s_waitcnt vmcnt(0)
	v_cvt_f64_f32_e32 v[30:31], v30
	v_fmac_f64_e32 v[6:7], v[28:29], v[30:31]
	s_branch .LBB93_31
.LBB93_34:                              ;   in Loop: Header=BB93_3 Depth=1
	v_ashrrev_i32_e32 v8, 31, v4
	v_mul_lo_u32 v10, s43, v4
	v_mul_lo_u32 v11, s42, v8
	v_mad_u64_u32 v[8:9], s[0:1], s42, v4, 0
	v_ashrrev_i32_e32 v4, 31, v3
	v_add3_u32 v9, v9, v11, v10
	v_mul_lo_u32 v12, s41, v3
	v_mul_lo_u32 v4, s40, v4
	v_mad_u64_u32 v[10:11], s[0:1], s40, v3, 0
	v_add3_u32 v11, v11, v4, v12
	v_mul_lo_u32 v4, v5, s36
	v_mul_lo_u32 v5, v2, s37
	v_mad_u64_u32 v[2:3], s[0:1], v2, s36, 0
	v_add3_u32 v3, v3, v5, v4
	v_lshl_add_u64 v[4:5], v[8:9], 2, s[20:21]
	v_lshl_add_u64 v[4:5], v[10:11], 2, v[4:5]
	s_andn2_b64 vcc, exec, s[72:73]
	v_lshl_add_u64 v[2:3], v[2:3], 2, v[4:5]
	s_cbranch_vccnz .LBB93_2
; %bb.35:                               ;   in Loop: Header=BB93_3 Depth=1
	global_load_dword v4, v[2:3], off
	s_waitcnt vmcnt(0)
	v_cvt_f64_f32_e32 v[4:5], v4
	v_mul_f64 v[4:5], v[4:5], s[26:27]
	v_fmac_f64_e32 v[4:5], s[24:25], v[6:7]
	v_mov_b64_e32 v[6:7], v[4:5]
	s_branch .LBB93_2
.LBB93_36:
	s_endpgm
	.section	.rodata,"a",@progbits
	.p2align	6, 0x0
	.amdhsa_kernel naive_conv_ab_nonpacked_bwd_ndhwc_float_double_float_0
		.amdhsa_group_segment_fixed_size 0
		.amdhsa_private_segment_fixed_size 0
		.amdhsa_kernarg_size 528
		.amdhsa_user_sgpr_count 2
		.amdhsa_user_sgpr_dispatch_ptr 0
		.amdhsa_user_sgpr_queue_ptr 0
		.amdhsa_user_sgpr_kernarg_segment_ptr 1
		.amdhsa_user_sgpr_dispatch_id 0
		.amdhsa_user_sgpr_kernarg_preload_length 0
		.amdhsa_user_sgpr_kernarg_preload_offset 0
		.amdhsa_user_sgpr_private_segment_size 0
		.amdhsa_uses_dynamic_stack 0
		.amdhsa_enable_private_segment 0
		.amdhsa_system_sgpr_workgroup_id_x 1
		.amdhsa_system_sgpr_workgroup_id_y 0
		.amdhsa_system_sgpr_workgroup_id_z 0
		.amdhsa_system_sgpr_workgroup_info 0
		.amdhsa_system_vgpr_workitem_id 0
		.amdhsa_next_free_vgpr 32
		.amdhsa_next_free_sgpr 96
		.amdhsa_accum_offset 32
		.amdhsa_reserve_vcc 1
		.amdhsa_float_round_mode_32 0
		.amdhsa_float_round_mode_16_64 0
		.amdhsa_float_denorm_mode_32 3
		.amdhsa_float_denorm_mode_16_64 3
		.amdhsa_dx10_clamp 1
		.amdhsa_ieee_mode 1
		.amdhsa_fp16_overflow 0
		.amdhsa_tg_split 0
		.amdhsa_exception_fp_ieee_invalid_op 0
		.amdhsa_exception_fp_denorm_src 0
		.amdhsa_exception_fp_ieee_div_zero 0
		.amdhsa_exception_fp_ieee_overflow 0
		.amdhsa_exception_fp_ieee_underflow 0
		.amdhsa_exception_fp_ieee_inexact 0
		.amdhsa_exception_int_div_zero 0
	.end_amdhsa_kernel
	.text
.Lfunc_end93:
	.size	naive_conv_ab_nonpacked_bwd_ndhwc_float_double_float_0, .Lfunc_end93-naive_conv_ab_nonpacked_bwd_ndhwc_float_double_float_0
                                        ; -- End function
	.section	.AMDGPU.csdata,"",@progbits
; Kernel info:
; codeLenInByte = 2664
; NumSgprs: 102
; NumVgprs: 32
; NumAgprs: 0
; TotalNumVgprs: 32
; ScratchSize: 0
; MemoryBound: 0
; FloatMode: 240
; IeeeMode: 1
; LDSByteSize: 0 bytes/workgroup (compile time only)
; SGPRBlocks: 12
; VGPRBlocks: 3
; NumSGPRsForWavesPerEU: 102
; NumVGPRsForWavesPerEU: 32
; AccumOffset: 32
; Occupancy: 7
; WaveLimiterHint : 1
; COMPUTE_PGM_RSRC2:SCRATCH_EN: 0
; COMPUTE_PGM_RSRC2:USER_SGPR: 2
; COMPUTE_PGM_RSRC2:TRAP_HANDLER: 0
; COMPUTE_PGM_RSRC2:TGID_X_EN: 1
; COMPUTE_PGM_RSRC2:TGID_Y_EN: 0
; COMPUTE_PGM_RSRC2:TGID_Z_EN: 0
; COMPUTE_PGM_RSRC2:TIDIG_COMP_CNT: 0
; COMPUTE_PGM_RSRC3_GFX90A:ACCUM_OFFSET: 7
; COMPUTE_PGM_RSRC3_GFX90A:TG_SPLIT: 0
	.text
	.protected	naive_conv_ab_packed_bwd_ndhwc_float_double_float_1 ; -- Begin function naive_conv_ab_packed_bwd_ndhwc_float_double_float_1
	.globl	naive_conv_ab_packed_bwd_ndhwc_float_double_float_1
	.p2align	8
	.type	naive_conv_ab_packed_bwd_ndhwc_float_double_float_1,@function
naive_conv_ab_packed_bwd_ndhwc_float_double_float_1: ; @naive_conv_ab_packed_bwd_ndhwc_float_double_float_1
; %bb.0:
	s_load_dwordx16 s[4:19], s[0:1], 0xb8
	s_abs_i32 s36, s2
	s_waitcnt lgkmcnt(0)
	s_abs_i32 s3, s4
	v_cvt_f32_u32_e32 v1, s3
	s_sub_i32 s20, 0, s3
	s_mul_i32 s28, s7, s4
	v_rcp_iflag_f32_e32 v1, v1
	s_nop 0
	v_mul_f32_e32 v1, 0x4f7ffffe, v1
	v_cvt_u32_f32_e32 v1, v1
	s_nop 0
	v_readfirstlane_b32 s21, v1
	s_mul_i32 s20, s20, s21
	s_mul_hi_u32 s20, s21, s20
	s_add_i32 s21, s21, s20
	s_mul_hi_u32 s20, s36, s21
	s_mul_i32 s21, s20, s3
	s_sub_i32 s21, s36, s21
	s_add_i32 s22, s20, 1
	s_sub_i32 s23, s21, s3
	s_cmp_ge_u32 s21, s3
	s_cselect_b32 s20, s22, s20
	s_cselect_b32 s21, s23, s21
	s_add_i32 s22, s20, 1
	s_cmp_ge_u32 s21, s3
	s_cselect_b32 s29, s22, s20
	s_abs_i32 s38, s7
	s_abs_i32 s37, s28
	v_cvt_f32_u32_e32 v1, s38
	v_cvt_f32_u32_e32 v2, s37
	s_mul_i32 s3, s9, s6
	s_mul_i32 s7, s3, s5
	v_rcp_iflag_f32_e32 v1, v1
	v_rcp_iflag_f32_e32 v2, v2
	v_cmp_gt_i32_e32 vcc, s7, v0
	v_mul_f32_e32 v1, 0x4f7ffffe, v1
	v_mul_f32_e32 v2, 0x4f7ffffe, v2
	v_cvt_u32_f32_e32 v1, v1
	v_cvt_u32_f32_e32 v2, v2
	v_readfirstlane_b32 s31, v1
	v_readfirstlane_b32 s30, v2
	s_and_saveexec_b64 s[20:21], vcc
	s_cbranch_execz .LBB94_36
; %bb.1:
	s_ashr_i32 s39, s2, 31
	s_ashr_i32 s33, s4, 31
	s_xor_b32 s33, s39, s33
	s_xor_b32 s29, s29, s33
	s_sub_i32 s40, s29, s33
	s_sub_i32 s29, 0, s38
	s_mul_i32 s29, s29, s31
	s_mul_hi_u32 s29, s31, s29
	s_ashr_i32 s44, s28, 31
	s_sub_i32 s28, 0, s37
	s_abs_i32 s42, s40
	s_add_i32 s31, s31, s29
	s_mul_i32 s28, s28, s30
	s_mul_hi_u32 s43, s42, s31
	s_mul_hi_u32 s28, s30, s28
	s_add_i32 s30, s30, s28
	s_mul_i32 s43, s43, s38
	s_load_dwordx8 s[20:27], s[0:1], 0x0
	s_ashr_i32 s41, s40, 31
	s_load_dwordx2 s[34:35], s[0:1], 0x108
	s_mul_hi_u32 s45, s36, s30
	s_load_dwordx2 s[48:49], s[0:1], 0x20
	s_load_dwordx4 s[28:31], s[0:1], 0xf8
	s_load_dword s50, s[0:1], 0x11c
	s_mul_i32 s40, s40, s4
	s_sub_i32 s0, s42, s43
	s_sub_i32 s2, s2, s40
	;; [unrolled: 1-line block ×3, first 2 shown]
	s_cmp_ge_u32 s0, s38
	s_cselect_b32 s0, s1, s0
	s_sub_i32 s1, s0, s38
	s_cmp_ge_u32 s0, s38
	s_cselect_b32 s0, s1, s0
	s_mul_i32 s1, s45, s37
	s_xor_b32 s0, s0, s41
	s_sub_i32 s1, s36, s1
	s_sub_i32 s51, s0, s41
	s_xor_b32 s0, s39, s44
	s_add_i32 s36, s45, 1
	s_sub_i32 s38, s1, s37
	s_cmp_ge_u32 s1, s37
	s_cselect_b32 s36, s36, s45
	s_cselect_b32 s1, s38, s1
	s_add_i32 s38, s36, 1
	s_cmp_ge_u32 s1, s37
	s_cselect_b32 s1, s38, s36
	s_waitcnt lgkmcnt(0)
	s_mul_i32 s33, s35, s8
	s_mul_i32 s35, s35, s9
	s_xor_b32 s1, s1, s0
	s_sub_i32 s36, s1, s0
	s_ashr_i32 s52, s51, 31
	s_mul_hi_i32 s0, s51, s4
	s_mul_i32 s1, s51, s4
	s_ashr_i32 s62, s35, 31
	s_ashr_i32 s4, s2, 31
	s_add_u32 s37, s1, s2
	s_addc_u32 s0, s0, s4
	s_mul_i32 s4, s6, s5
	s_mul_hi_i32 s1, s6, s5
	s_mul_hi_u32 s5, s4, s35
	s_mul_i32 s38, s4, s62
	s_add_i32 s5, s5, s38
	s_mul_i32 s1, s1, s35
	s_mul_i32 s4, s4, s35
	s_add_i32 s1, s5, s1
	s_mul_i32 s0, s4, s0
	s_mul_hi_u32 s5, s4, s37
	s_add_i32 s0, s5, s0
	s_mul_i32 s1, s1, s37
	s_add_i32 s1, s0, s1
	s_mul_i32 s0, s4, s37
	s_ashr_i32 s37, s9, 31
	s_lshl_b64 s[0:1], s[0:1], 2
	s_mul_hi_i32 s5, s36, s9
	s_mul_i32 s4, s36, s9
	s_add_u32 s20, s20, s0
	s_addc_u32 s21, s21, s1
	s_lshl_b64 s[0:1], s[4:5], 2
	s_add_u32 s20, s20, s0
	s_addc_u32 s21, s21, s1
	s_ashr_i32 s53, s30, 31
	s_ashr_i32 s54, s10, 31
	;; [unrolled: 1-line block ×4, first 2 shown]
	s_cmp_lt_i32 s30, 1
	s_cselect_b64 s[38:39], -1, 0
	s_add_i32 s19, s2, s19
	s_cmp_gt_i32 s31, 0
	s_cselect_b64 s[40:41], -1, 0
	s_cmp_gt_i32 s34, 0
	s_cselect_b64 s[42:43], -1, 0
	;; [unrolled: 2-line block ×3, first 2 shown]
	s_abs_i32 s66, s13
	v_cvt_f32_u32_e32 v1, s66
	v_cmp_neq_f64_e64 s[0:1], s[24:25], 1.0
	v_cmp_neq_f64_e64 s[4:5], s[26:27], 0
	s_abs_i32 s67, s9
	v_rcp_iflag_f32_e32 v1, v1
	s_or_b64 s[46:47], s[0:1], s[4:5]
	s_sub_i32 s0, 0, s66
	s_abs_i32 s68, s6
	v_mul_f32_e32 v1, 0x4f7ffffe, v1
	v_cvt_u32_f32_e32 v1, v1
	s_abs_i32 s70, s3
	s_abs_i32 s74, s14
	;; [unrolled: 1-line block ×3, first 2 shown]
	v_readfirstlane_b32 s1, v1
	v_cvt_f32_u32_e32 v1, s67
	s_mul_i32 s0, s0, s1
	s_mul_hi_u32 s0, s1, s0
	s_add_i32 s72, s1, s0
	v_rcp_iflag_f32_e32 v1, v1
	s_mul_hi_i32 s1, s8, s36
	s_mul_i32 s0, s8, s36
	s_and_b32 s65, s50, 0xffff
	s_sub_i32 s50, 0, s67
	s_sub_i32 s55, 0, s68
	s_ashr_i32 s69, s3, 31
	s_sub_i32 s58, 0, s70
	s_ashr_i32 s71, s13, 31
	s_ashr_i32 s73, s14, 31
	s_sub_i32 s13, 0, s74
	s_ashr_i32 s75, s15, 31
	s_sub_i32 s59, 0, s76
	s_lshl_b64 s[2:3], s[0:1], 2
	s_add_u32 s14, s48, s2
	s_mul_i32 s2, s12, s11
	v_cvt_f32_u32_e32 v3, s68
	s_addc_u32 s15, s49, s3
	s_mul_i32 s3, s2, s54
	s_mul_hi_u32 s4, s2, s10
	v_mul_f32_e32 v1, 0x4f7ffffe, v1
	v_cvt_f32_u32_e32 v4, s70
	s_add_i32 s3, s4, s3
	s_mul_hi_i32 s4, s12, s11
	v_cvt_u32_f32_e32 v1, v1
	v_cvt_f32_u32_e32 v5, s74
	s_mul_i32 s4, s4, s10
	s_mul_i32 s2, s2, s10
	s_add_i32 s3, s3, s4
	s_mul_i32 s4, s2, s52
	s_mul_hi_u32 s5, s2, s51
	v_rcp_iflag_f32_e32 v3, v3
	v_cvt_f32_u32_e32 v9, s76
	s_add_i32 s4, s5, s4
	s_mul_i32 s3, s3, s51
	v_rcp_iflag_f32_e32 v4, v4
	s_add_i32 s3, s4, s3
	s_mul_i32 s4, s34, s31
	v_mul_lo_u32 v2, s50, v1
	v_rcp_iflag_f32_e32 v5, v5
	s_mul_i32 s5, s4, s37
	s_mul_hi_u32 s36, s4, s9
	v_mul_hi_u32 v2, v1, v2
	s_add_i32 s5, s36, s5
	s_mul_hi_i32 s36, s34, s31
	v_mul_f32_e32 v3, 0x4f7ffffe, v3
	v_add_u32_e32 v1, v1, v2
	v_rcp_iflag_f32_e32 v2, v9
	s_mul_i32 s36, s36, s9
	s_mul_i32 s4, s4, s9
	v_cvt_u32_f32_e32 v3, v3
	v_mul_f32_e32 v4, 0x4f7ffffe, v4
	s_add_i32 s5, s5, s36
	s_mul_i32 s36, s4, s53
	s_mul_hi_u32 s48, s4, s30
	v_cvt_u32_f32_e32 v4, v4
	v_mul_f32_e32 v5, 0x4f7ffffe, v5
	s_add_i32 s36, s48, s36
	s_mul_i32 s48, s5, s30
	v_cvt_u32_f32_e32 v5, v5
	s_add_i32 s57, s36, s48
	s_mul_i32 s56, s4, s30
	v_mul_f32_e32 v2, 0x4f7ffffe, v2
	s_mul_i32 s36, s0, s57
	s_mul_hi_u32 s48, s0, s56
	v_mul_lo_u32 v6, s55, v3
	v_cvt_u32_f32_e32 v2, v2
	s_add_i32 s36, s48, s36
	s_mul_i32 s1, s1, s56
	v_mul_lo_u32 v7, s58, v4
	v_mul_hi_u32 v6, v3, v6
	s_mul_i32 s2, s2, s51
	s_add_i32 s1, s36, s1
	s_mul_i32 s0, s0, s56
	v_mul_lo_u32 v8, s13, v5
	v_add_u32_e32 v20, v3, v6
	v_mul_hi_u32 v3, v4, v7
	s_lshl_b64 s[48:49], s[2:3], 2
	s_lshl_b64 s[0:1], s[0:1], 2
	v_add_u32_e32 v21, v4, v3
	v_mul_hi_u32 v3, v5, v8
	s_add_u32 s22, s22, s0
	v_add_u32_e32 v22, v5, v3
	v_mul_lo_u32 v3, s59, v2
	s_addc_u32 s23, s23, s1
	s_mov_b32 s36, s9
	v_mul_hi_u32 v3, v2, v3
	s_mul_hi_i32 s1, s34, s9
	s_mul_i32 s0, s34, s9
	s_mov_b32 s77, s12
	s_mov_b64 s[12:13], 0
	v_add_u32_e32 v23, v2, v3
	s_lshl_b64 s[50:51], s[4:5], 2
	s_lshl_b64 s[52:53], s[0:1], 2
	;; [unrolled: 1-line block ×4, first 2 shown]
	s_branch .LBB94_3
.LBB94_2:                               ;   in Loop: Header=BB94_3 Depth=1
	v_add_u32_e32 v0, s65, v0
	v_cmp_le_i32_e32 vcc, s7, v0
	v_cvt_f32_f64_e32 v4, v[4:5]
	s_or_b64 s[12:13], vcc, s[12:13]
	global_store_dword v[2:3], v4, off
	s_andn2_b64 exec, exec, s[12:13]
	s_cbranch_execz .LBB94_36
.LBB94_3:                               ; =>This Loop Header: Depth=1
                                        ;     Child Loop BB94_9 Depth 2
                                        ;       Child Loop BB94_18 Depth 3
                                        ;         Child Loop BB94_25 Depth 4
                                        ;           Child Loop BB94_32 Depth 5
	v_sub_u32_e32 v3, 0, v0
	v_max_i32_e32 v3, v0, v3
	v_mul_hi_u32 v5, v3, v1
	v_mul_lo_u32 v6, v5, s67
	v_sub_u32_e32 v6, v3, v6
	v_add_u32_e32 v7, 1, v5
	v_cmp_le_u32_e32 vcc, s67, v6
	v_ashrrev_i32_e32 v4, 31, v0
	v_xor_b32_e32 v2, s37, v4
	v_cndmask_b32_e32 v5, v5, v7, vcc
	v_subrev_u32_e32 v7, s67, v6
	v_cndmask_b32_e32 v6, v6, v7, vcc
	v_add_u32_e32 v7, 1, v5
	v_cmp_le_u32_e32 vcc, s67, v6
	s_nop 1
	v_cndmask_b32_e32 v5, v5, v7, vcc
	v_xor_b32_e32 v5, v5, v2
	v_sub_u32_e32 v5, v5, v2
	v_sub_u32_e32 v6, 0, v5
	v_max_i32_e32 v6, v5, v6
	v_mul_hi_u32 v7, v6, v20
	v_mul_lo_u32 v7, v7, s68
	v_sub_u32_e32 v6, v6, v7
	v_subrev_u32_e32 v7, s68, v6
	v_cmp_le_u32_e32 vcc, s68, v6
	v_mul_lo_u32 v2, v5, s36
	v_sub_u32_e32 v2, v0, v2
	v_cndmask_b32_e32 v6, v6, v7, vcc
	v_mul_hi_u32 v7, v3, v21
	v_mul_lo_u32 v8, v7, s70
	v_sub_u32_e32 v3, v3, v8
	v_subrev_u32_e32 v8, s70, v3
	v_cmp_le_u32_e64 s[2:3], s70, v3
	v_cmp_le_u32_e64 s[0:1], s68, v6
	s_andn2_b64 vcc, exec, s[38:39]
	v_cndmask_b32_e64 v3, v3, v8, s[2:3]
	v_cmp_le_u32_e64 s[4:5], s70, v3
	s_cbranch_vccnz .LBB94_5
; %bb.4:                                ;   in Loop: Header=BB94_3 Depth=1
	v_ashrrev_i32_e32 v3, 31, v2
	s_mov_b64 s[58:59], 0
	s_mov_b64 s[60:61], 0
	s_branch .LBB94_6
.LBB94_5:                               ;   in Loop: Header=BB94_3 Depth=1
	s_mov_b64 s[58:59], -1
                                        ; implicit-def: $sgpr60_sgpr61
.LBB94_6:                               ;   in Loop: Header=BB94_3 Depth=1
	v_subrev_u32_e32 v8, s68, v6
	v_ashrrev_i32_e32 v5, 31, v5
	v_cndmask_b32_e64 v6, v6, v8, s[0:1]
	v_xor_b32_e32 v6, v6, v5
	v_sub_u32_e32 v6, v6, v5
	v_add_u32_e32 v5, 1, v7
	v_cndmask_b32_e64 v5, v7, v5, s[2:3]
	v_add_u32_e32 v7, 1, v5
	v_xor_b32_e32 v4, s69, v4
	v_cndmask_b32_e64 v5, v5, v7, s[4:5]
	v_xor_b32_e32 v5, v5, v4
	v_sub_u32_e32 v24, v5, v4
	s_andn2_b64 vcc, exec, s[58:59]
	v_mov_b64_e32 v[4:5], s[60:61]
	s_cbranch_vccnz .LBB94_34
; %bb.7:                                ;   in Loop: Header=BB94_3 Depth=1
	v_ashrrev_i32_e32 v3, 31, v2
	v_add_u32_e32 v7, s28, v24
	v_add_u32_e32 v25, s29, v6
	v_lshl_add_u64 v[8:9], v[2:3], 2, s[22:23]
	s_mov_b32 s9, 0
	v_mov_b64_e32 v[4:5], 0
	s_branch .LBB94_9
.LBB94_8:                               ;   in Loop: Header=BB94_9 Depth=2
	s_add_i32 s9, s9, 1
	s_cmp_eq_u32 s9, s30
	v_lshl_add_u64 v[8:9], v[8:9], 0, s[50:51]
	s_cbranch_scc1 .LBB94_34
.LBB94_9:                               ;   Parent Loop BB94_3 Depth=1
                                        ; =>  This Loop Header: Depth=2
                                        ;       Child Loop BB94_18 Depth 3
                                        ;         Child Loop BB94_25 Depth 4
                                        ;           Child Loop BB94_32 Depth 5
	s_mul_i32 s0, s9, s16
	s_sub_i32 s61, s19, s0
	s_cmp_gt_i32 s61, -1
	s_cbranch_scc0 .LBB94_11
; %bb.10:                               ;   in Loop: Header=BB94_9 Depth=2
	s_abs_i32 s0, s61
	s_mul_hi_u32 s5, s0, s72
	s_mul_i32 s1, s5, s66
	s_sub_i32 s58, s0, s1
	s_ashr_i32 s4, s61, 31
	s_sub_i32 s59, s58, s66
	s_cmp_ge_u32 s58, s66
	s_cselect_b32 s0, s59, s58
	s_sub_i32 s1, s0, s66
	s_cmp_ge_u32 s0, s66
	s_cselect_b32 s0, s1, s0
	s_xor_b32 s0, s0, s4
	s_sub_i32 s0, s0, s4
	s_cmp_lg_u32 s0, 0
	s_mov_b32 s60, 1
	s_cselect_b64 s[0:1], -1, 0
	s_cbranch_execz .LBB94_12
	s_branch .LBB94_13
.LBB94_11:                              ;   in Loop: Header=BB94_9 Depth=2
	s_mov_b64 s[0:1], 0
                                        ; implicit-def: $sgpr60
                                        ; implicit-def: $sgpr4
                                        ; implicit-def: $sgpr5
                                        ; implicit-def: $sgpr58
                                        ; implicit-def: $sgpr59
.LBB94_12:                              ;   in Loop: Header=BB94_9 Depth=2
	s_abs_i32 s0, s61
	s_mul_hi_u32 s5, s0, s72
	s_mul_i32 s1, s5, s66
	s_sub_i32 s58, s0, s1
	s_ashr_i32 s4, s61, 31
	s_sub_i32 s59, s58, s66
	s_mov_b64 s[0:1], -1
                                        ; implicit-def: $sgpr60
.LBB94_13:                              ;   in Loop: Header=BB94_9 Depth=2
	s_andn2_b64 vcc, exec, s[0:1]
	s_cbranch_vccz .LBB94_15
; %bb.14:                               ;   in Loop: Header=BB94_9 Depth=2
	s_andn2_b64 vcc, exec, s[40:41]
	s_cbranch_vccz .LBB94_16
	s_branch .LBB94_8
.LBB94_15:                              ;   in Loop: Header=BB94_9 Depth=2
	s_mov_b32 s60, 0
	s_andn2_b64 vcc, exec, s[40:41]
	s_cbranch_vccnz .LBB94_8
.LBB94_16:                              ;   in Loop: Header=BB94_9 Depth=2
	s_xor_b32 s0, s4, s71
	s_add_i32 s1, s5, 1
	s_cmp_ge_u32 s58, s66
	s_cselect_b32 s1, s1, s5
	s_cselect_b32 s2, s59, s58
	s_add_i32 s3, s1, 1
	s_cmp_ge_u32 s2, s66
	s_cselect_b32 s1, s3, s1
	s_xor_b32 s1, s1, s0
	s_sub_i32 s0, s1, s0
	s_cmp_lt_i32 s0, s10
	s_mov_b32 s58, 0
	s_cselect_b32 s59, s60, 0
	s_mul_hi_i32 s1, s0, s11
	s_mul_i32 s0, s0, s11
	v_mov_b64_e32 v[10:11], v[8:9]
	s_branch .LBB94_18
.LBB94_17:                              ;   in Loop: Header=BB94_18 Depth=3
	s_add_i32 s58, s58, 1
	s_cmp_eq_u32 s58, s31
	v_lshl_add_u64 v[10:11], v[10:11], 0, s[52:53]
	s_cbranch_scc1 .LBB94_8
.LBB94_18:                              ;   Parent Loop BB94_3 Depth=1
                                        ;     Parent Loop BB94_9 Depth=2
                                        ; =>    This Loop Header: Depth=3
                                        ;         Child Loop BB94_25 Depth 4
                                        ;           Child Loop BB94_32 Depth 5
	s_mul_i32 s2, s58, s17
	v_subrev_u32_e32 v12, s2, v7
	v_cmp_gt_i32_e64 s[2:3], 0, v12
	v_cmp_lt_i32_e32 vcc, -1, v12
	v_ashrrev_i32_e32 v14, 31, v12
	v_sub_u32_e32 v13, 0, v12
                                        ; implicit-def: $sgpr60
	s_and_saveexec_b64 s[4:5], vcc
	s_cbranch_execnz .LBB94_21
; %bb.19:                               ;   in Loop: Header=BB94_18 Depth=3
	s_or_b64 exec, exec, s[4:5]
	v_mov_b32_e32 v15, s60
	s_and_saveexec_b64 s[4:5], s[2:3]
	s_cbranch_execnz .LBB94_22
.LBB94_20:                              ;   in Loop: Header=BB94_18 Depth=3
	s_or_b64 exec, exec, s[4:5]
	s_andn2_b64 vcc, exec, s[42:43]
	s_cbranch_vccz .LBB94_23
	s_branch .LBB94_17
.LBB94_21:                              ;   in Loop: Header=BB94_18 Depth=3
	v_max_i32_e32 v15, v12, v13
	v_mul_hi_u32 v16, v15, v22
	v_mul_lo_u32 v16, v16, s74
	v_sub_u32_e32 v15, v15, v16
	v_subrev_u32_e32 v16, s74, v15
	v_cmp_le_u32_e32 vcc, s74, v15
	s_andn2_b64 s[2:3], s[2:3], exec
	s_mov_b32 s60, 1
	v_cndmask_b32_e32 v15, v15, v16, vcc
	v_subrev_u32_e32 v16, s74, v15
	v_cmp_le_u32_e32 vcc, s74, v15
	s_nop 1
	v_cndmask_b32_e32 v15, v15, v16, vcc
	v_xor_b32_e32 v15, v15, v14
	v_sub_u32_e32 v15, v15, v14
	v_cmp_ne_u32_e32 vcc, 0, v15
	s_and_b64 s[78:79], vcc, exec
	s_or_b64 s[2:3], s[2:3], s[78:79]
	s_or_b64 exec, exec, s[4:5]
	v_mov_b32_e32 v15, s60
	s_and_saveexec_b64 s[4:5], s[2:3]
	s_cbranch_execz .LBB94_20
.LBB94_22:                              ;   in Loop: Header=BB94_18 Depth=3
	v_mov_b32_e32 v15, 0
	s_or_b64 exec, exec, s[4:5]
	s_andn2_b64 vcc, exec, s[42:43]
	s_cbranch_vccnz .LBB94_17
.LBB94_23:                              ;   in Loop: Header=BB94_18 Depth=3
	v_max_i32_e32 v12, v12, v13
	v_mul_hi_u32 v13, v12, v22
	v_mul_lo_u32 v16, v13, s74
	v_sub_u32_e32 v12, v12, v16
	v_add_u32_e32 v16, 1, v13
	v_cmp_le_u32_e32 vcc, s74, v12
	v_xor_b32_e32 v14, s73, v14
	s_mov_b32 s60, 0
	v_cndmask_b32_e32 v13, v13, v16, vcc
	v_subrev_u32_e32 v16, s74, v12
	v_cndmask_b32_e32 v12, v12, v16, vcc
	v_add_u32_e32 v16, 1, v13
	v_cmp_le_u32_e32 vcc, s74, v12
	s_nop 1
	v_cndmask_b32_e32 v12, v13, v16, vcc
	v_xor_b32_e32 v12, v12, v14
	v_sub_u32_e32 v12, v12, v14
	v_cmp_gt_i32_e32 vcc, s11, v12
	s_nop 1
	v_cndmask_b32_e32 v13, 0, v15, vcc
	v_and_b32_e32 v26, s59, v13
	v_ashrrev_i32_e32 v13, 31, v12
	v_lshl_add_u64 v[12:13], s[0:1], 0, v[12:13]
	v_mul_lo_u32 v14, v13, s77
	v_mul_lo_u32 v15, v12, s63
	v_mad_u64_u32 v[12:13], s[2:3], v12, s77, 0
	v_add3_u32 v13, v13, v15, v14
	v_mov_b64_e32 v[14:15], v[10:11]
	s_branch .LBB94_25
.LBB94_24:                              ;   in Loop: Header=BB94_25 Depth=4
	s_add_i32 s60, s60, 1
	s_cmp_eq_u32 s60, s34
	v_lshl_add_u64 v[14:15], v[14:15], 0, s[54:55]
	s_cbranch_scc1 .LBB94_17
.LBB94_25:                              ;   Parent Loop BB94_3 Depth=1
                                        ;     Parent Loop BB94_9 Depth=2
                                        ;       Parent Loop BB94_18 Depth=3
                                        ; =>      This Loop Header: Depth=4
                                        ;           Child Loop BB94_32 Depth 5
	s_mul_i32 s2, s60, s18
	v_subrev_u32_e32 v16, s2, v25
	v_sub_u32_e32 v18, 0, v16
	v_cmp_gt_i32_e64 s[2:3], 0, v16
	v_cmp_lt_i32_e32 vcc, -1, v16
	v_ashrrev_i32_e32 v17, 31, v16
	v_max_i32_e32 v16, v16, v18
                                        ; implicit-def: $sgpr61
	s_and_saveexec_b64 s[4:5], vcc
	s_cbranch_execnz .LBB94_28
; %bb.26:                               ;   in Loop: Header=BB94_25 Depth=4
	s_or_b64 exec, exec, s[4:5]
	v_mov_b32_e32 v18, s61
	s_and_saveexec_b64 s[4:5], s[2:3]
	s_cbranch_execnz .LBB94_29
.LBB94_27:                              ;   in Loop: Header=BB94_25 Depth=4
	s_or_b64 exec, exec, s[4:5]
	s_andn2_b64 vcc, exec, s[44:45]
	s_cbranch_vccz .LBB94_30
	s_branch .LBB94_24
.LBB94_28:                              ;   in Loop: Header=BB94_25 Depth=4
	v_mul_hi_u32 v18, v16, v23
	v_mul_lo_u32 v18, v18, s76
	v_sub_u32_e32 v18, v16, v18
	v_subrev_u32_e32 v19, s76, v18
	v_cmp_le_u32_e32 vcc, s76, v18
	s_andn2_b64 s[2:3], s[2:3], exec
	s_mov_b32 s61, 1
	v_cndmask_b32_e32 v18, v18, v19, vcc
	v_subrev_u32_e32 v19, s76, v18
	v_cmp_le_u32_e32 vcc, s76, v18
	s_nop 1
	v_cndmask_b32_e32 v18, v18, v19, vcc
	v_xor_b32_e32 v18, v18, v17
	v_sub_u32_e32 v18, v18, v17
	v_cmp_ne_u32_e32 vcc, 0, v18
	s_and_b64 s[78:79], vcc, exec
	s_or_b64 s[2:3], s[2:3], s[78:79]
	s_or_b64 exec, exec, s[4:5]
	v_mov_b32_e32 v18, s61
	s_and_saveexec_b64 s[4:5], s[2:3]
	s_cbranch_execz .LBB94_27
.LBB94_29:                              ;   in Loop: Header=BB94_25 Depth=4
	v_mov_b32_e32 v18, 0
	s_or_b64 exec, exec, s[4:5]
	s_andn2_b64 vcc, exec, s[44:45]
	s_cbranch_vccnz .LBB94_24
.LBB94_30:                              ;   in Loop: Header=BB94_25 Depth=4
	v_mul_hi_u32 v19, v16, v23
	v_mul_lo_u32 v27, v19, s76
	v_sub_u32_e32 v16, v16, v27
	v_add_u32_e32 v27, 1, v19
	v_cmp_le_u32_e32 vcc, s76, v16
	v_xor_b32_e32 v17, s75, v17
	s_mov_b32 s4, s8
	v_cndmask_b32_e32 v19, v19, v27, vcc
	v_subrev_u32_e32 v27, s76, v16
	v_cndmask_b32_e32 v16, v16, v27, vcc
	v_add_u32_e32 v27, 1, v19
	v_cmp_le_u32_e32 vcc, s76, v16
	s_nop 1
	v_cndmask_b32_e32 v16, v19, v27, vcc
	v_xor_b32_e32 v16, v16, v17
	v_sub_u32_e32 v16, v16, v17
	v_cmp_gt_i32_e32 vcc, s77, v16
	s_nop 1
	v_cndmask_b32_e32 v17, 0, v18, vcc
	v_and_b32_e32 v17, v26, v17
	v_cmp_ne_u32_e32 vcc, 0, v17
	v_ashrrev_i32_e32 v17, 31, v16
	v_lshl_add_u64 v[16:17], v[12:13], 0, v[16:17]
	v_lshl_add_u64 v[16:17], v[16:17], 2, s[48:49]
	v_mov_b64_e32 v[18:19], s[14:15]
	v_mul_lo_u32 v27, s33, v17
	v_mul_lo_u32 v28, s64, v16
	v_mad_u64_u32 v[16:17], s[2:3], s33, v16, v[18:19]
	v_add3_u32 v17, v28, v17, v27
	v_mov_b64_e32 v[18:19], v[14:15]
	s_branch .LBB94_32
.LBB94_31:                              ;   in Loop: Header=BB94_32 Depth=5
	s_or_b64 exec, exec, s[2:3]
	s_add_i32 s4, s4, -1
	v_lshl_add_u64 v[16:17], v[16:17], 0, 4
	s_cmp_eq_u32 s4, 0
	v_lshl_add_u64 v[18:19], v[18:19], 0, s[56:57]
	s_cbranch_scc1 .LBB94_24
.LBB94_32:                              ;   Parent Loop BB94_3 Depth=1
                                        ;     Parent Loop BB94_9 Depth=2
                                        ;       Parent Loop BB94_18 Depth=3
                                        ;         Parent Loop BB94_25 Depth=4
                                        ; =>        This Inner Loop Header: Depth=5
	s_and_saveexec_b64 s[2:3], vcc
	s_cbranch_execz .LBB94_31
; %bb.33:                               ;   in Loop: Header=BB94_32 Depth=5
	global_load_dword v27, v[16:17], off
	global_load_dword v28, v[18:19], off
	s_waitcnt vmcnt(1)
	v_and_b32_e32 v27, 0xffffe000, v27
	s_waitcnt vmcnt(0)
	v_and_b32_e32 v28, 0xffffe000, v28
	v_cvt_f64_f32_e32 v[28:29], v28
	v_cvt_f64_f32_e32 v[30:31], v27
	v_fmac_f64_e32 v[4:5], v[30:31], v[28:29]
	s_branch .LBB94_31
.LBB94_34:                              ;   in Loop: Header=BB94_3 Depth=1
	v_ashrrev_i32_e32 v7, 31, v6
	v_mad_i64_i32 v[6:7], s[0:1], v24, s6, v[6:7]
	v_mul_lo_u32 v8, v7, s35
	v_mul_lo_u32 v9, v6, s62
	v_mad_u64_u32 v[6:7], s[0:1], v6, s35, 0
	v_add3_u32 v7, v7, v9, v8
	v_lshl_add_u64 v[6:7], v[6:7], 2, s[20:21]
	s_andn2_b64 vcc, exec, s[46:47]
	v_lshl_add_u64 v[2:3], v[2:3], 2, v[6:7]
	s_cbranch_vccnz .LBB94_2
; %bb.35:                               ;   in Loop: Header=BB94_3 Depth=1
	global_load_dword v6, v[2:3], off
	s_waitcnt vmcnt(0)
	v_cvt_f64_f32_e32 v[6:7], v6
	v_mul_f64 v[6:7], v[6:7], s[26:27]
	v_fmac_f64_e32 v[6:7], s[24:25], v[4:5]
	v_mov_b64_e32 v[4:5], v[6:7]
	s_branch .LBB94_2
.LBB94_36:
	s_endpgm
	.section	.rodata,"a",@progbits
	.p2align	6, 0x0
	.amdhsa_kernel naive_conv_ab_packed_bwd_ndhwc_float_double_float_1
		.amdhsa_group_segment_fixed_size 0
		.amdhsa_private_segment_fixed_size 0
		.amdhsa_kernarg_size 528
		.amdhsa_user_sgpr_count 2
		.amdhsa_user_sgpr_dispatch_ptr 0
		.amdhsa_user_sgpr_queue_ptr 0
		.amdhsa_user_sgpr_kernarg_segment_ptr 1
		.amdhsa_user_sgpr_dispatch_id 0
		.amdhsa_user_sgpr_kernarg_preload_length 0
		.amdhsa_user_sgpr_kernarg_preload_offset 0
		.amdhsa_user_sgpr_private_segment_size 0
		.amdhsa_uses_dynamic_stack 0
		.amdhsa_enable_private_segment 0
		.amdhsa_system_sgpr_workgroup_id_x 1
		.amdhsa_system_sgpr_workgroup_id_y 0
		.amdhsa_system_sgpr_workgroup_id_z 0
		.amdhsa_system_sgpr_workgroup_info 0
		.amdhsa_system_vgpr_workitem_id 0
		.amdhsa_next_free_vgpr 32
		.amdhsa_next_free_sgpr 80
		.amdhsa_accum_offset 32
		.amdhsa_reserve_vcc 1
		.amdhsa_float_round_mode_32 0
		.amdhsa_float_round_mode_16_64 0
		.amdhsa_float_denorm_mode_32 3
		.amdhsa_float_denorm_mode_16_64 3
		.amdhsa_dx10_clamp 1
		.amdhsa_ieee_mode 1
		.amdhsa_fp16_overflow 0
		.amdhsa_tg_split 0
		.amdhsa_exception_fp_ieee_invalid_op 0
		.amdhsa_exception_fp_denorm_src 0
		.amdhsa_exception_fp_ieee_div_zero 0
		.amdhsa_exception_fp_ieee_overflow 0
		.amdhsa_exception_fp_ieee_underflow 0
		.amdhsa_exception_fp_ieee_inexact 0
		.amdhsa_exception_int_div_zero 0
	.end_amdhsa_kernel
	.text
.Lfunc_end94:
	.size	naive_conv_ab_packed_bwd_ndhwc_float_double_float_1, .Lfunc_end94-naive_conv_ab_packed_bwd_ndhwc_float_double_float_1
                                        ; -- End function
	.section	.AMDGPU.csdata,"",@progbits
; Kernel info:
; codeLenInByte = 2624
; NumSgprs: 86
; NumVgprs: 32
; NumAgprs: 0
; TotalNumVgprs: 32
; ScratchSize: 0
; MemoryBound: 0
; FloatMode: 240
; IeeeMode: 1
; LDSByteSize: 0 bytes/workgroup (compile time only)
; SGPRBlocks: 10
; VGPRBlocks: 3
; NumSGPRsForWavesPerEU: 86
; NumVGPRsForWavesPerEU: 32
; AccumOffset: 32
; Occupancy: 8
; WaveLimiterHint : 1
; COMPUTE_PGM_RSRC2:SCRATCH_EN: 0
; COMPUTE_PGM_RSRC2:USER_SGPR: 2
; COMPUTE_PGM_RSRC2:TRAP_HANDLER: 0
; COMPUTE_PGM_RSRC2:TGID_X_EN: 1
; COMPUTE_PGM_RSRC2:TGID_Y_EN: 0
; COMPUTE_PGM_RSRC2:TGID_Z_EN: 0
; COMPUTE_PGM_RSRC2:TIDIG_COMP_CNT: 0
; COMPUTE_PGM_RSRC3_GFX90A:ACCUM_OFFSET: 7
; COMPUTE_PGM_RSRC3_GFX90A:TG_SPLIT: 0
	.text
	.protected	naive_conv_ab_nonpacked_bwd_ndhwc_float_double_float_1 ; -- Begin function naive_conv_ab_nonpacked_bwd_ndhwc_float_double_float_1
	.globl	naive_conv_ab_nonpacked_bwd_ndhwc_float_double_float_1
	.p2align	8
	.type	naive_conv_ab_nonpacked_bwd_ndhwc_float_double_float_1,@function
naive_conv_ab_nonpacked_bwd_ndhwc_float_double_float_1: ; @naive_conv_ab_nonpacked_bwd_ndhwc_float_double_float_1
; %bb.0:
	s_load_dwordx16 s[4:19], s[0:1], 0xb8
	s_abs_i32 s34, s2
	s_waitcnt lgkmcnt(0)
	s_abs_i32 s3, s4
	v_cvt_f32_u32_e32 v1, s3
	s_sub_i32 s20, 0, s3
	s_mul_i32 s28, s7, s4
	v_rcp_iflag_f32_e32 v1, v1
	s_nop 0
	v_mul_f32_e32 v1, 0x4f7ffffe, v1
	v_cvt_u32_f32_e32 v1, v1
	s_nop 0
	v_readfirstlane_b32 s21, v1
	s_mul_i32 s20, s20, s21
	s_mul_hi_u32 s20, s21, s20
	s_add_i32 s21, s21, s20
	s_mul_hi_u32 s20, s34, s21
	s_mul_i32 s21, s20, s3
	s_sub_i32 s21, s34, s21
	s_add_i32 s22, s20, 1
	s_sub_i32 s23, s21, s3
	s_cmp_ge_u32 s21, s3
	s_cselect_b32 s20, s22, s20
	s_cselect_b32 s21, s23, s21
	s_add_i32 s22, s20, 1
	s_cmp_ge_u32 s21, s3
	s_cselect_b32 s29, s22, s20
	s_abs_i32 s35, s7
	s_abs_i32 s7, s28
	v_cvt_f32_u32_e32 v1, s35
	v_cvt_f32_u32_e32 v2, s7
	s_mul_i32 s3, s9, s6
	s_mul_i32 s33, s3, s5
	v_rcp_iflag_f32_e32 v1, v1
	v_rcp_iflag_f32_e32 v2, v2
	v_cmp_gt_i32_e32 vcc, s33, v0
	v_mul_f32_e32 v1, 0x4f7ffffe, v1
	v_mul_f32_e32 v2, 0x4f7ffffe, v2
	v_cvt_u32_f32_e32 v1, v1
	v_cvt_u32_f32_e32 v2, v2
	v_readfirstlane_b32 s30, v1
	v_readfirstlane_b32 s5, v2
	s_and_saveexec_b64 s[20:21], vcc
	s_cbranch_execz .LBB95_36
; %bb.1:
	s_ashr_i32 s52, s2, 31
	s_ashr_i32 s31, s4, 31
	s_xor_b32 s31, s52, s31
	s_xor_b32 s29, s29, s31
	s_sub_i32 s53, s29, s31
	s_sub_i32 s29, 0, s35
	s_mul_i32 s29, s29, s30
	s_mul_hi_u32 s29, s30, s29
	s_abs_i32 s55, s53
	s_add_i32 s30, s30, s29
	s_mul_hi_u32 s56, s55, s30
	s_ashr_i32 s57, s28, 31
	s_sub_i32 s28, 0, s7
	s_mul_i32 s28, s28, s5
	s_mul_i32 s56, s56, s35
	s_ashr_i32 s54, s53, 31
	s_mul_hi_u32 s28, s5, s28
	s_mul_i32 s53, s53, s4
	s_sub_i32 s4, s55, s56
	s_add_i32 s5, s5, s28
	s_sub_i32 s2, s2, s53
	s_sub_i32 s53, s4, s35
	s_cmp_ge_u32 s4, s35
	s_cselect_b32 s4, s53, s4
	s_sub_i32 s53, s4, s35
	s_mul_hi_u32 s5, s34, s5
	s_cmp_ge_u32 s4, s35
	s_cselect_b32 s4, s53, s4
	s_mul_i32 s35, s5, s7
	s_xor_b32 s4, s4, s54
	s_sub_i32 s34, s34, s35
	s_sub_i32 s87, s4, s54
	s_xor_b32 s4, s52, s57
	s_add_i32 s35, s5, 1
	s_sub_i32 s52, s34, s7
	s_cmp_ge_u32 s34, s7
	s_cselect_b32 s5, s35, s5
	s_cselect_b32 s34, s52, s34
	s_add_i32 s35, s5, 1
	s_load_dwordx16 s[36:51], s[0:1], 0x28
	s_load_dwordx4 s[28:31], s[0:1], 0xf8
	s_load_dwordx4 s[68:71], s[0:1], 0xa8
	s_cmp_ge_u32 s34, s7
	s_cselect_b32 s5, s35, s5
	s_xor_b32 s5, s5, s4
	s_ashr_i32 s7, s2, 31
	s_load_dwordx8 s[20:27], s[0:1], 0x0
	s_sub_i32 s88, s5, s4
	s_ashr_i32 s89, s87, 31
	s_waitcnt lgkmcnt(0)
	s_mul_i32 s7, s44, s7
	s_mul_hi_u32 s34, s44, s2
	s_mul_i32 s4, s46, s89
	s_mul_hi_u32 s5, s46, s87
	s_add_i32 s7, s34, s7
	s_mul_i32 s34, s45, s2
	s_ashr_i32 s90, s88, 31
	s_add_i32 s4, s5, s4
	s_mul_i32 s5, s47, s87
	s_add_i32 s35, s7, s34
	s_mul_i32 s34, s44, s2
	s_mul_i32 s7, s38, s90
	s_mul_hi_u32 s44, s38, s88
	s_add_i32 s5, s4, s5
	s_mul_i32 s4, s46, s87
	s_add_i32 s7, s44, s7
	s_mul_i32 s39, s39, s88
	s_add_i32 s39, s7, s39
	s_lshl_b64 s[4:5], s[4:5], 2
	s_add_u32 s7, s20, s4
	s_addc_u32 s20, s21, s5
	s_lshl_b64 s[4:5], s[34:35], 2
	s_mul_i32 s38, s38, s88
	s_add_u32 s7, s7, s4
	s_addc_u32 s21, s20, s5
	s_lshl_b64 s[4:5], s[38:39], 2
	s_add_u32 s20, s7, s4
	s_load_dword s74, s[0:1], 0x108
	s_addc_u32 s21, s21, s5
	s_cmp_lt_i32 s30, 1
	s_cselect_b64 s[34:35], -1, 0
	s_add_i32 s19, s2, s19
	s_load_dword s2, s[0:1], 0x11c
	s_cmp_gt_i32 s31, 0
	s_cselect_b64 s[38:39], -1, 0
	s_waitcnt lgkmcnt(0)
	s_cmp_gt_i32 s74, 0
	s_cselect_b64 s[44:45], -1, 0
	s_cmp_gt_i32 s8, 0
	s_cselect_b64 s[46:47], -1, 0
	s_abs_i32 s75, s13
	v_cvt_f32_u32_e32 v1, s75
	v_cmp_neq_f64_e64 s[4:5], s[24:25], 1.0
	v_cmp_neq_f64_e64 s[52:53], s[26:27], 0
	s_abs_i32 s81, s9
	v_rcp_iflag_f32_e32 v1, v1
	s_or_b64 s[72:73], s[4:5], s[52:53]
	s_abs_i32 s82, s6
	s_abs_i32 s79, s3
	v_mul_f32_e32 v1, 0x4f7ffffe, v1
	v_cvt_u32_f32_e32 v1, v1
	v_cvt_f32_u32_e32 v3, s82
	s_load_dwordx16 s[52:67], s[0:1], 0x68
	s_abs_i32 s84, s14
	v_readfirstlane_b32 s5, v1
	v_cvt_f32_u32_e32 v1, s81
	v_cvt_f32_u32_e32 v5, s79
	s_abs_i32 s86, s15
	v_cvt_f32_u32_e32 v7, s84
	s_sub_i32 s4, 0, s75
	v_rcp_iflag_f32_e32 v1, v1
	v_cvt_f32_u32_e32 v9, s86
	s_mul_i32 s4, s4, s5
	v_rcp_iflag_f32_e32 v3, v3
	s_mul_hi_u32 s4, s5, s4
	v_rcp_iflag_f32_e32 v5, v5
	s_add_i32 s76, s5, s4
	s_waitcnt lgkmcnt(0)
	s_mul_i32 s4, s58, s90
	s_mul_hi_u32 s5, s58, s88
	v_rcp_iflag_f32_e32 v7, v7
	s_add_i32 s4, s5, s4
	s_and_b32 s77, s2, 0xffff
	s_mul_i32 s2, s59, s88
	v_mul_f32_e32 v1, 0x4f7ffffe, v1
	v_rcp_iflag_f32_e32 v9, v9
	s_ashr_i32 s78, s3, 31
	s_add_i32 s3, s4, s2
	s_mul_i32 s2, s58, s88
	v_cvt_u32_f32_e32 v1, v1
	v_mul_f32_e32 v3, 0x4f7ffffe, v3
	s_lshl_b64 s[2:3], s[2:3], 2
	s_ashr_i32 s80, s9, 31
	s_sub_i32 s91, 0, s81
	s_sub_i32 s92, 0, s82
	;; [unrolled: 1-line block ×3, first 2 shown]
	s_ashr_i32 s13, s13, 31
	s_ashr_i32 s83, s14, 31
	s_sub_i32 s94, 0, s84
	s_ashr_i32 s85, s15, 31
	s_sub_i32 s95, 0, s86
	v_cvt_u32_f32_e32 v3, v3
	v_mul_f32_e32 v5, 0x4f7ffffe, v5
	s_add_u32 s6, s22, s2
	v_cvt_u32_f32_e32 v5, v5
	v_mul_f32_e32 v7, 0x4f7ffffe, v7
	s_addc_u32 s7, s23, s3
	s_mul_i32 s2, s62, s90
	s_mul_hi_u32 s3, s62, s88
	s_mul_i32 s4, s70, s89
	s_mul_hi_u32 s5, s70, s87
	v_cvt_u32_f32_e32 v7, v7
	v_mul_f32_e32 v9, 0x4f7ffffe, v9
	s_add_i32 s2, s3, s2
	s_mul_i32 s3, s63, s88
	s_add_i32 s4, s5, s4
	s_mul_i32 s5, s71, s87
	s_load_dwordx2 s[0:1], s[0:1], 0x20
	v_mul_lo_u32 v2, s91, v1
	v_cvt_u32_f32_e32 v9, v9
	s_add_i32 s3, s2, s3
	s_mul_i32 s2, s62, s88
	s_add_i32 s5, s4, s5
	s_mul_i32 s4, s70, s87
	v_mul_lo_u32 v4, s92, v3
	v_mul_hi_u32 v2, v1, v2
	s_lshl_b64 s[2:3], s[2:3], 2
	s_lshl_b64 s[4:5], s[4:5], 2
	;; [unrolled: 1-line block ×7, first 2 shown]
	v_mul_lo_u32 v6, s93, v5
	v_add_u32_e32 v1, v1, v2
	v_mul_hi_u32 v2, v3, v4
	s_add_u32 s2, s2, s4
	v_mul_lo_u32 v8, s94, v7
	v_add_u32_e32 v20, v3, v2
	v_mul_hi_u32 v2, v5, v6
	s_addc_u32 s3, s3, s5
	v_mul_lo_u32 v10, s95, v9
	v_add_u32_e32 v21, v5, v2
	v_mul_hi_u32 v2, v7, v8
	s_waitcnt lgkmcnt(0)
	s_add_u32 s70, s0, s2
	v_add_u32_e32 v22, v7, v2
	v_mul_hi_u32 v2, v9, v10
	s_addc_u32 s71, s1, s3
	s_lshl_b64 s[54:55], s[66:67], 2
	s_lshl_b64 s[56:57], s[64:65], 2
	;; [unrolled: 1-line block ×4, first 2 shown]
	v_add_u32_e32 v23, v9, v2
	s_mov_b64 s[62:63], 0
	s_branch .LBB95_3
.LBB95_2:                               ;   in Loop: Header=BB95_3 Depth=1
	v_add_u32_e32 v0, s77, v0
	v_cmp_le_i32_e32 vcc, s33, v0
	v_cvt_f32_f64_e32 v4, v[6:7]
	s_or_b64 s[62:63], vcc, s[62:63]
	global_store_dword v[2:3], v4, off
	s_andn2_b64 exec, exec, s[62:63]
	s_cbranch_execz .LBB95_36
.LBB95_3:                               ; =>This Loop Header: Depth=1
                                        ;     Child Loop BB95_9 Depth 2
                                        ;       Child Loop BB95_18 Depth 3
                                        ;         Child Loop BB95_25 Depth 4
                                        ;           Child Loop BB95_32 Depth 5
	v_sub_u32_e32 v3, 0, v0
	v_max_i32_e32 v4, v0, v3
	v_mul_hi_u32 v3, v4, v1
	v_mul_lo_u32 v5, v3, s81
	v_sub_u32_e32 v5, v4, v5
	v_add_u32_e32 v7, 1, v3
	v_cmp_le_u32_e32 vcc, s81, v5
	v_ashrrev_i32_e32 v6, 31, v0
	v_xor_b32_e32 v2, s80, v6
	v_cndmask_b32_e32 v3, v3, v7, vcc
	v_subrev_u32_e32 v7, s81, v5
	v_cndmask_b32_e32 v5, v5, v7, vcc
	v_add_u32_e32 v7, 1, v3
	v_cmp_le_u32_e32 vcc, s81, v5
	s_nop 1
	v_cndmask_b32_e32 v3, v3, v7, vcc
	v_xor_b32_e32 v3, v3, v2
	v_sub_u32_e32 v3, v3, v2
	v_sub_u32_e32 v5, 0, v3
	v_max_i32_e32 v5, v3, v5
	v_mul_hi_u32 v7, v5, v20
	v_mul_lo_u32 v7, v7, s82
	v_sub_u32_e32 v5, v5, v7
	v_subrev_u32_e32 v7, s82, v5
	v_cmp_le_u32_e32 vcc, s82, v5
	v_mul_lo_u32 v2, v3, s9
	v_sub_u32_e32 v2, v0, v2
	v_cndmask_b32_e32 v8, v5, v7, vcc
	v_mul_hi_u32 v7, v4, v21
	v_mul_lo_u32 v5, v7, s79
	v_sub_u32_e32 v4, v4, v5
	v_subrev_u32_e32 v5, s79, v4
	v_cmp_le_u32_e64 s[2:3], s79, v4
	v_cmp_le_u32_e64 s[0:1], s82, v8
	s_andn2_b64 vcc, exec, s[34:35]
	v_cndmask_b32_e64 v4, v4, v5, s[2:3]
	v_cmp_le_u32_e64 s[4:5], s79, v4
	s_cbranch_vccnz .LBB95_5
; %bb.4:                                ;   in Loop: Header=BB95_3 Depth=1
	v_ashrrev_i32_e32 v5, 31, v2
	s_mov_b64 s[64:65], 0
	s_mov_b64 s[66:67], 0
	s_branch .LBB95_6
.LBB95_5:                               ;   in Loop: Header=BB95_3 Depth=1
	s_mov_b64 s[64:65], -1
                                        ; implicit-def: $sgpr66_sgpr67
                                        ; implicit-def: $vgpr4_vgpr5
.LBB95_6:                               ;   in Loop: Header=BB95_3 Depth=1
	v_subrev_u32_e32 v4, s82, v8
	v_ashrrev_i32_e32 v3, 31, v3
	v_cndmask_b32_e64 v4, v8, v4, s[0:1]
	v_xor_b32_e32 v4, v4, v3
	v_sub_u32_e32 v3, v4, v3
	v_xor_b32_e32 v4, s78, v6
	v_add_u32_e32 v6, 1, v7
	v_cndmask_b32_e64 v6, v7, v6, s[2:3]
	v_add_u32_e32 v7, 1, v6
	v_cndmask_b32_e64 v6, v6, v7, s[4:5]
	v_xor_b32_e32 v6, v6, v4
	v_sub_u32_e32 v4, v6, v4
	s_andn2_b64 vcc, exec, s[64:65]
	v_mov_b64_e32 v[6:7], s[66:67]
	s_cbranch_vccnz .LBB95_34
; %bb.7:                                ;   in Loop: Header=BB95_3 Depth=1
	v_ashrrev_i32_e32 v5, 31, v2
	v_mov_b64_e32 v[6:7], s[6:7]
	v_mad_u64_u32 v[8:9], s[0:1], s14, v2, v[6:7]
	v_mul_lo_u32 v6, s15, v2
	v_mul_lo_u32 v7, s14, v5
	v_add_u32_e32 v24, s28, v4
	v_add_u32_e32 v25, s29, v3
	v_add3_u32 v9, v6, v9, v7
	s_mov_b32 s64, 0
	v_mov_b64_e32 v[6:7], 0
	s_branch .LBB95_9
.LBB95_8:                               ;   in Loop: Header=BB95_9 Depth=2
	s_add_i32 s64, s64, 1
	s_cmp_eq_u32 s64, s30
	v_lshl_add_u64 v[8:9], v[8:9], 0, s[22:23]
	s_cbranch_scc1 .LBB95_34
.LBB95_9:                               ;   Parent Loop BB95_3 Depth=1
                                        ; =>  This Loop Header: Depth=2
                                        ;       Child Loop BB95_18 Depth 3
                                        ;         Child Loop BB95_25 Depth 4
                                        ;           Child Loop BB95_32 Depth 5
	s_mul_i32 s0, s64, s16
	s_sub_i32 s68, s19, s0
	s_cmp_gt_i32 s68, -1
	s_cbranch_scc0 .LBB95_11
; %bb.10:                               ;   in Loop: Header=BB95_9 Depth=2
	s_abs_i32 s0, s68
	s_mul_hi_u32 s5, s0, s76
	s_mul_i32 s1, s5, s75
	s_sub_i32 s65, s0, s1
	s_ashr_i32 s4, s68, 31
	s_sub_i32 s66, s65, s75
	s_cmp_ge_u32 s65, s75
	s_cselect_b32 s0, s66, s65
	s_sub_i32 s1, s0, s75
	s_cmp_ge_u32 s0, s75
	s_cselect_b32 s0, s1, s0
	s_xor_b32 s0, s0, s4
	s_sub_i32 s0, s0, s4
	s_cmp_lg_u32 s0, 0
	s_mov_b32 s67, 1
	s_cselect_b64 s[0:1], -1, 0
	s_cbranch_execz .LBB95_12
	s_branch .LBB95_13
.LBB95_11:                              ;   in Loop: Header=BB95_9 Depth=2
	s_mov_b64 s[0:1], 0
                                        ; implicit-def: $sgpr67
                                        ; implicit-def: $sgpr4
                                        ; implicit-def: $sgpr5
                                        ; implicit-def: $sgpr65
                                        ; implicit-def: $sgpr66
.LBB95_12:                              ;   in Loop: Header=BB95_9 Depth=2
	s_abs_i32 s0, s68
	s_mul_hi_u32 s5, s0, s76
	s_mul_i32 s1, s5, s75
	s_sub_i32 s65, s0, s1
	s_ashr_i32 s4, s68, 31
	s_sub_i32 s66, s65, s75
	s_mov_b64 s[0:1], -1
                                        ; implicit-def: $sgpr67
.LBB95_13:                              ;   in Loop: Header=BB95_9 Depth=2
	s_andn2_b64 vcc, exec, s[0:1]
	s_cbranch_vccz .LBB95_15
; %bb.14:                               ;   in Loop: Header=BB95_9 Depth=2
	s_andn2_b64 vcc, exec, s[38:39]
	s_cbranch_vccz .LBB95_16
	s_branch .LBB95_8
.LBB95_15:                              ;   in Loop: Header=BB95_9 Depth=2
	s_mov_b32 s67, 0
	s_andn2_b64 vcc, exec, s[38:39]
	s_cbranch_vccnz .LBB95_8
.LBB95_16:                              ;   in Loop: Header=BB95_9 Depth=2
	s_xor_b32 s0, s4, s13
	s_add_i32 s1, s5, 1
	s_cmp_ge_u32 s65, s75
	s_cselect_b32 s1, s1, s5
	s_cselect_b32 s2, s66, s65
	s_add_i32 s3, s1, 1
	s_cmp_ge_u32 s2, s75
	s_cselect_b32 s1, s3, s1
	s_xor_b32 s1, s1, s0
	s_sub_i32 s0, s1, s0
	s_cmp_lt_i32 s0, s10
	s_cselect_b32 s66, s67, 0
	s_ashr_i32 s1, s0, 31
	s_mul_i32 s1, s60, s1
	s_mul_hi_u32 s2, s60, s0
	s_add_i32 s1, s2, s1
	s_mul_i32 s2, s61, s0
	s_add_i32 s1, s1, s2
	s_mul_i32 s0, s60, s0
	s_add_u32 s0, s70, s0
	s_mov_b32 s65, 0
	s_addc_u32 s1, s71, s1
	v_mov_b64_e32 v[10:11], v[8:9]
	s_branch .LBB95_18
.LBB95_17:                              ;   in Loop: Header=BB95_18 Depth=3
	s_add_i32 s65, s65, 1
	s_cmp_eq_u32 s65, s31
	v_lshl_add_u64 v[10:11], v[10:11], 0, s[48:49]
	s_cbranch_scc1 .LBB95_8
.LBB95_18:                              ;   Parent Loop BB95_3 Depth=1
                                        ;     Parent Loop BB95_9 Depth=2
                                        ; =>    This Loop Header: Depth=3
                                        ;         Child Loop BB95_25 Depth 4
                                        ;           Child Loop BB95_32 Depth 5
	s_mul_i32 s2, s65, s17
	v_subrev_u32_e32 v12, s2, v24
	v_cmp_gt_i32_e64 s[2:3], 0, v12
	v_cmp_lt_i32_e32 vcc, -1, v12
	v_ashrrev_i32_e32 v14, 31, v12
	v_sub_u32_e32 v13, 0, v12
                                        ; implicit-def: $sgpr67
	s_and_saveexec_b64 s[4:5], vcc
	s_cbranch_execnz .LBB95_21
; %bb.19:                               ;   in Loop: Header=BB95_18 Depth=3
	s_or_b64 exec, exec, s[4:5]
	v_mov_b32_e32 v15, s67
	s_and_saveexec_b64 s[4:5], s[2:3]
	s_cbranch_execnz .LBB95_22
.LBB95_20:                              ;   in Loop: Header=BB95_18 Depth=3
	s_or_b64 exec, exec, s[4:5]
	s_andn2_b64 vcc, exec, s[44:45]
	s_cbranch_vccz .LBB95_23
	s_branch .LBB95_17
.LBB95_21:                              ;   in Loop: Header=BB95_18 Depth=3
	v_max_i32_e32 v15, v12, v13
	v_mul_hi_u32 v16, v15, v22
	v_mul_lo_u32 v16, v16, s84
	v_sub_u32_e32 v15, v15, v16
	v_subrev_u32_e32 v16, s84, v15
	v_cmp_le_u32_e32 vcc, s84, v15
	s_andn2_b64 s[2:3], s[2:3], exec
	s_mov_b32 s67, 1
	v_cndmask_b32_e32 v15, v15, v16, vcc
	v_subrev_u32_e32 v16, s84, v15
	v_cmp_le_u32_e32 vcc, s84, v15
	s_nop 1
	v_cndmask_b32_e32 v15, v15, v16, vcc
	v_xor_b32_e32 v15, v15, v14
	v_sub_u32_e32 v15, v15, v14
	v_cmp_ne_u32_e32 vcc, 0, v15
	s_and_b64 s[68:69], vcc, exec
	s_or_b64 s[2:3], s[2:3], s[68:69]
	s_or_b64 exec, exec, s[4:5]
	v_mov_b32_e32 v15, s67
	s_and_saveexec_b64 s[4:5], s[2:3]
	s_cbranch_execz .LBB95_20
.LBB95_22:                              ;   in Loop: Header=BB95_18 Depth=3
	v_mov_b32_e32 v15, 0
	s_or_b64 exec, exec, s[4:5]
	s_andn2_b64 vcc, exec, s[44:45]
	s_cbranch_vccnz .LBB95_17
.LBB95_23:                              ;   in Loop: Header=BB95_18 Depth=3
	v_max_i32_e32 v12, v12, v13
	v_mul_hi_u32 v13, v12, v22
	v_mul_lo_u32 v16, v13, s84
	v_sub_u32_e32 v12, v12, v16
	v_add_u32_e32 v16, 1, v13
	v_cmp_le_u32_e32 vcc, s84, v12
	v_xor_b32_e32 v14, s83, v14
	s_mov_b32 s67, 0
	v_cndmask_b32_e32 v13, v13, v16, vcc
	v_subrev_u32_e32 v16, s84, v12
	v_cndmask_b32_e32 v12, v12, v16, vcc
	v_add_u32_e32 v16, 1, v13
	v_cmp_le_u32_e32 vcc, s84, v12
	s_nop 1
	v_cndmask_b32_e32 v12, v13, v16, vcc
	v_xor_b32_e32 v12, v12, v14
	v_sub_u32_e32 v14, v12, v14
	v_cmp_gt_i32_e32 vcc, s11, v14
	v_mul_lo_u32 v16, s55, v14
	s_nop 0
	v_cndmask_b32_e32 v12, 0, v15, vcc
	v_and_b32_e32 v26, s66, v12
	v_ashrrev_i32_e32 v12, 31, v14
	v_mul_lo_u32 v15, s54, v12
	v_mov_b64_e32 v[12:13], s[0:1]
	v_mad_u64_u32 v[12:13], s[2:3], s54, v14, v[12:13]
	v_add3_u32 v13, v16, v13, v15
	v_mov_b64_e32 v[14:15], v[10:11]
	s_branch .LBB95_25
.LBB95_24:                              ;   in Loop: Header=BB95_25 Depth=4
	s_add_i32 s67, s67, 1
	s_cmp_eq_u32 s67, s74
	v_lshl_add_u64 v[14:15], v[14:15], 0, s[50:51]
	s_cbranch_scc1 .LBB95_17
.LBB95_25:                              ;   Parent Loop BB95_3 Depth=1
                                        ;     Parent Loop BB95_9 Depth=2
                                        ;       Parent Loop BB95_18 Depth=3
                                        ; =>      This Loop Header: Depth=4
                                        ;           Child Loop BB95_32 Depth 5
	s_mul_i32 s2, s67, s18
	v_subrev_u32_e32 v16, s2, v25
	v_sub_u32_e32 v18, 0, v16
	v_cmp_gt_i32_e64 s[2:3], 0, v16
	v_cmp_lt_i32_e32 vcc, -1, v16
	v_ashrrev_i32_e32 v17, 31, v16
	v_max_i32_e32 v16, v16, v18
                                        ; implicit-def: $sgpr68
	s_and_saveexec_b64 s[4:5], vcc
	s_cbranch_execnz .LBB95_28
; %bb.26:                               ;   in Loop: Header=BB95_25 Depth=4
	s_or_b64 exec, exec, s[4:5]
	v_mov_b32_e32 v18, s68
	s_and_saveexec_b64 s[4:5], s[2:3]
	s_cbranch_execnz .LBB95_29
.LBB95_27:                              ;   in Loop: Header=BB95_25 Depth=4
	s_or_b64 exec, exec, s[4:5]
	s_andn2_b64 vcc, exec, s[46:47]
	s_cbranch_vccz .LBB95_30
	s_branch .LBB95_24
.LBB95_28:                              ;   in Loop: Header=BB95_25 Depth=4
	v_mul_hi_u32 v18, v16, v23
	v_mul_lo_u32 v18, v18, s86
	v_sub_u32_e32 v18, v16, v18
	v_subrev_u32_e32 v19, s86, v18
	v_cmp_le_u32_e32 vcc, s86, v18
	s_andn2_b64 s[2:3], s[2:3], exec
	s_mov_b32 s68, 1
	v_cndmask_b32_e32 v18, v18, v19, vcc
	v_subrev_u32_e32 v19, s86, v18
	v_cmp_le_u32_e32 vcc, s86, v18
	s_nop 1
	v_cndmask_b32_e32 v18, v18, v19, vcc
	v_xor_b32_e32 v18, v18, v17
	v_sub_u32_e32 v18, v18, v17
	v_cmp_ne_u32_e32 vcc, 0, v18
	s_and_b64 s[88:89], vcc, exec
	s_or_b64 s[2:3], s[2:3], s[88:89]
	s_or_b64 exec, exec, s[4:5]
	v_mov_b32_e32 v18, s68
	s_and_saveexec_b64 s[4:5], s[2:3]
	s_cbranch_execz .LBB95_27
.LBB95_29:                              ;   in Loop: Header=BB95_25 Depth=4
	v_mov_b32_e32 v18, 0
	s_or_b64 exec, exec, s[4:5]
	s_andn2_b64 vcc, exec, s[46:47]
	s_cbranch_vccnz .LBB95_24
.LBB95_30:                              ;   in Loop: Header=BB95_25 Depth=4
	v_mul_hi_u32 v19, v16, v23
	v_mul_lo_u32 v27, v19, s86
	v_sub_u32_e32 v16, v16, v27
	v_add_u32_e32 v27, 1, v19
	v_cmp_le_u32_e32 vcc, s86, v16
	v_xor_b32_e32 v17, s85, v17
	s_mov_b32 s4, s8
	v_cndmask_b32_e32 v19, v19, v27, vcc
	v_subrev_u32_e32 v27, s86, v16
	v_cndmask_b32_e32 v16, v16, v27, vcc
	v_add_u32_e32 v27, 1, v19
	v_cmp_le_u32_e32 vcc, s86, v16
	s_nop 1
	v_cndmask_b32_e32 v16, v19, v27, vcc
	v_xor_b32_e32 v16, v16, v17
	v_sub_u32_e32 v16, v16, v17
	v_cmp_gt_i32_e32 vcc, s12, v16
	v_mul_lo_u32 v19, s57, v16
	s_nop 0
	v_cndmask_b32_e32 v17, 0, v18, vcc
	v_and_b32_e32 v17, v26, v17
	v_cmp_ne_u32_e32 vcc, 0, v17
	v_ashrrev_i32_e32 v17, 31, v16
	v_mul_lo_u32 v18, s56, v17
	v_mad_u64_u32 v[16:17], s[2:3], s56, v16, v[12:13]
	v_add3_u32 v17, v19, v17, v18
	v_mov_b64_e32 v[18:19], v[14:15]
	s_branch .LBB95_32
.LBB95_31:                              ;   in Loop: Header=BB95_32 Depth=5
	s_or_b64 exec, exec, s[2:3]
	s_add_i32 s4, s4, -1
	v_lshl_add_u64 v[18:19], v[18:19], 0, s[52:53]
	s_cmp_eq_u32 s4, 0
	v_lshl_add_u64 v[16:17], v[16:17], 0, s[58:59]
	s_cbranch_scc1 .LBB95_24
.LBB95_32:                              ;   Parent Loop BB95_3 Depth=1
                                        ;     Parent Loop BB95_9 Depth=2
                                        ;       Parent Loop BB95_18 Depth=3
                                        ;         Parent Loop BB95_25 Depth=4
                                        ; =>        This Inner Loop Header: Depth=5
	s_and_saveexec_b64 s[2:3], vcc
	s_cbranch_execz .LBB95_31
; %bb.33:                               ;   in Loop: Header=BB95_32 Depth=5
	global_load_dword v27, v[16:17], off
	global_load_dword v28, v[18:19], off
	s_waitcnt vmcnt(1)
	v_and_b32_e32 v27, 0xffffe000, v27
	s_waitcnt vmcnt(0)
	v_and_b32_e32 v28, 0xffffe000, v28
	v_cvt_f64_f32_e32 v[28:29], v28
	v_cvt_f64_f32_e32 v[30:31], v27
	v_fmac_f64_e32 v[6:7], v[30:31], v[28:29]
	s_branch .LBB95_31
.LBB95_34:                              ;   in Loop: Header=BB95_3 Depth=1
	v_ashrrev_i32_e32 v8, 31, v4
	v_mul_lo_u32 v10, s43, v4
	v_mul_lo_u32 v11, s42, v8
	v_mad_u64_u32 v[8:9], s[0:1], s42, v4, 0
	v_ashrrev_i32_e32 v4, 31, v3
	v_add3_u32 v9, v9, v11, v10
	v_mul_lo_u32 v12, s41, v3
	v_mul_lo_u32 v4, s40, v4
	v_mad_u64_u32 v[10:11], s[0:1], s40, v3, 0
	v_add3_u32 v11, v11, v4, v12
	v_mul_lo_u32 v4, v5, s36
	v_mul_lo_u32 v5, v2, s37
	v_mad_u64_u32 v[2:3], s[0:1], v2, s36, 0
	v_add3_u32 v3, v3, v5, v4
	v_lshl_add_u64 v[4:5], v[8:9], 2, s[20:21]
	v_lshl_add_u64 v[4:5], v[10:11], 2, v[4:5]
	s_andn2_b64 vcc, exec, s[72:73]
	v_lshl_add_u64 v[2:3], v[2:3], 2, v[4:5]
	s_cbranch_vccnz .LBB95_2
; %bb.35:                               ;   in Loop: Header=BB95_3 Depth=1
	global_load_dword v4, v[2:3], off
	s_waitcnt vmcnt(0)
	v_cvt_f64_f32_e32 v[4:5], v4
	v_mul_f64 v[4:5], v[4:5], s[26:27]
	v_fmac_f64_e32 v[4:5], s[24:25], v[6:7]
	v_mov_b64_e32 v[6:7], v[4:5]
	s_branch .LBB95_2
.LBB95_36:
	s_endpgm
	.section	.rodata,"a",@progbits
	.p2align	6, 0x0
	.amdhsa_kernel naive_conv_ab_nonpacked_bwd_ndhwc_float_double_float_1
		.amdhsa_group_segment_fixed_size 0
		.amdhsa_private_segment_fixed_size 0
		.amdhsa_kernarg_size 528
		.amdhsa_user_sgpr_count 2
		.amdhsa_user_sgpr_dispatch_ptr 0
		.amdhsa_user_sgpr_queue_ptr 0
		.amdhsa_user_sgpr_kernarg_segment_ptr 1
		.amdhsa_user_sgpr_dispatch_id 0
		.amdhsa_user_sgpr_kernarg_preload_length 0
		.amdhsa_user_sgpr_kernarg_preload_offset 0
		.amdhsa_user_sgpr_private_segment_size 0
		.amdhsa_uses_dynamic_stack 0
		.amdhsa_enable_private_segment 0
		.amdhsa_system_sgpr_workgroup_id_x 1
		.amdhsa_system_sgpr_workgroup_id_y 0
		.amdhsa_system_sgpr_workgroup_id_z 0
		.amdhsa_system_sgpr_workgroup_info 0
		.amdhsa_system_vgpr_workitem_id 0
		.amdhsa_next_free_vgpr 32
		.amdhsa_next_free_sgpr 96
		.amdhsa_accum_offset 32
		.amdhsa_reserve_vcc 1
		.amdhsa_float_round_mode_32 0
		.amdhsa_float_round_mode_16_64 0
		.amdhsa_float_denorm_mode_32 3
		.amdhsa_float_denorm_mode_16_64 3
		.amdhsa_dx10_clamp 1
		.amdhsa_ieee_mode 1
		.amdhsa_fp16_overflow 0
		.amdhsa_tg_split 0
		.amdhsa_exception_fp_ieee_invalid_op 0
		.amdhsa_exception_fp_denorm_src 0
		.amdhsa_exception_fp_ieee_div_zero 0
		.amdhsa_exception_fp_ieee_overflow 0
		.amdhsa_exception_fp_ieee_underflow 0
		.amdhsa_exception_fp_ieee_inexact 0
		.amdhsa_exception_int_div_zero 0
	.end_amdhsa_kernel
	.text
.Lfunc_end95:
	.size	naive_conv_ab_nonpacked_bwd_ndhwc_float_double_float_1, .Lfunc_end95-naive_conv_ab_nonpacked_bwd_ndhwc_float_double_float_1
                                        ; -- End function
	.section	.AMDGPU.csdata,"",@progbits
; Kernel info:
; codeLenInByte = 2680
; NumSgprs: 102
; NumVgprs: 32
; NumAgprs: 0
; TotalNumVgprs: 32
; ScratchSize: 0
; MemoryBound: 0
; FloatMode: 240
; IeeeMode: 1
; LDSByteSize: 0 bytes/workgroup (compile time only)
; SGPRBlocks: 12
; VGPRBlocks: 3
; NumSGPRsForWavesPerEU: 102
; NumVGPRsForWavesPerEU: 32
; AccumOffset: 32
; Occupancy: 7
; WaveLimiterHint : 1
; COMPUTE_PGM_RSRC2:SCRATCH_EN: 0
; COMPUTE_PGM_RSRC2:USER_SGPR: 2
; COMPUTE_PGM_RSRC2:TRAP_HANDLER: 0
; COMPUTE_PGM_RSRC2:TGID_X_EN: 1
; COMPUTE_PGM_RSRC2:TGID_Y_EN: 0
; COMPUTE_PGM_RSRC2:TGID_Z_EN: 0
; COMPUTE_PGM_RSRC2:TIDIG_COMP_CNT: 0
; COMPUTE_PGM_RSRC3_GFX90A:ACCUM_OFFSET: 7
; COMPUTE_PGM_RSRC3_GFX90A:TG_SPLIT: 0
	.text
	.protected	naive_conv_ab_packed_bwd_ndhwc_half_double_half_0 ; -- Begin function naive_conv_ab_packed_bwd_ndhwc_half_double_half_0
	.globl	naive_conv_ab_packed_bwd_ndhwc_half_double_half_0
	.p2align	8
	.type	naive_conv_ab_packed_bwd_ndhwc_half_double_half_0,@function
naive_conv_ab_packed_bwd_ndhwc_half_double_half_0: ; @naive_conv_ab_packed_bwd_ndhwc_half_double_half_0
; %bb.0:
	s_load_dwordx16 s[4:19], s[0:1], 0xb8
	s_abs_i32 s36, s2
	s_waitcnt lgkmcnt(0)
	s_abs_i32 s3, s4
	v_cvt_f32_u32_e32 v1, s3
	s_sub_i32 s20, 0, s3
	s_mul_i32 s28, s7, s4
	v_rcp_iflag_f32_e32 v1, v1
	s_nop 0
	v_mul_f32_e32 v1, 0x4f7ffffe, v1
	v_cvt_u32_f32_e32 v1, v1
	s_nop 0
	v_readfirstlane_b32 s21, v1
	s_mul_i32 s20, s20, s21
	s_mul_hi_u32 s20, s21, s20
	s_add_i32 s21, s21, s20
	s_mul_hi_u32 s20, s36, s21
	s_mul_i32 s21, s20, s3
	s_sub_i32 s21, s36, s21
	s_add_i32 s22, s20, 1
	s_sub_i32 s23, s21, s3
	s_cmp_ge_u32 s21, s3
	s_cselect_b32 s20, s22, s20
	s_cselect_b32 s21, s23, s21
	s_add_i32 s22, s20, 1
	s_cmp_ge_u32 s21, s3
	s_cselect_b32 s29, s22, s20
	s_abs_i32 s38, s7
	s_abs_i32 s37, s28
	v_cvt_f32_u32_e32 v1, s38
	v_cvt_f32_u32_e32 v2, s37
	s_mul_i32 s3, s9, s6
	s_mul_i32 s7, s3, s5
	v_rcp_iflag_f32_e32 v1, v1
	v_rcp_iflag_f32_e32 v2, v2
	v_cmp_gt_i32_e32 vcc, s7, v0
	v_mul_f32_e32 v1, 0x4f7ffffe, v1
	v_mul_f32_e32 v2, 0x4f7ffffe, v2
	v_cvt_u32_f32_e32 v1, v1
	v_cvt_u32_f32_e32 v2, v2
	v_readfirstlane_b32 s31, v1
	v_readfirstlane_b32 s30, v2
	s_and_saveexec_b64 s[20:21], vcc
	s_cbranch_execz .LBB96_38
; %bb.1:
	s_ashr_i32 s39, s2, 31
	s_ashr_i32 s33, s4, 31
	s_xor_b32 s33, s39, s33
	s_xor_b32 s29, s29, s33
	s_sub_i32 s40, s29, s33
	s_sub_i32 s29, 0, s38
	s_mul_i32 s29, s29, s31
	s_mul_hi_u32 s29, s31, s29
	s_ashr_i32 s44, s28, 31
	s_sub_i32 s28, 0, s37
	s_abs_i32 s42, s40
	s_add_i32 s31, s31, s29
	s_mul_i32 s28, s28, s30
	s_mul_hi_u32 s43, s42, s31
	s_mul_hi_u32 s28, s30, s28
	s_add_i32 s30, s30, s28
	s_mul_i32 s43, s43, s38
	s_load_dwordx8 s[20:27], s[0:1], 0x0
	s_ashr_i32 s41, s40, 31
	s_load_dwordx2 s[34:35], s[0:1], 0x108
	s_mul_hi_u32 s45, s36, s30
	s_load_dwordx2 s[48:49], s[0:1], 0x20
	s_load_dwordx4 s[28:31], s[0:1], 0xf8
	s_load_dword s50, s[0:1], 0x11c
	s_mul_i32 s40, s40, s4
	s_sub_i32 s0, s42, s43
	s_sub_i32 s2, s2, s40
	;; [unrolled: 1-line block ×3, first 2 shown]
	s_cmp_ge_u32 s0, s38
	s_cselect_b32 s0, s1, s0
	s_sub_i32 s1, s0, s38
	s_cmp_ge_u32 s0, s38
	s_cselect_b32 s0, s1, s0
	s_mul_i32 s1, s45, s37
	s_xor_b32 s0, s0, s41
	s_sub_i32 s1, s36, s1
	s_sub_i32 s51, s0, s41
	s_xor_b32 s0, s39, s44
	s_add_i32 s36, s45, 1
	s_sub_i32 s38, s1, s37
	s_cmp_ge_u32 s1, s37
	s_cselect_b32 s36, s36, s45
	s_cselect_b32 s1, s38, s1
	s_add_i32 s38, s36, 1
	s_cmp_ge_u32 s1, s37
	s_cselect_b32 s1, s38, s36
	s_waitcnt lgkmcnt(0)
	s_mul_i32 s33, s35, s8
	s_mul_i32 s35, s35, s9
	s_xor_b32 s1, s1, s0
	s_sub_i32 s36, s1, s0
	s_ashr_i32 s52, s51, 31
	s_mul_hi_i32 s0, s51, s4
	s_mul_i32 s1, s51, s4
	s_ashr_i32 s62, s35, 31
	s_ashr_i32 s4, s2, 31
	s_add_u32 s37, s1, s2
	s_addc_u32 s0, s0, s4
	s_mul_i32 s4, s6, s5
	s_mul_hi_i32 s1, s6, s5
	s_mul_hi_u32 s5, s4, s35
	s_mul_i32 s38, s4, s62
	s_add_i32 s5, s5, s38
	s_mul_i32 s1, s1, s35
	s_mul_i32 s4, s4, s35
	s_add_i32 s1, s5, s1
	s_mul_i32 s0, s4, s0
	s_mul_hi_u32 s5, s4, s37
	s_add_i32 s0, s5, s0
	s_mul_i32 s1, s1, s37
	s_add_i32 s1, s0, s1
	s_mul_i32 s0, s4, s37
	s_ashr_i32 s37, s9, 31
	s_lshl_b64 s[0:1], s[0:1], 1
	s_mul_hi_i32 s5, s36, s9
	s_mul_i32 s4, s36, s9
	s_add_u32 s20, s20, s0
	s_addc_u32 s21, s21, s1
	s_lshl_b64 s[0:1], s[4:5], 1
	s_add_u32 s20, s20, s0
	s_addc_u32 s21, s21, s1
	s_ashr_i32 s53, s30, 31
	s_ashr_i32 s54, s10, 31
	;; [unrolled: 1-line block ×4, first 2 shown]
	s_cmp_lt_i32 s30, 1
	s_cselect_b64 s[38:39], -1, 0
	s_add_i32 s19, s2, s19
	s_cmp_gt_i32 s31, 0
	s_cselect_b64 s[40:41], -1, 0
	s_cmp_gt_i32 s34, 0
	s_cselect_b64 s[42:43], -1, 0
	;; [unrolled: 2-line block ×3, first 2 shown]
	s_abs_i32 s66, s13
	v_cvt_f32_u32_e32 v1, s66
	v_cmp_neq_f64_e64 s[0:1], s[24:25], 1.0
	v_cmp_neq_f64_e64 s[4:5], s[26:27], 0
	s_abs_i32 s67, s9
	v_rcp_iflag_f32_e32 v1, v1
	s_or_b64 s[46:47], s[0:1], s[4:5]
	s_sub_i32 s0, 0, s66
	s_abs_i32 s68, s6
	v_mul_f32_e32 v1, 0x4f7ffffe, v1
	v_cvt_u32_f32_e32 v1, v1
	s_abs_i32 s70, s3
	s_abs_i32 s74, s14
	s_abs_i32 s76, s15
	v_readfirstlane_b32 s1, v1
	v_cvt_f32_u32_e32 v1, s67
	s_mul_i32 s0, s0, s1
	s_mul_hi_u32 s0, s1, s0
	s_add_i32 s72, s1, s0
	v_rcp_iflag_f32_e32 v1, v1
	s_mul_hi_i32 s1, s8, s36
	s_mul_i32 s0, s8, s36
	s_and_b32 s65, s50, 0xffff
	s_sub_i32 s50, 0, s67
	s_sub_i32 s55, 0, s68
	s_ashr_i32 s69, s3, 31
	s_sub_i32 s58, 0, s70
	s_ashr_i32 s71, s13, 31
	s_ashr_i32 s73, s14, 31
	s_sub_i32 s13, 0, s74
	s_ashr_i32 s75, s15, 31
	s_sub_i32 s59, 0, s76
	s_lshl_b64 s[2:3], s[0:1], 1
	s_add_u32 s14, s48, s2
	s_mul_i32 s2, s12, s11
	v_cvt_f32_u32_e32 v3, s68
	s_addc_u32 s15, s49, s3
	s_mul_i32 s3, s2, s54
	s_mul_hi_u32 s4, s2, s10
	v_mul_f32_e32 v1, 0x4f7ffffe, v1
	v_cvt_f32_u32_e32 v4, s70
	s_add_i32 s3, s4, s3
	s_mul_hi_i32 s4, s12, s11
	v_cvt_u32_f32_e32 v1, v1
	v_cvt_f32_u32_e32 v5, s74
	s_mul_i32 s4, s4, s10
	s_mul_i32 s2, s2, s10
	s_add_i32 s3, s3, s4
	s_mul_i32 s4, s2, s52
	s_mul_hi_u32 s5, s2, s51
	v_rcp_iflag_f32_e32 v3, v3
	v_cvt_f32_u32_e32 v9, s76
	s_add_i32 s4, s5, s4
	s_mul_i32 s3, s3, s51
	v_rcp_iflag_f32_e32 v4, v4
	s_add_i32 s3, s4, s3
	s_mul_i32 s4, s34, s31
	v_mul_lo_u32 v2, s50, v1
	v_rcp_iflag_f32_e32 v5, v5
	s_mul_i32 s5, s4, s37
	s_mul_hi_u32 s36, s4, s9
	v_mul_hi_u32 v2, v1, v2
	s_add_i32 s5, s36, s5
	s_mul_hi_i32 s36, s34, s31
	v_mul_f32_e32 v3, 0x4f7ffffe, v3
	v_add_u32_e32 v1, v1, v2
	v_rcp_iflag_f32_e32 v2, v9
	s_mul_i32 s36, s36, s9
	s_mul_i32 s4, s4, s9
	v_cvt_u32_f32_e32 v3, v3
	v_mul_f32_e32 v4, 0x4f7ffffe, v4
	s_add_i32 s5, s5, s36
	s_mul_i32 s36, s4, s53
	s_mul_hi_u32 s48, s4, s30
	v_cvt_u32_f32_e32 v4, v4
	v_mul_f32_e32 v5, 0x4f7ffffe, v5
	s_add_i32 s36, s48, s36
	s_mul_i32 s48, s5, s30
	v_cvt_u32_f32_e32 v5, v5
	s_add_i32 s57, s36, s48
	s_mul_i32 s56, s4, s30
	v_mul_f32_e32 v2, 0x4f7ffffe, v2
	s_mul_i32 s36, s0, s57
	s_mul_hi_u32 s48, s0, s56
	v_mul_lo_u32 v6, s55, v3
	v_cvt_u32_f32_e32 v2, v2
	s_add_i32 s36, s48, s36
	s_mul_i32 s1, s1, s56
	v_mul_lo_u32 v7, s58, v4
	v_mul_hi_u32 v6, v3, v6
	s_mul_i32 s2, s2, s51
	s_add_i32 s1, s36, s1
	s_mul_i32 s0, s0, s56
	v_mul_lo_u32 v8, s13, v5
	v_add_u32_e32 v20, v3, v6
	v_mul_hi_u32 v3, v4, v7
	s_lshl_b64 s[48:49], s[2:3], 1
	s_lshl_b64 s[0:1], s[0:1], 1
	v_add_u32_e32 v21, v4, v3
	v_mul_hi_u32 v3, v5, v8
	s_add_u32 s22, s22, s0
	v_add_u32_e32 v22, v5, v3
	v_mul_lo_u32 v3, s59, v2
	s_addc_u32 s23, s23, s1
	s_mov_b32 s36, s9
	v_mul_hi_u32 v3, v2, v3
	s_mul_hi_i32 s1, s34, s9
	s_mul_i32 s0, s34, s9
	s_mov_b32 s77, s12
	s_mov_b64 s[12:13], 0
	v_add_u32_e32 v23, v2, v3
	s_lshl_b64 s[50:51], s[4:5], 1
	s_lshl_b64 s[52:53], s[0:1], 1
	;; [unrolled: 1-line block ×4, first 2 shown]
	s_branch .LBB96_3
.LBB96_2:                               ;   in Loop: Header=BB96_3 Depth=1
	v_add_u32_e32 v0, s65, v0
	v_cmp_le_i32_e32 vcc, s7, v0
	s_or_b64 s[12:13], vcc, s[12:13]
	s_andn2_b64 exec, exec, s[12:13]
	s_cbranch_execz .LBB96_38
.LBB96_3:                               ; =>This Loop Header: Depth=1
                                        ;     Child Loop BB96_9 Depth 2
                                        ;       Child Loop BB96_18 Depth 3
                                        ;         Child Loop BB96_25 Depth 4
                                        ;           Child Loop BB96_32 Depth 5
	v_sub_u32_e32 v3, 0, v0
	v_max_i32_e32 v3, v0, v3
	v_mul_hi_u32 v5, v3, v1
	v_mul_lo_u32 v6, v5, s67
	v_sub_u32_e32 v6, v3, v6
	v_add_u32_e32 v7, 1, v5
	v_cmp_le_u32_e32 vcc, s67, v6
	v_ashrrev_i32_e32 v4, 31, v0
	v_xor_b32_e32 v2, s37, v4
	v_cndmask_b32_e32 v5, v5, v7, vcc
	v_subrev_u32_e32 v7, s67, v6
	v_cndmask_b32_e32 v6, v6, v7, vcc
	v_add_u32_e32 v7, 1, v5
	v_cmp_le_u32_e32 vcc, s67, v6
	s_nop 1
	v_cndmask_b32_e32 v5, v5, v7, vcc
	v_xor_b32_e32 v5, v5, v2
	v_sub_u32_e32 v5, v5, v2
	v_sub_u32_e32 v6, 0, v5
	v_max_i32_e32 v6, v5, v6
	v_mul_hi_u32 v7, v6, v20
	v_mul_lo_u32 v7, v7, s68
	v_sub_u32_e32 v6, v6, v7
	v_subrev_u32_e32 v7, s68, v6
	v_cmp_le_u32_e32 vcc, s68, v6
	v_mul_lo_u32 v2, v5, s36
	v_sub_u32_e32 v2, v0, v2
	v_cndmask_b32_e32 v6, v6, v7, vcc
	v_mul_hi_u32 v7, v3, v21
	v_mul_lo_u32 v8, v7, s70
	v_sub_u32_e32 v3, v3, v8
	v_subrev_u32_e32 v8, s70, v3
	v_cmp_le_u32_e64 s[2:3], s70, v3
	v_cmp_le_u32_e64 s[0:1], s68, v6
	s_andn2_b64 vcc, exec, s[38:39]
	v_cndmask_b32_e64 v3, v3, v8, s[2:3]
	v_cmp_le_u32_e64 s[4:5], s70, v3
	s_cbranch_vccnz .LBB96_5
; %bb.4:                                ;   in Loop: Header=BB96_3 Depth=1
	v_ashrrev_i32_e32 v3, 31, v2
	s_mov_b64 s[58:59], 0
	s_mov_b64 s[60:61], 0
	s_branch .LBB96_6
.LBB96_5:                               ;   in Loop: Header=BB96_3 Depth=1
	s_mov_b64 s[58:59], -1
                                        ; implicit-def: $sgpr60_sgpr61
.LBB96_6:                               ;   in Loop: Header=BB96_3 Depth=1
	v_subrev_u32_e32 v8, s68, v6
	v_ashrrev_i32_e32 v5, 31, v5
	v_cndmask_b32_e64 v6, v6, v8, s[0:1]
	v_xor_b32_e32 v6, v6, v5
	v_sub_u32_e32 v6, v6, v5
	v_add_u32_e32 v5, 1, v7
	v_cndmask_b32_e64 v5, v7, v5, s[2:3]
	v_add_u32_e32 v7, 1, v5
	v_xor_b32_e32 v4, s69, v4
	v_cndmask_b32_e64 v5, v5, v7, s[4:5]
	v_xor_b32_e32 v5, v5, v4
	v_sub_u32_e32 v24, v5, v4
	s_andn2_b64 vcc, exec, s[58:59]
	v_mov_b64_e32 v[4:5], s[60:61]
	s_cbranch_vccnz .LBB96_34
; %bb.7:                                ;   in Loop: Header=BB96_3 Depth=1
	v_ashrrev_i32_e32 v3, 31, v2
	v_add_u32_e32 v7, s28, v24
	v_add_u32_e32 v25, s29, v6
	v_lshl_add_u64 v[8:9], v[2:3], 1, s[22:23]
	s_mov_b32 s9, 0
	v_mov_b64_e32 v[4:5], 0
	s_branch .LBB96_9
.LBB96_8:                               ;   in Loop: Header=BB96_9 Depth=2
	s_add_i32 s9, s9, 1
	s_cmp_eq_u32 s9, s30
	v_lshl_add_u64 v[8:9], v[8:9], 0, s[50:51]
	s_cbranch_scc1 .LBB96_34
.LBB96_9:                               ;   Parent Loop BB96_3 Depth=1
                                        ; =>  This Loop Header: Depth=2
                                        ;       Child Loop BB96_18 Depth 3
                                        ;         Child Loop BB96_25 Depth 4
                                        ;           Child Loop BB96_32 Depth 5
	s_mul_i32 s0, s9, s16
	s_sub_i32 s61, s19, s0
	s_cmp_gt_i32 s61, -1
	s_cbranch_scc0 .LBB96_11
; %bb.10:                               ;   in Loop: Header=BB96_9 Depth=2
	s_abs_i32 s0, s61
	s_mul_hi_u32 s5, s0, s72
	s_mul_i32 s1, s5, s66
	s_sub_i32 s58, s0, s1
	s_ashr_i32 s4, s61, 31
	s_sub_i32 s59, s58, s66
	s_cmp_ge_u32 s58, s66
	s_cselect_b32 s0, s59, s58
	s_sub_i32 s1, s0, s66
	s_cmp_ge_u32 s0, s66
	s_cselect_b32 s0, s1, s0
	s_xor_b32 s0, s0, s4
	s_sub_i32 s0, s0, s4
	s_cmp_lg_u32 s0, 0
	s_mov_b32 s60, 1
	s_cselect_b64 s[0:1], -1, 0
	s_cbranch_execz .LBB96_12
	s_branch .LBB96_13
.LBB96_11:                              ;   in Loop: Header=BB96_9 Depth=2
	s_mov_b64 s[0:1], 0
                                        ; implicit-def: $sgpr60
                                        ; implicit-def: $sgpr4
                                        ; implicit-def: $sgpr5
                                        ; implicit-def: $sgpr58
                                        ; implicit-def: $sgpr59
.LBB96_12:                              ;   in Loop: Header=BB96_9 Depth=2
	s_abs_i32 s0, s61
	s_mul_hi_u32 s5, s0, s72
	s_mul_i32 s1, s5, s66
	s_sub_i32 s58, s0, s1
	s_ashr_i32 s4, s61, 31
	s_sub_i32 s59, s58, s66
	s_mov_b64 s[0:1], -1
                                        ; implicit-def: $sgpr60
.LBB96_13:                              ;   in Loop: Header=BB96_9 Depth=2
	s_andn2_b64 vcc, exec, s[0:1]
	s_cbranch_vccz .LBB96_15
; %bb.14:                               ;   in Loop: Header=BB96_9 Depth=2
	s_andn2_b64 vcc, exec, s[40:41]
	s_cbranch_vccz .LBB96_16
	s_branch .LBB96_8
.LBB96_15:                              ;   in Loop: Header=BB96_9 Depth=2
	s_mov_b32 s60, 0
	s_andn2_b64 vcc, exec, s[40:41]
	s_cbranch_vccnz .LBB96_8
.LBB96_16:                              ;   in Loop: Header=BB96_9 Depth=2
	s_xor_b32 s0, s4, s71
	s_add_i32 s1, s5, 1
	s_cmp_ge_u32 s58, s66
	s_cselect_b32 s1, s1, s5
	s_cselect_b32 s2, s59, s58
	s_add_i32 s3, s1, 1
	s_cmp_ge_u32 s2, s66
	s_cselect_b32 s1, s3, s1
	s_xor_b32 s1, s1, s0
	s_sub_i32 s0, s1, s0
	s_cmp_lt_i32 s0, s10
	s_mov_b32 s58, 0
	s_cselect_b32 s59, s60, 0
	s_mul_hi_i32 s1, s0, s11
	s_mul_i32 s0, s0, s11
	v_mov_b64_e32 v[10:11], v[8:9]
	s_branch .LBB96_18
.LBB96_17:                              ;   in Loop: Header=BB96_18 Depth=3
	s_add_i32 s58, s58, 1
	s_cmp_eq_u32 s58, s31
	v_lshl_add_u64 v[10:11], v[10:11], 0, s[52:53]
	s_cbranch_scc1 .LBB96_8
.LBB96_18:                              ;   Parent Loop BB96_3 Depth=1
                                        ;     Parent Loop BB96_9 Depth=2
                                        ; =>    This Loop Header: Depth=3
                                        ;         Child Loop BB96_25 Depth 4
                                        ;           Child Loop BB96_32 Depth 5
	s_mul_i32 s2, s58, s17
	v_subrev_u32_e32 v12, s2, v7
	v_cmp_gt_i32_e64 s[2:3], 0, v12
	v_cmp_lt_i32_e32 vcc, -1, v12
	v_ashrrev_i32_e32 v14, 31, v12
	v_sub_u32_e32 v13, 0, v12
                                        ; implicit-def: $sgpr60
	s_and_saveexec_b64 s[4:5], vcc
	s_cbranch_execnz .LBB96_21
; %bb.19:                               ;   in Loop: Header=BB96_18 Depth=3
	s_or_b64 exec, exec, s[4:5]
	v_mov_b32_e32 v15, s60
	s_and_saveexec_b64 s[4:5], s[2:3]
	s_cbranch_execnz .LBB96_22
.LBB96_20:                              ;   in Loop: Header=BB96_18 Depth=3
	s_or_b64 exec, exec, s[4:5]
	s_andn2_b64 vcc, exec, s[42:43]
	s_cbranch_vccz .LBB96_23
	s_branch .LBB96_17
.LBB96_21:                              ;   in Loop: Header=BB96_18 Depth=3
	v_max_i32_e32 v15, v12, v13
	v_mul_hi_u32 v16, v15, v22
	v_mul_lo_u32 v16, v16, s74
	v_sub_u32_e32 v15, v15, v16
	v_subrev_u32_e32 v16, s74, v15
	v_cmp_le_u32_e32 vcc, s74, v15
	s_andn2_b64 s[2:3], s[2:3], exec
	s_mov_b32 s60, 1
	v_cndmask_b32_e32 v15, v15, v16, vcc
	v_subrev_u32_e32 v16, s74, v15
	v_cmp_le_u32_e32 vcc, s74, v15
	s_nop 1
	v_cndmask_b32_e32 v15, v15, v16, vcc
	v_xor_b32_e32 v15, v15, v14
	v_sub_u32_e32 v15, v15, v14
	v_cmp_ne_u32_e32 vcc, 0, v15
	s_and_b64 s[78:79], vcc, exec
	s_or_b64 s[2:3], s[2:3], s[78:79]
	s_or_b64 exec, exec, s[4:5]
	v_mov_b32_e32 v15, s60
	s_and_saveexec_b64 s[4:5], s[2:3]
	s_cbranch_execz .LBB96_20
.LBB96_22:                              ;   in Loop: Header=BB96_18 Depth=3
	v_mov_b32_e32 v15, 0
	s_or_b64 exec, exec, s[4:5]
	s_andn2_b64 vcc, exec, s[42:43]
	s_cbranch_vccnz .LBB96_17
.LBB96_23:                              ;   in Loop: Header=BB96_18 Depth=3
	v_max_i32_e32 v12, v12, v13
	v_mul_hi_u32 v13, v12, v22
	v_mul_lo_u32 v16, v13, s74
	v_sub_u32_e32 v12, v12, v16
	v_add_u32_e32 v16, 1, v13
	v_cmp_le_u32_e32 vcc, s74, v12
	v_xor_b32_e32 v14, s73, v14
	s_mov_b32 s60, 0
	v_cndmask_b32_e32 v13, v13, v16, vcc
	v_subrev_u32_e32 v16, s74, v12
	v_cndmask_b32_e32 v12, v12, v16, vcc
	v_add_u32_e32 v16, 1, v13
	v_cmp_le_u32_e32 vcc, s74, v12
	s_nop 1
	v_cndmask_b32_e32 v12, v13, v16, vcc
	v_xor_b32_e32 v12, v12, v14
	v_sub_u32_e32 v12, v12, v14
	v_cmp_gt_i32_e32 vcc, s11, v12
	s_nop 1
	v_cndmask_b32_e32 v13, 0, v15, vcc
	v_and_b32_e32 v26, s59, v13
	v_ashrrev_i32_e32 v13, 31, v12
	v_lshl_add_u64 v[12:13], s[0:1], 0, v[12:13]
	v_mul_lo_u32 v14, v13, s77
	v_mul_lo_u32 v15, v12, s63
	v_mad_u64_u32 v[12:13], s[2:3], v12, s77, 0
	v_add3_u32 v13, v13, v15, v14
	v_mov_b64_e32 v[14:15], v[10:11]
	s_branch .LBB96_25
.LBB96_24:                              ;   in Loop: Header=BB96_25 Depth=4
	s_add_i32 s60, s60, 1
	s_cmp_eq_u32 s60, s34
	v_lshl_add_u64 v[14:15], v[14:15], 0, s[54:55]
	s_cbranch_scc1 .LBB96_17
.LBB96_25:                              ;   Parent Loop BB96_3 Depth=1
                                        ;     Parent Loop BB96_9 Depth=2
                                        ;       Parent Loop BB96_18 Depth=3
                                        ; =>      This Loop Header: Depth=4
                                        ;           Child Loop BB96_32 Depth 5
	s_mul_i32 s2, s60, s18
	v_subrev_u32_e32 v16, s2, v25
	v_sub_u32_e32 v18, 0, v16
	v_cmp_gt_i32_e64 s[2:3], 0, v16
	v_cmp_lt_i32_e32 vcc, -1, v16
	v_ashrrev_i32_e32 v17, 31, v16
	v_max_i32_e32 v16, v16, v18
                                        ; implicit-def: $sgpr61
	s_and_saveexec_b64 s[4:5], vcc
	s_cbranch_execnz .LBB96_28
; %bb.26:                               ;   in Loop: Header=BB96_25 Depth=4
	s_or_b64 exec, exec, s[4:5]
	v_mov_b32_e32 v18, s61
	s_and_saveexec_b64 s[4:5], s[2:3]
	s_cbranch_execnz .LBB96_29
.LBB96_27:                              ;   in Loop: Header=BB96_25 Depth=4
	s_or_b64 exec, exec, s[4:5]
	s_andn2_b64 vcc, exec, s[44:45]
	s_cbranch_vccz .LBB96_30
	s_branch .LBB96_24
.LBB96_28:                              ;   in Loop: Header=BB96_25 Depth=4
	v_mul_hi_u32 v18, v16, v23
	v_mul_lo_u32 v18, v18, s76
	v_sub_u32_e32 v18, v16, v18
	v_subrev_u32_e32 v19, s76, v18
	v_cmp_le_u32_e32 vcc, s76, v18
	s_andn2_b64 s[2:3], s[2:3], exec
	s_mov_b32 s61, 1
	v_cndmask_b32_e32 v18, v18, v19, vcc
	v_subrev_u32_e32 v19, s76, v18
	v_cmp_le_u32_e32 vcc, s76, v18
	s_nop 1
	v_cndmask_b32_e32 v18, v18, v19, vcc
	v_xor_b32_e32 v18, v18, v17
	v_sub_u32_e32 v18, v18, v17
	v_cmp_ne_u32_e32 vcc, 0, v18
	s_and_b64 s[78:79], vcc, exec
	s_or_b64 s[2:3], s[2:3], s[78:79]
	s_or_b64 exec, exec, s[4:5]
	v_mov_b32_e32 v18, s61
	s_and_saveexec_b64 s[4:5], s[2:3]
	s_cbranch_execz .LBB96_27
.LBB96_29:                              ;   in Loop: Header=BB96_25 Depth=4
	v_mov_b32_e32 v18, 0
	s_or_b64 exec, exec, s[4:5]
	s_andn2_b64 vcc, exec, s[44:45]
	s_cbranch_vccnz .LBB96_24
.LBB96_30:                              ;   in Loop: Header=BB96_25 Depth=4
	v_mul_hi_u32 v19, v16, v23
	v_mul_lo_u32 v27, v19, s76
	v_sub_u32_e32 v16, v16, v27
	v_add_u32_e32 v27, 1, v19
	v_cmp_le_u32_e32 vcc, s76, v16
	v_xor_b32_e32 v17, s75, v17
	s_mov_b32 s4, s8
	v_cndmask_b32_e32 v19, v19, v27, vcc
	v_subrev_u32_e32 v27, s76, v16
	v_cndmask_b32_e32 v16, v16, v27, vcc
	v_add_u32_e32 v27, 1, v19
	v_cmp_le_u32_e32 vcc, s76, v16
	s_nop 1
	v_cndmask_b32_e32 v16, v19, v27, vcc
	v_xor_b32_e32 v16, v16, v17
	v_sub_u32_e32 v16, v16, v17
	v_cmp_gt_i32_e32 vcc, s77, v16
	s_nop 1
	v_cndmask_b32_e32 v17, 0, v18, vcc
	v_and_b32_e32 v17, v26, v17
	v_cmp_ne_u32_e32 vcc, 0, v17
	v_ashrrev_i32_e32 v17, 31, v16
	v_lshl_add_u64 v[16:17], v[12:13], 0, v[16:17]
	v_lshl_add_u64 v[16:17], v[16:17], 1, s[48:49]
	v_mov_b64_e32 v[18:19], s[14:15]
	v_mul_lo_u32 v27, s33, v17
	v_mul_lo_u32 v28, s64, v16
	v_mad_u64_u32 v[16:17], s[2:3], s33, v16, v[18:19]
	v_add3_u32 v17, v28, v17, v27
	v_mov_b64_e32 v[18:19], v[14:15]
	s_branch .LBB96_32
.LBB96_31:                              ;   in Loop: Header=BB96_32 Depth=5
	s_or_b64 exec, exec, s[2:3]
	s_add_i32 s4, s4, -1
	v_lshl_add_u64 v[16:17], v[16:17], 0, 2
	s_cmp_eq_u32 s4, 0
	v_lshl_add_u64 v[18:19], v[18:19], 0, s[56:57]
	s_cbranch_scc1 .LBB96_24
.LBB96_32:                              ;   Parent Loop BB96_3 Depth=1
                                        ;     Parent Loop BB96_9 Depth=2
                                        ;       Parent Loop BB96_18 Depth=3
                                        ;         Parent Loop BB96_25 Depth=4
                                        ; =>        This Inner Loop Header: Depth=5
	s_and_saveexec_b64 s[2:3], vcc
	s_cbranch_execz .LBB96_31
; %bb.33:                               ;   in Loop: Header=BB96_32 Depth=5
	global_load_ushort v27, v[16:17], off
	global_load_ushort v28, v[18:19], off
	s_waitcnt vmcnt(1)
	v_cvt_f32_f16_e32 v27, v27
	s_waitcnt vmcnt(0)
	v_cvt_f32_f16_e32 v30, v28
	v_cvt_f64_f32_e32 v[28:29], v27
	v_cvt_f64_f32_e32 v[30:31], v30
	v_fmac_f64_e32 v[4:5], v[28:29], v[30:31]
	s_branch .LBB96_31
.LBB96_34:                              ;   in Loop: Header=BB96_3 Depth=1
	v_ashrrev_i32_e32 v7, 31, v6
	v_mad_i64_i32 v[6:7], s[0:1], v24, s6, v[6:7]
	v_mul_lo_u32 v8, v6, s62
	v_mul_lo_u32 v7, v7, s35
	v_mad_u64_u32 v[2:3], s[0:1], v6, s35, v[2:3]
	v_add3_u32 v3, v7, v3, v8
	s_mov_b64 s[0:1], -1
	s_and_b64 vcc, exec, s[46:47]
	s_cbranch_vccz .LBB96_36
; %bb.35:                               ;   in Loop: Header=BB96_3 Depth=1
	v_lshl_add_u64 v[6:7], v[2:3], 1, s[20:21]
	global_load_ushort v8, v[6:7], off
	s_mov_b64 s[0:1], 0
	s_waitcnt vmcnt(0)
	v_cvt_f32_f16_e32 v8, v8
	v_cvt_f64_f32_e32 v[8:9], v8
	v_mul_f64 v[8:9], v[8:9], s[26:27]
	v_fmac_f64_e32 v[8:9], s[24:25], v[4:5]
	v_cvt_f32_f64_e32 v8, v[8:9]
	v_cvt_f16_f32_e32 v8, v8
	global_store_short v[6:7], v8, off
.LBB96_36:                              ;   in Loop: Header=BB96_3 Depth=1
	s_andn2_b64 vcc, exec, s[0:1]
	s_cbranch_vccnz .LBB96_2
; %bb.37:                               ;   in Loop: Header=BB96_3 Depth=1
	v_cvt_f32_f64_e32 v4, v[4:5]
	v_cvt_f16_f32_e32 v4, v4
	v_lshl_add_u64 v[2:3], v[2:3], 1, s[20:21]
	global_store_short v[2:3], v4, off
	s_branch .LBB96_2
.LBB96_38:
	s_endpgm
	.section	.rodata,"a",@progbits
	.p2align	6, 0x0
	.amdhsa_kernel naive_conv_ab_packed_bwd_ndhwc_half_double_half_0
		.amdhsa_group_segment_fixed_size 0
		.amdhsa_private_segment_fixed_size 0
		.amdhsa_kernarg_size 528
		.amdhsa_user_sgpr_count 2
		.amdhsa_user_sgpr_dispatch_ptr 0
		.amdhsa_user_sgpr_queue_ptr 0
		.amdhsa_user_sgpr_kernarg_segment_ptr 1
		.amdhsa_user_sgpr_dispatch_id 0
		.amdhsa_user_sgpr_kernarg_preload_length 0
		.amdhsa_user_sgpr_kernarg_preload_offset 0
		.amdhsa_user_sgpr_private_segment_size 0
		.amdhsa_uses_dynamic_stack 0
		.amdhsa_enable_private_segment 0
		.amdhsa_system_sgpr_workgroup_id_x 1
		.amdhsa_system_sgpr_workgroup_id_y 0
		.amdhsa_system_sgpr_workgroup_id_z 0
		.amdhsa_system_sgpr_workgroup_info 0
		.amdhsa_system_vgpr_workitem_id 0
		.amdhsa_next_free_vgpr 32
		.amdhsa_next_free_sgpr 80
		.amdhsa_accum_offset 32
		.amdhsa_reserve_vcc 1
		.amdhsa_float_round_mode_32 0
		.amdhsa_float_round_mode_16_64 0
		.amdhsa_float_denorm_mode_32 3
		.amdhsa_float_denorm_mode_16_64 3
		.amdhsa_dx10_clamp 1
		.amdhsa_ieee_mode 1
		.amdhsa_fp16_overflow 0
		.amdhsa_tg_split 0
		.amdhsa_exception_fp_ieee_invalid_op 0
		.amdhsa_exception_fp_denorm_src 0
		.amdhsa_exception_fp_ieee_div_zero 0
		.amdhsa_exception_fp_ieee_overflow 0
		.amdhsa_exception_fp_ieee_underflow 0
		.amdhsa_exception_fp_ieee_inexact 0
		.amdhsa_exception_int_div_zero 0
	.end_amdhsa_kernel
	.text
.Lfunc_end96:
	.size	naive_conv_ab_packed_bwd_ndhwc_half_double_half_0, .Lfunc_end96-naive_conv_ab_packed_bwd_ndhwc_half_double_half_0
                                        ; -- End function
	.section	.AMDGPU.csdata,"",@progbits
; Kernel info:
; codeLenInByte = 2652
; NumSgprs: 86
; NumVgprs: 32
; NumAgprs: 0
; TotalNumVgprs: 32
; ScratchSize: 0
; MemoryBound: 0
; FloatMode: 240
; IeeeMode: 1
; LDSByteSize: 0 bytes/workgroup (compile time only)
; SGPRBlocks: 10
; VGPRBlocks: 3
; NumSGPRsForWavesPerEU: 86
; NumVGPRsForWavesPerEU: 32
; AccumOffset: 32
; Occupancy: 8
; WaveLimiterHint : 1
; COMPUTE_PGM_RSRC2:SCRATCH_EN: 0
; COMPUTE_PGM_RSRC2:USER_SGPR: 2
; COMPUTE_PGM_RSRC2:TRAP_HANDLER: 0
; COMPUTE_PGM_RSRC2:TGID_X_EN: 1
; COMPUTE_PGM_RSRC2:TGID_Y_EN: 0
; COMPUTE_PGM_RSRC2:TGID_Z_EN: 0
; COMPUTE_PGM_RSRC2:TIDIG_COMP_CNT: 0
; COMPUTE_PGM_RSRC3_GFX90A:ACCUM_OFFSET: 7
; COMPUTE_PGM_RSRC3_GFX90A:TG_SPLIT: 0
	.text
	.protected	naive_conv_ab_nonpacked_bwd_ndhwc_half_double_half_0 ; -- Begin function naive_conv_ab_nonpacked_bwd_ndhwc_half_double_half_0
	.globl	naive_conv_ab_nonpacked_bwd_ndhwc_half_double_half_0
	.p2align	8
	.type	naive_conv_ab_nonpacked_bwd_ndhwc_half_double_half_0,@function
naive_conv_ab_nonpacked_bwd_ndhwc_half_double_half_0: ; @naive_conv_ab_nonpacked_bwd_ndhwc_half_double_half_0
; %bb.0:
	s_load_dwordx16 s[4:19], s[0:1], 0xb8
	s_abs_i32 s34, s2
	s_waitcnt lgkmcnt(0)
	s_abs_i32 s3, s4
	v_cvt_f32_u32_e32 v1, s3
	s_sub_i32 s20, 0, s3
	s_mul_i32 s28, s7, s4
	v_rcp_iflag_f32_e32 v1, v1
	s_nop 0
	v_mul_f32_e32 v1, 0x4f7ffffe, v1
	v_cvt_u32_f32_e32 v1, v1
	s_nop 0
	v_readfirstlane_b32 s21, v1
	s_mul_i32 s20, s20, s21
	s_mul_hi_u32 s20, s21, s20
	s_add_i32 s21, s21, s20
	s_mul_hi_u32 s20, s34, s21
	s_mul_i32 s21, s20, s3
	s_sub_i32 s21, s34, s21
	s_add_i32 s22, s20, 1
	s_sub_i32 s23, s21, s3
	s_cmp_ge_u32 s21, s3
	s_cselect_b32 s20, s22, s20
	s_cselect_b32 s21, s23, s21
	s_add_i32 s22, s20, 1
	s_cmp_ge_u32 s21, s3
	s_cselect_b32 s29, s22, s20
	s_abs_i32 s35, s7
	s_abs_i32 s7, s28
	v_cvt_f32_u32_e32 v1, s35
	v_cvt_f32_u32_e32 v2, s7
	s_mul_i32 s3, s9, s6
	s_mul_i32 s33, s3, s5
	v_rcp_iflag_f32_e32 v1, v1
	v_rcp_iflag_f32_e32 v2, v2
	v_cmp_gt_i32_e32 vcc, s33, v0
	v_mul_f32_e32 v1, 0x4f7ffffe, v1
	v_mul_f32_e32 v2, 0x4f7ffffe, v2
	v_cvt_u32_f32_e32 v1, v1
	v_cvt_u32_f32_e32 v2, v2
	v_readfirstlane_b32 s30, v1
	v_readfirstlane_b32 s5, v2
	s_and_saveexec_b64 s[20:21], vcc
	s_cbranch_execz .LBB97_38
; %bb.1:
	s_ashr_i32 s52, s2, 31
	s_ashr_i32 s31, s4, 31
	s_xor_b32 s31, s52, s31
	s_xor_b32 s29, s29, s31
	s_sub_i32 s53, s29, s31
	s_sub_i32 s29, 0, s35
	s_mul_i32 s29, s29, s30
	s_mul_hi_u32 s29, s30, s29
	s_abs_i32 s55, s53
	s_add_i32 s30, s30, s29
	s_mul_hi_u32 s56, s55, s30
	s_ashr_i32 s57, s28, 31
	s_sub_i32 s28, 0, s7
	s_mul_i32 s28, s28, s5
	s_mul_i32 s56, s56, s35
	s_ashr_i32 s54, s53, 31
	s_mul_hi_u32 s28, s5, s28
	s_mul_i32 s53, s53, s4
	s_sub_i32 s4, s55, s56
	s_add_i32 s5, s5, s28
	s_sub_i32 s2, s2, s53
	s_sub_i32 s53, s4, s35
	s_cmp_ge_u32 s4, s35
	s_cselect_b32 s4, s53, s4
	s_sub_i32 s53, s4, s35
	s_mul_hi_u32 s5, s34, s5
	s_cmp_ge_u32 s4, s35
	s_cselect_b32 s4, s53, s4
	s_mul_i32 s35, s5, s7
	s_xor_b32 s4, s4, s54
	s_sub_i32 s34, s34, s35
	s_sub_i32 s87, s4, s54
	s_xor_b32 s4, s52, s57
	s_add_i32 s35, s5, 1
	s_sub_i32 s52, s34, s7
	s_cmp_ge_u32 s34, s7
	s_cselect_b32 s5, s35, s5
	s_cselect_b32 s34, s52, s34
	s_add_i32 s35, s5, 1
	s_load_dwordx16 s[36:51], s[0:1], 0x28
	s_load_dwordx4 s[28:31], s[0:1], 0xf8
	s_load_dwordx4 s[68:71], s[0:1], 0xa8
	s_cmp_ge_u32 s34, s7
	s_cselect_b32 s5, s35, s5
	s_xor_b32 s5, s5, s4
	s_ashr_i32 s7, s2, 31
	s_load_dwordx8 s[20:27], s[0:1], 0x0
	s_sub_i32 s88, s5, s4
	s_ashr_i32 s89, s87, 31
	s_waitcnt lgkmcnt(0)
	s_mul_i32 s7, s44, s7
	s_mul_hi_u32 s34, s44, s2
	s_mul_i32 s4, s46, s89
	s_mul_hi_u32 s5, s46, s87
	s_add_i32 s7, s34, s7
	s_mul_i32 s34, s45, s2
	s_ashr_i32 s90, s88, 31
	s_add_i32 s4, s5, s4
	s_mul_i32 s5, s47, s87
	s_add_i32 s35, s7, s34
	s_mul_i32 s34, s44, s2
	s_mul_i32 s7, s38, s90
	s_mul_hi_u32 s44, s38, s88
	s_add_i32 s5, s4, s5
	s_mul_i32 s4, s46, s87
	s_add_i32 s7, s44, s7
	s_mul_i32 s39, s39, s88
	s_add_i32 s39, s7, s39
	s_lshl_b64 s[4:5], s[4:5], 1
	s_add_u32 s7, s20, s4
	s_addc_u32 s20, s21, s5
	s_lshl_b64 s[4:5], s[34:35], 1
	s_mul_i32 s38, s38, s88
	s_add_u32 s7, s7, s4
	s_addc_u32 s21, s20, s5
	s_lshl_b64 s[4:5], s[38:39], 1
	s_add_u32 s20, s7, s4
	s_load_dword s74, s[0:1], 0x108
	s_addc_u32 s21, s21, s5
	s_cmp_lt_i32 s30, 1
	s_cselect_b64 s[34:35], -1, 0
	s_add_i32 s19, s2, s19
	s_load_dword s2, s[0:1], 0x11c
	s_cmp_gt_i32 s31, 0
	s_cselect_b64 s[38:39], -1, 0
	s_waitcnt lgkmcnt(0)
	s_cmp_gt_i32 s74, 0
	s_cselect_b64 s[44:45], -1, 0
	s_cmp_gt_i32 s8, 0
	s_cselect_b64 s[46:47], -1, 0
	s_abs_i32 s75, s13
	v_cvt_f32_u32_e32 v1, s75
	v_cmp_neq_f64_e64 s[4:5], s[24:25], 1.0
	v_cmp_neq_f64_e64 s[52:53], s[26:27], 0
	s_abs_i32 s81, s9
	v_rcp_iflag_f32_e32 v1, v1
	s_or_b64 s[72:73], s[4:5], s[52:53]
	s_abs_i32 s82, s6
	s_abs_i32 s79, s3
	v_mul_f32_e32 v1, 0x4f7ffffe, v1
	v_cvt_u32_f32_e32 v1, v1
	v_cvt_f32_u32_e32 v3, s82
	s_load_dwordx16 s[52:67], s[0:1], 0x68
	s_abs_i32 s84, s14
	v_readfirstlane_b32 s5, v1
	v_cvt_f32_u32_e32 v1, s81
	v_cvt_f32_u32_e32 v5, s79
	s_abs_i32 s86, s15
	v_cvt_f32_u32_e32 v7, s84
	s_sub_i32 s4, 0, s75
	v_rcp_iflag_f32_e32 v1, v1
	v_cvt_f32_u32_e32 v9, s86
	s_mul_i32 s4, s4, s5
	v_rcp_iflag_f32_e32 v3, v3
	s_mul_hi_u32 s4, s5, s4
	v_rcp_iflag_f32_e32 v5, v5
	s_add_i32 s76, s5, s4
	s_waitcnt lgkmcnt(0)
	s_mul_i32 s4, s58, s90
	s_mul_hi_u32 s5, s58, s88
	v_rcp_iflag_f32_e32 v7, v7
	s_add_i32 s4, s5, s4
	s_and_b32 s77, s2, 0xffff
	s_mul_i32 s2, s59, s88
	v_mul_f32_e32 v1, 0x4f7ffffe, v1
	v_rcp_iflag_f32_e32 v9, v9
	s_ashr_i32 s78, s3, 31
	s_add_i32 s3, s4, s2
	s_mul_i32 s2, s58, s88
	v_cvt_u32_f32_e32 v1, v1
	v_mul_f32_e32 v3, 0x4f7ffffe, v3
	s_lshl_b64 s[2:3], s[2:3], 1
	s_ashr_i32 s80, s9, 31
	s_sub_i32 s91, 0, s81
	s_sub_i32 s92, 0, s82
	;; [unrolled: 1-line block ×3, first 2 shown]
	s_ashr_i32 s13, s13, 31
	s_ashr_i32 s83, s14, 31
	s_sub_i32 s94, 0, s84
	s_ashr_i32 s85, s15, 31
	s_sub_i32 s95, 0, s86
	v_cvt_u32_f32_e32 v3, v3
	v_mul_f32_e32 v5, 0x4f7ffffe, v5
	s_add_u32 s6, s22, s2
	v_cvt_u32_f32_e32 v5, v5
	v_mul_f32_e32 v7, 0x4f7ffffe, v7
	s_addc_u32 s7, s23, s3
	s_mul_i32 s2, s62, s90
	s_mul_hi_u32 s3, s62, s88
	s_mul_i32 s4, s70, s89
	s_mul_hi_u32 s5, s70, s87
	v_cvt_u32_f32_e32 v7, v7
	v_mul_f32_e32 v9, 0x4f7ffffe, v9
	s_add_i32 s2, s3, s2
	s_mul_i32 s3, s63, s88
	s_add_i32 s4, s5, s4
	s_mul_i32 s5, s71, s87
	s_load_dwordx2 s[0:1], s[0:1], 0x20
	v_mul_lo_u32 v2, s91, v1
	v_cvt_u32_f32_e32 v9, v9
	s_add_i32 s3, s2, s3
	s_mul_i32 s2, s62, s88
	s_add_i32 s5, s4, s5
	s_mul_i32 s4, s70, s87
	v_mul_lo_u32 v4, s92, v3
	v_mul_hi_u32 v2, v1, v2
	s_lshl_b64 s[2:3], s[2:3], 1
	s_lshl_b64 s[4:5], s[4:5], 1
	;; [unrolled: 1-line block ×7, first 2 shown]
	v_mul_lo_u32 v6, s93, v5
	v_add_u32_e32 v1, v1, v2
	v_mul_hi_u32 v2, v3, v4
	s_add_u32 s2, s2, s4
	v_mul_lo_u32 v8, s94, v7
	v_add_u32_e32 v3, v3, v2
	v_mul_hi_u32 v2, v5, v6
	s_addc_u32 s3, s3, s5
	v_mul_lo_u32 v10, s95, v9
	v_add_u32_e32 v20, v5, v2
	v_mul_hi_u32 v2, v7, v8
	s_waitcnt lgkmcnt(0)
	s_add_u32 s70, s0, s2
	v_add_u32_e32 v21, v7, v2
	v_mul_hi_u32 v2, v9, v10
	s_addc_u32 s71, s1, s3
	s_lshl_b64 s[54:55], s[66:67], 1
	s_lshl_b64 s[56:57], s[64:65], 1
	;; [unrolled: 1-line block ×4, first 2 shown]
	v_add_u32_e32 v22, v9, v2
	s_mov_b64 s[62:63], 0
	s_branch .LBB97_3
.LBB97_2:                               ;   in Loop: Header=BB97_3 Depth=1
	v_add_u32_e32 v0, s77, v0
	v_cmp_le_i32_e32 vcc, s33, v0
	s_or_b64 s[62:63], vcc, s[62:63]
	s_andn2_b64 exec, exec, s[62:63]
	s_cbranch_execz .LBB97_38
.LBB97_3:                               ; =>This Loop Header: Depth=1
                                        ;     Child Loop BB97_9 Depth 2
                                        ;       Child Loop BB97_18 Depth 3
                                        ;         Child Loop BB97_25 Depth 4
                                        ;           Child Loop BB97_32 Depth 5
	v_sub_u32_e32 v4, 0, v0
	v_max_i32_e32 v4, v0, v4
	v_mul_hi_u32 v5, v4, v1
	v_mul_lo_u32 v7, v5, s81
	v_sub_u32_e32 v7, v4, v7
	v_add_u32_e32 v8, 1, v5
	v_cmp_le_u32_e32 vcc, s81, v7
	v_ashrrev_i32_e32 v6, 31, v0
	v_xor_b32_e32 v2, s80, v6
	v_cndmask_b32_e32 v5, v5, v8, vcc
	v_subrev_u32_e32 v8, s81, v7
	v_cndmask_b32_e32 v7, v7, v8, vcc
	v_add_u32_e32 v8, 1, v5
	v_cmp_le_u32_e32 vcc, s81, v7
	s_nop 1
	v_cndmask_b32_e32 v5, v5, v8, vcc
	v_xor_b32_e32 v5, v5, v2
	v_sub_u32_e32 v7, v5, v2
	v_sub_u32_e32 v5, 0, v7
	v_max_i32_e32 v5, v7, v5
	v_mul_hi_u32 v8, v5, v3
	v_mul_lo_u32 v8, v8, s82
	v_sub_u32_e32 v5, v5, v8
	v_subrev_u32_e32 v8, s82, v5
	v_cmp_le_u32_e32 vcc, s82, v5
	v_mul_lo_u32 v2, v7, s9
	v_sub_u32_e32 v2, v0, v2
	v_cndmask_b32_e32 v9, v5, v8, vcc
	v_mul_hi_u32 v8, v4, v20
	v_mul_lo_u32 v5, v8, s79
	v_sub_u32_e32 v4, v4, v5
	v_subrev_u32_e32 v5, s79, v4
	v_cmp_le_u32_e64 s[2:3], s79, v4
	v_cmp_le_u32_e64 s[0:1], s82, v9
	s_andn2_b64 vcc, exec, s[34:35]
	v_cndmask_b32_e64 v4, v4, v5, s[2:3]
	v_cmp_le_u32_e64 s[4:5], s79, v4
	s_cbranch_vccnz .LBB97_5
; %bb.4:                                ;   in Loop: Header=BB97_3 Depth=1
	v_ashrrev_i32_e32 v5, 31, v2
	s_mov_b64 s[64:65], 0
	s_mov_b64 s[66:67], 0
	s_branch .LBB97_6
.LBB97_5:                               ;   in Loop: Header=BB97_3 Depth=1
	s_mov_b64 s[64:65], -1
                                        ; implicit-def: $sgpr66_sgpr67
                                        ; implicit-def: $vgpr4_vgpr5
.LBB97_6:                               ;   in Loop: Header=BB97_3 Depth=1
	v_ashrrev_i32_e32 v4, 31, v7
	v_subrev_u32_e32 v7, s82, v9
	v_cndmask_b32_e64 v7, v9, v7, s[0:1]
	v_xor_b32_e32 v7, v7, v4
	v_sub_u32_e32 v4, v7, v4
	v_add_u32_e32 v7, 1, v8
	v_cndmask_b32_e64 v7, v8, v7, s[2:3]
	v_add_u32_e32 v8, 1, v7
	v_xor_b32_e32 v6, s78, v6
	v_cndmask_b32_e64 v7, v7, v8, s[4:5]
	v_xor_b32_e32 v7, v7, v6
	v_sub_u32_e32 v23, v7, v6
	s_andn2_b64 vcc, exec, s[64:65]
	v_mov_b64_e32 v[6:7], s[66:67]
	s_cbranch_vccnz .LBB97_34
; %bb.7:                                ;   in Loop: Header=BB97_3 Depth=1
	v_ashrrev_i32_e32 v5, 31, v2
	v_mov_b64_e32 v[6:7], s[6:7]
	v_mad_u64_u32 v[8:9], s[0:1], s14, v2, v[6:7]
	v_mul_lo_u32 v6, s15, v2
	v_mul_lo_u32 v7, s14, v5
	v_add_u32_e32 v24, s28, v23
	v_add_u32_e32 v25, s29, v4
	v_add3_u32 v9, v6, v9, v7
	s_mov_b32 s64, 0
	v_mov_b64_e32 v[6:7], 0
	s_branch .LBB97_9
.LBB97_8:                               ;   in Loop: Header=BB97_9 Depth=2
	s_add_i32 s64, s64, 1
	s_cmp_eq_u32 s64, s30
	v_lshl_add_u64 v[8:9], v[8:9], 0, s[22:23]
	s_cbranch_scc1 .LBB97_34
.LBB97_9:                               ;   Parent Loop BB97_3 Depth=1
                                        ; =>  This Loop Header: Depth=2
                                        ;       Child Loop BB97_18 Depth 3
                                        ;         Child Loop BB97_25 Depth 4
                                        ;           Child Loop BB97_32 Depth 5
	s_mul_i32 s0, s64, s16
	s_sub_i32 s68, s19, s0
	s_cmp_gt_i32 s68, -1
	s_cbranch_scc0 .LBB97_11
; %bb.10:                               ;   in Loop: Header=BB97_9 Depth=2
	s_abs_i32 s0, s68
	s_mul_hi_u32 s5, s0, s76
	s_mul_i32 s1, s5, s75
	s_sub_i32 s65, s0, s1
	s_ashr_i32 s4, s68, 31
	s_sub_i32 s66, s65, s75
	s_cmp_ge_u32 s65, s75
	s_cselect_b32 s0, s66, s65
	s_sub_i32 s1, s0, s75
	s_cmp_ge_u32 s0, s75
	s_cselect_b32 s0, s1, s0
	s_xor_b32 s0, s0, s4
	s_sub_i32 s0, s0, s4
	s_cmp_lg_u32 s0, 0
	s_mov_b32 s67, 1
	s_cselect_b64 s[0:1], -1, 0
	s_cbranch_execz .LBB97_12
	s_branch .LBB97_13
.LBB97_11:                              ;   in Loop: Header=BB97_9 Depth=2
	s_mov_b64 s[0:1], 0
                                        ; implicit-def: $sgpr67
                                        ; implicit-def: $sgpr4
                                        ; implicit-def: $sgpr5
                                        ; implicit-def: $sgpr65
                                        ; implicit-def: $sgpr66
.LBB97_12:                              ;   in Loop: Header=BB97_9 Depth=2
	s_abs_i32 s0, s68
	s_mul_hi_u32 s5, s0, s76
	s_mul_i32 s1, s5, s75
	s_sub_i32 s65, s0, s1
	s_ashr_i32 s4, s68, 31
	s_sub_i32 s66, s65, s75
	s_mov_b64 s[0:1], -1
                                        ; implicit-def: $sgpr67
.LBB97_13:                              ;   in Loop: Header=BB97_9 Depth=2
	s_andn2_b64 vcc, exec, s[0:1]
	s_cbranch_vccz .LBB97_15
; %bb.14:                               ;   in Loop: Header=BB97_9 Depth=2
	s_andn2_b64 vcc, exec, s[38:39]
	s_cbranch_vccz .LBB97_16
	s_branch .LBB97_8
.LBB97_15:                              ;   in Loop: Header=BB97_9 Depth=2
	s_mov_b32 s67, 0
	s_andn2_b64 vcc, exec, s[38:39]
	s_cbranch_vccnz .LBB97_8
.LBB97_16:                              ;   in Loop: Header=BB97_9 Depth=2
	s_xor_b32 s0, s4, s13
	s_add_i32 s1, s5, 1
	s_cmp_ge_u32 s65, s75
	s_cselect_b32 s1, s1, s5
	s_cselect_b32 s2, s66, s65
	s_add_i32 s3, s1, 1
	s_cmp_ge_u32 s2, s75
	s_cselect_b32 s1, s3, s1
	s_xor_b32 s1, s1, s0
	s_sub_i32 s0, s1, s0
	s_cmp_lt_i32 s0, s10
	s_cselect_b32 s66, s67, 0
	s_ashr_i32 s1, s0, 31
	s_mul_i32 s1, s60, s1
	s_mul_hi_u32 s2, s60, s0
	s_add_i32 s1, s2, s1
	s_mul_i32 s2, s61, s0
	s_add_i32 s1, s1, s2
	s_mul_i32 s0, s60, s0
	s_add_u32 s0, s70, s0
	s_mov_b32 s65, 0
	s_addc_u32 s1, s71, s1
	v_mov_b64_e32 v[10:11], v[8:9]
	s_branch .LBB97_18
.LBB97_17:                              ;   in Loop: Header=BB97_18 Depth=3
	s_add_i32 s65, s65, 1
	s_cmp_eq_u32 s65, s31
	v_lshl_add_u64 v[10:11], v[10:11], 0, s[48:49]
	s_cbranch_scc1 .LBB97_8
.LBB97_18:                              ;   Parent Loop BB97_3 Depth=1
                                        ;     Parent Loop BB97_9 Depth=2
                                        ; =>    This Loop Header: Depth=3
                                        ;         Child Loop BB97_25 Depth 4
                                        ;           Child Loop BB97_32 Depth 5
	s_mul_i32 s2, s65, s17
	v_subrev_u32_e32 v12, s2, v24
	v_cmp_gt_i32_e64 s[2:3], 0, v12
	v_cmp_lt_i32_e32 vcc, -1, v12
	v_ashrrev_i32_e32 v14, 31, v12
	v_sub_u32_e32 v13, 0, v12
                                        ; implicit-def: $sgpr67
	s_and_saveexec_b64 s[4:5], vcc
	s_cbranch_execnz .LBB97_21
; %bb.19:                               ;   in Loop: Header=BB97_18 Depth=3
	s_or_b64 exec, exec, s[4:5]
	v_mov_b32_e32 v15, s67
	s_and_saveexec_b64 s[4:5], s[2:3]
	s_cbranch_execnz .LBB97_22
.LBB97_20:                              ;   in Loop: Header=BB97_18 Depth=3
	s_or_b64 exec, exec, s[4:5]
	s_andn2_b64 vcc, exec, s[44:45]
	s_cbranch_vccz .LBB97_23
	s_branch .LBB97_17
.LBB97_21:                              ;   in Loop: Header=BB97_18 Depth=3
	v_max_i32_e32 v15, v12, v13
	v_mul_hi_u32 v16, v15, v21
	v_mul_lo_u32 v16, v16, s84
	v_sub_u32_e32 v15, v15, v16
	v_subrev_u32_e32 v16, s84, v15
	v_cmp_le_u32_e32 vcc, s84, v15
	s_andn2_b64 s[2:3], s[2:3], exec
	s_mov_b32 s67, 1
	v_cndmask_b32_e32 v15, v15, v16, vcc
	v_subrev_u32_e32 v16, s84, v15
	v_cmp_le_u32_e32 vcc, s84, v15
	s_nop 1
	v_cndmask_b32_e32 v15, v15, v16, vcc
	v_xor_b32_e32 v15, v15, v14
	v_sub_u32_e32 v15, v15, v14
	v_cmp_ne_u32_e32 vcc, 0, v15
	s_and_b64 s[68:69], vcc, exec
	s_or_b64 s[2:3], s[2:3], s[68:69]
	s_or_b64 exec, exec, s[4:5]
	v_mov_b32_e32 v15, s67
	s_and_saveexec_b64 s[4:5], s[2:3]
	s_cbranch_execz .LBB97_20
.LBB97_22:                              ;   in Loop: Header=BB97_18 Depth=3
	v_mov_b32_e32 v15, 0
	s_or_b64 exec, exec, s[4:5]
	s_andn2_b64 vcc, exec, s[44:45]
	s_cbranch_vccnz .LBB97_17
.LBB97_23:                              ;   in Loop: Header=BB97_18 Depth=3
	v_max_i32_e32 v12, v12, v13
	v_mul_hi_u32 v13, v12, v21
	v_mul_lo_u32 v16, v13, s84
	v_sub_u32_e32 v12, v12, v16
	v_add_u32_e32 v16, 1, v13
	v_cmp_le_u32_e32 vcc, s84, v12
	v_xor_b32_e32 v14, s83, v14
	s_mov_b32 s67, 0
	v_cndmask_b32_e32 v13, v13, v16, vcc
	v_subrev_u32_e32 v16, s84, v12
	v_cndmask_b32_e32 v12, v12, v16, vcc
	v_add_u32_e32 v16, 1, v13
	v_cmp_le_u32_e32 vcc, s84, v12
	s_nop 1
	v_cndmask_b32_e32 v12, v13, v16, vcc
	v_xor_b32_e32 v12, v12, v14
	v_sub_u32_e32 v14, v12, v14
	v_cmp_gt_i32_e32 vcc, s11, v14
	v_mul_lo_u32 v16, s55, v14
	s_nop 0
	v_cndmask_b32_e32 v12, 0, v15, vcc
	v_and_b32_e32 v26, s66, v12
	v_ashrrev_i32_e32 v12, 31, v14
	v_mul_lo_u32 v15, s54, v12
	v_mov_b64_e32 v[12:13], s[0:1]
	v_mad_u64_u32 v[12:13], s[2:3], s54, v14, v[12:13]
	v_add3_u32 v13, v16, v13, v15
	v_mov_b64_e32 v[14:15], v[10:11]
	s_branch .LBB97_25
.LBB97_24:                              ;   in Loop: Header=BB97_25 Depth=4
	s_add_i32 s67, s67, 1
	s_cmp_eq_u32 s67, s74
	v_lshl_add_u64 v[14:15], v[14:15], 0, s[50:51]
	s_cbranch_scc1 .LBB97_17
.LBB97_25:                              ;   Parent Loop BB97_3 Depth=1
                                        ;     Parent Loop BB97_9 Depth=2
                                        ;       Parent Loop BB97_18 Depth=3
                                        ; =>      This Loop Header: Depth=4
                                        ;           Child Loop BB97_32 Depth 5
	s_mul_i32 s2, s67, s18
	v_subrev_u32_e32 v16, s2, v25
	v_sub_u32_e32 v18, 0, v16
	v_cmp_gt_i32_e64 s[2:3], 0, v16
	v_cmp_lt_i32_e32 vcc, -1, v16
	v_ashrrev_i32_e32 v17, 31, v16
	v_max_i32_e32 v16, v16, v18
                                        ; implicit-def: $sgpr68
	s_and_saveexec_b64 s[4:5], vcc
	s_cbranch_execnz .LBB97_28
; %bb.26:                               ;   in Loop: Header=BB97_25 Depth=4
	s_or_b64 exec, exec, s[4:5]
	v_mov_b32_e32 v18, s68
	s_and_saveexec_b64 s[4:5], s[2:3]
	s_cbranch_execnz .LBB97_29
.LBB97_27:                              ;   in Loop: Header=BB97_25 Depth=4
	s_or_b64 exec, exec, s[4:5]
	s_andn2_b64 vcc, exec, s[46:47]
	s_cbranch_vccz .LBB97_30
	s_branch .LBB97_24
.LBB97_28:                              ;   in Loop: Header=BB97_25 Depth=4
	v_mul_hi_u32 v18, v16, v22
	v_mul_lo_u32 v18, v18, s86
	v_sub_u32_e32 v18, v16, v18
	v_subrev_u32_e32 v19, s86, v18
	v_cmp_le_u32_e32 vcc, s86, v18
	s_andn2_b64 s[2:3], s[2:3], exec
	s_mov_b32 s68, 1
	v_cndmask_b32_e32 v18, v18, v19, vcc
	v_subrev_u32_e32 v19, s86, v18
	v_cmp_le_u32_e32 vcc, s86, v18
	s_nop 1
	v_cndmask_b32_e32 v18, v18, v19, vcc
	v_xor_b32_e32 v18, v18, v17
	v_sub_u32_e32 v18, v18, v17
	v_cmp_ne_u32_e32 vcc, 0, v18
	s_and_b64 s[88:89], vcc, exec
	s_or_b64 s[2:3], s[2:3], s[88:89]
	s_or_b64 exec, exec, s[4:5]
	v_mov_b32_e32 v18, s68
	s_and_saveexec_b64 s[4:5], s[2:3]
	s_cbranch_execz .LBB97_27
.LBB97_29:                              ;   in Loop: Header=BB97_25 Depth=4
	v_mov_b32_e32 v18, 0
	s_or_b64 exec, exec, s[4:5]
	s_andn2_b64 vcc, exec, s[46:47]
	s_cbranch_vccnz .LBB97_24
.LBB97_30:                              ;   in Loop: Header=BB97_25 Depth=4
	v_mul_hi_u32 v19, v16, v22
	v_mul_lo_u32 v27, v19, s86
	v_sub_u32_e32 v16, v16, v27
	v_add_u32_e32 v27, 1, v19
	v_cmp_le_u32_e32 vcc, s86, v16
	v_xor_b32_e32 v17, s85, v17
	s_mov_b32 s4, s8
	v_cndmask_b32_e32 v19, v19, v27, vcc
	v_subrev_u32_e32 v27, s86, v16
	v_cndmask_b32_e32 v16, v16, v27, vcc
	v_add_u32_e32 v27, 1, v19
	v_cmp_le_u32_e32 vcc, s86, v16
	s_nop 1
	v_cndmask_b32_e32 v16, v19, v27, vcc
	v_xor_b32_e32 v16, v16, v17
	v_sub_u32_e32 v16, v16, v17
	v_cmp_gt_i32_e32 vcc, s12, v16
	v_mul_lo_u32 v19, s57, v16
	s_nop 0
	v_cndmask_b32_e32 v17, 0, v18, vcc
	v_and_b32_e32 v17, v26, v17
	v_cmp_ne_u32_e32 vcc, 0, v17
	v_ashrrev_i32_e32 v17, 31, v16
	v_mul_lo_u32 v18, s56, v17
	v_mad_u64_u32 v[16:17], s[2:3], s56, v16, v[12:13]
	v_add3_u32 v17, v19, v17, v18
	v_mov_b64_e32 v[18:19], v[14:15]
	s_branch .LBB97_32
.LBB97_31:                              ;   in Loop: Header=BB97_32 Depth=5
	s_or_b64 exec, exec, s[2:3]
	s_add_i32 s4, s4, -1
	v_lshl_add_u64 v[18:19], v[18:19], 0, s[52:53]
	s_cmp_eq_u32 s4, 0
	v_lshl_add_u64 v[16:17], v[16:17], 0, s[58:59]
	s_cbranch_scc1 .LBB97_24
.LBB97_32:                              ;   Parent Loop BB97_3 Depth=1
                                        ;     Parent Loop BB97_9 Depth=2
                                        ;       Parent Loop BB97_18 Depth=3
                                        ;         Parent Loop BB97_25 Depth=4
                                        ; =>        This Inner Loop Header: Depth=5
	s_and_saveexec_b64 s[2:3], vcc
	s_cbranch_execz .LBB97_31
; %bb.33:                               ;   in Loop: Header=BB97_32 Depth=5
	global_load_ushort v27, v[16:17], off
	global_load_ushort v28, v[18:19], off
	s_waitcnt vmcnt(1)
	v_cvt_f32_f16_e32 v27, v27
	s_waitcnt vmcnt(0)
	v_cvt_f32_f16_e32 v30, v28
	v_cvt_f64_f32_e32 v[28:29], v27
	v_cvt_f64_f32_e32 v[30:31], v30
	v_fmac_f64_e32 v[6:7], v[28:29], v[30:31]
	s_branch .LBB97_31
.LBB97_34:                              ;   in Loop: Header=BB97_3 Depth=1
	v_ashrrev_i32_e32 v8, 31, v4
	v_mul_lo_u32 v11, s41, v4
	v_mul_lo_u32 v12, s40, v8
	v_mad_u64_u32 v[8:9], s[0:1], s40, v4, 0
	v_ashrrev_i32_e32 v10, 31, v23
	v_add3_u32 v9, v9, v12, v11
	v_mad_u64_u32 v[8:9], s[0:1], s42, v23, v[8:9]
	v_mul_lo_u32 v4, s43, v23
	v_mul_lo_u32 v10, s42, v10
	v_add3_u32 v9, v4, v9, v10
	v_mad_u64_u32 v[8:9], s[0:1], v2, s36, v[8:9]
	v_mul_lo_u32 v2, v2, s37
	v_mul_lo_u32 v4, v5, s36
	v_add3_u32 v9, v4, v9, v2
	s_mov_b64 s[0:1], -1
	s_and_b64 vcc, exec, s[72:73]
	s_cbranch_vccz .LBB97_36
; %bb.35:                               ;   in Loop: Header=BB97_3 Depth=1
	v_lshl_add_u64 v[4:5], v[8:9], 1, s[20:21]
	global_load_ushort v2, v[4:5], off
	s_mov_b64 s[0:1], 0
	s_waitcnt vmcnt(0)
	v_cvt_f32_f16_e32 v2, v2
	v_cvt_f64_f32_e32 v[10:11], v2
	v_mul_f64 v[10:11], v[10:11], s[26:27]
	v_fmac_f64_e32 v[10:11], s[24:25], v[6:7]
	v_cvt_f32_f64_e32 v2, v[10:11]
	v_cvt_f16_f32_e32 v2, v2
	global_store_short v[4:5], v2, off
.LBB97_36:                              ;   in Loop: Header=BB97_3 Depth=1
	s_andn2_b64 vcc, exec, s[0:1]
	s_cbranch_vccnz .LBB97_2
; %bb.37:                               ;   in Loop: Header=BB97_3 Depth=1
	v_cvt_f32_f64_e32 v2, v[6:7]
	v_cvt_f16_f32_e32 v2, v2
	v_lshl_add_u64 v[4:5], v[8:9], 1, s[20:21]
	global_store_short v[4:5], v2, off
	s_branch .LBB97_2
.LBB97_38:
	s_endpgm
	.section	.rodata,"a",@progbits
	.p2align	6, 0x0
	.amdhsa_kernel naive_conv_ab_nonpacked_bwd_ndhwc_half_double_half_0
		.amdhsa_group_segment_fixed_size 0
		.amdhsa_private_segment_fixed_size 0
		.amdhsa_kernarg_size 528
		.amdhsa_user_sgpr_count 2
		.amdhsa_user_sgpr_dispatch_ptr 0
		.amdhsa_user_sgpr_queue_ptr 0
		.amdhsa_user_sgpr_kernarg_segment_ptr 1
		.amdhsa_user_sgpr_dispatch_id 0
		.amdhsa_user_sgpr_kernarg_preload_length 0
		.amdhsa_user_sgpr_kernarg_preload_offset 0
		.amdhsa_user_sgpr_private_segment_size 0
		.amdhsa_uses_dynamic_stack 0
		.amdhsa_enable_private_segment 0
		.amdhsa_system_sgpr_workgroup_id_x 1
		.amdhsa_system_sgpr_workgroup_id_y 0
		.amdhsa_system_sgpr_workgroup_id_z 0
		.amdhsa_system_sgpr_workgroup_info 0
		.amdhsa_system_vgpr_workitem_id 0
		.amdhsa_next_free_vgpr 32
		.amdhsa_next_free_sgpr 96
		.amdhsa_accum_offset 32
		.amdhsa_reserve_vcc 1
		.amdhsa_float_round_mode_32 0
		.amdhsa_float_round_mode_16_64 0
		.amdhsa_float_denorm_mode_32 3
		.amdhsa_float_denorm_mode_16_64 3
		.amdhsa_dx10_clamp 1
		.amdhsa_ieee_mode 1
		.amdhsa_fp16_overflow 0
		.amdhsa_tg_split 0
		.amdhsa_exception_fp_ieee_invalid_op 0
		.amdhsa_exception_fp_denorm_src 0
		.amdhsa_exception_fp_ieee_div_zero 0
		.amdhsa_exception_fp_ieee_overflow 0
		.amdhsa_exception_fp_ieee_underflow 0
		.amdhsa_exception_fp_ieee_inexact 0
		.amdhsa_exception_int_div_zero 0
	.end_amdhsa_kernel
	.text
.Lfunc_end97:
	.size	naive_conv_ab_nonpacked_bwd_ndhwc_half_double_half_0, .Lfunc_end97-naive_conv_ab_nonpacked_bwd_ndhwc_half_double_half_0
                                        ; -- End function
	.section	.AMDGPU.csdata,"",@progbits
; Kernel info:
; codeLenInByte = 2700
; NumSgprs: 102
; NumVgprs: 32
; NumAgprs: 0
; TotalNumVgprs: 32
; ScratchSize: 0
; MemoryBound: 0
; FloatMode: 240
; IeeeMode: 1
; LDSByteSize: 0 bytes/workgroup (compile time only)
; SGPRBlocks: 12
; VGPRBlocks: 3
; NumSGPRsForWavesPerEU: 102
; NumVGPRsForWavesPerEU: 32
; AccumOffset: 32
; Occupancy: 7
; WaveLimiterHint : 1
; COMPUTE_PGM_RSRC2:SCRATCH_EN: 0
; COMPUTE_PGM_RSRC2:USER_SGPR: 2
; COMPUTE_PGM_RSRC2:TRAP_HANDLER: 0
; COMPUTE_PGM_RSRC2:TGID_X_EN: 1
; COMPUTE_PGM_RSRC2:TGID_Y_EN: 0
; COMPUTE_PGM_RSRC2:TGID_Z_EN: 0
; COMPUTE_PGM_RSRC2:TIDIG_COMP_CNT: 0
; COMPUTE_PGM_RSRC3_GFX90A:ACCUM_OFFSET: 7
; COMPUTE_PGM_RSRC3_GFX90A:TG_SPLIT: 0
	.text
	.protected	naive_conv_ab_packed_bwd_ndhwc_ushort_double_ushort_0 ; -- Begin function naive_conv_ab_packed_bwd_ndhwc_ushort_double_ushort_0
	.globl	naive_conv_ab_packed_bwd_ndhwc_ushort_double_ushort_0
	.p2align	8
	.type	naive_conv_ab_packed_bwd_ndhwc_ushort_double_ushort_0,@function
naive_conv_ab_packed_bwd_ndhwc_ushort_double_ushort_0: ; @naive_conv_ab_packed_bwd_ndhwc_ushort_double_ushort_0
; %bb.0:
	s_load_dwordx16 s[4:19], s[0:1], 0xb8
	s_abs_i32 s36, s2
	s_waitcnt lgkmcnt(0)
	s_abs_i32 s3, s4
	v_cvt_f32_u32_e32 v1, s3
	s_sub_i32 s20, 0, s3
	s_mul_i32 s28, s7, s4
	v_rcp_iflag_f32_e32 v1, v1
	s_nop 0
	v_mul_f32_e32 v1, 0x4f7ffffe, v1
	v_cvt_u32_f32_e32 v1, v1
	s_nop 0
	v_readfirstlane_b32 s21, v1
	s_mul_i32 s20, s20, s21
	s_mul_hi_u32 s20, s21, s20
	s_add_i32 s21, s21, s20
	s_mul_hi_u32 s20, s36, s21
	s_mul_i32 s21, s20, s3
	s_sub_i32 s21, s36, s21
	s_add_i32 s22, s20, 1
	s_sub_i32 s23, s21, s3
	s_cmp_ge_u32 s21, s3
	s_cselect_b32 s20, s22, s20
	s_cselect_b32 s21, s23, s21
	s_add_i32 s22, s20, 1
	s_cmp_ge_u32 s21, s3
	s_cselect_b32 s29, s22, s20
	s_abs_i32 s38, s7
	s_abs_i32 s37, s28
	v_cvt_f32_u32_e32 v1, s38
	v_cvt_f32_u32_e32 v2, s37
	s_mul_i32 s3, s9, s6
	s_mul_i32 s7, s3, s5
	v_rcp_iflag_f32_e32 v1, v1
	v_rcp_iflag_f32_e32 v2, v2
	v_cmp_gt_i32_e32 vcc, s7, v0
	v_mul_f32_e32 v1, 0x4f7ffffe, v1
	v_mul_f32_e32 v2, 0x4f7ffffe, v2
	v_cvt_u32_f32_e32 v1, v1
	v_cvt_u32_f32_e32 v2, v2
	v_readfirstlane_b32 s31, v1
	v_readfirstlane_b32 s30, v2
	s_and_saveexec_b64 s[20:21], vcc
	s_cbranch_execz .LBB98_38
; %bb.1:
	s_ashr_i32 s39, s2, 31
	s_ashr_i32 s33, s4, 31
	s_xor_b32 s33, s39, s33
	s_xor_b32 s29, s29, s33
	s_sub_i32 s40, s29, s33
	s_sub_i32 s29, 0, s38
	s_mul_i32 s29, s29, s31
	s_mul_hi_u32 s29, s31, s29
	s_ashr_i32 s44, s28, 31
	s_sub_i32 s28, 0, s37
	s_abs_i32 s42, s40
	s_add_i32 s31, s31, s29
	s_mul_i32 s28, s28, s30
	s_mul_hi_u32 s43, s42, s31
	s_mul_hi_u32 s28, s30, s28
	s_add_i32 s30, s30, s28
	s_mul_i32 s43, s43, s38
	s_load_dwordx8 s[20:27], s[0:1], 0x0
	s_ashr_i32 s41, s40, 31
	s_load_dwordx2 s[34:35], s[0:1], 0x108
	s_mul_hi_u32 s45, s36, s30
	s_load_dwordx2 s[48:49], s[0:1], 0x20
	s_load_dwordx4 s[28:31], s[0:1], 0xf8
	s_load_dword s50, s[0:1], 0x11c
	s_mul_i32 s40, s40, s4
	s_sub_i32 s0, s42, s43
	s_sub_i32 s2, s2, s40
	;; [unrolled: 1-line block ×3, first 2 shown]
	s_cmp_ge_u32 s0, s38
	s_cselect_b32 s0, s1, s0
	s_sub_i32 s1, s0, s38
	s_cmp_ge_u32 s0, s38
	s_cselect_b32 s0, s1, s0
	s_mul_i32 s1, s45, s37
	s_xor_b32 s0, s0, s41
	s_sub_i32 s1, s36, s1
	s_sub_i32 s51, s0, s41
	s_xor_b32 s0, s39, s44
	s_add_i32 s36, s45, 1
	s_sub_i32 s38, s1, s37
	s_cmp_ge_u32 s1, s37
	s_cselect_b32 s36, s36, s45
	s_cselect_b32 s1, s38, s1
	s_add_i32 s38, s36, 1
	s_cmp_ge_u32 s1, s37
	s_cselect_b32 s1, s38, s36
	s_waitcnt lgkmcnt(0)
	s_mul_i32 s33, s35, s8
	s_mul_i32 s35, s35, s9
	s_xor_b32 s1, s1, s0
	s_sub_i32 s36, s1, s0
	s_ashr_i32 s52, s51, 31
	s_mul_hi_i32 s0, s51, s4
	s_mul_i32 s1, s51, s4
	s_ashr_i32 s62, s35, 31
	s_ashr_i32 s4, s2, 31
	s_add_u32 s37, s1, s2
	s_addc_u32 s0, s0, s4
	s_mul_i32 s4, s6, s5
	s_mul_hi_i32 s1, s6, s5
	s_mul_hi_u32 s5, s4, s35
	s_mul_i32 s38, s4, s62
	s_add_i32 s5, s5, s38
	s_mul_i32 s1, s1, s35
	s_mul_i32 s4, s4, s35
	s_add_i32 s1, s5, s1
	s_mul_i32 s0, s4, s0
	s_mul_hi_u32 s5, s4, s37
	s_add_i32 s0, s5, s0
	s_mul_i32 s1, s1, s37
	s_add_i32 s1, s0, s1
	s_mul_i32 s0, s4, s37
	s_ashr_i32 s37, s9, 31
	s_lshl_b64 s[0:1], s[0:1], 1
	s_mul_hi_i32 s5, s36, s9
	s_mul_i32 s4, s36, s9
	s_add_u32 s20, s20, s0
	s_addc_u32 s21, s21, s1
	s_lshl_b64 s[0:1], s[4:5], 1
	s_add_u32 s20, s20, s0
	s_addc_u32 s21, s21, s1
	s_ashr_i32 s53, s30, 31
	s_ashr_i32 s54, s10, 31
	;; [unrolled: 1-line block ×4, first 2 shown]
	s_cmp_lt_i32 s30, 1
	s_cselect_b64 s[38:39], -1, 0
	s_add_i32 s19, s2, s19
	s_cmp_gt_i32 s31, 0
	s_cselect_b64 s[40:41], -1, 0
	s_cmp_gt_i32 s34, 0
	s_cselect_b64 s[42:43], -1, 0
	;; [unrolled: 2-line block ×3, first 2 shown]
	s_abs_i32 s66, s13
	v_cvt_f32_u32_e32 v1, s66
	v_cmp_neq_f64_e64 s[0:1], s[24:25], 1.0
	v_cmp_neq_f64_e64 s[4:5], s[26:27], 0
	s_abs_i32 s67, s9
	v_rcp_iflag_f32_e32 v1, v1
	s_or_b64 s[46:47], s[0:1], s[4:5]
	s_sub_i32 s0, 0, s66
	s_abs_i32 s68, s6
	v_mul_f32_e32 v1, 0x4f7ffffe, v1
	v_cvt_u32_f32_e32 v1, v1
	s_abs_i32 s70, s3
	s_abs_i32 s74, s14
	;; [unrolled: 1-line block ×3, first 2 shown]
	v_readfirstlane_b32 s1, v1
	v_cvt_f32_u32_e32 v1, s67
	s_mul_i32 s0, s0, s1
	s_mul_hi_u32 s0, s1, s0
	s_add_i32 s72, s1, s0
	v_rcp_iflag_f32_e32 v1, v1
	s_mul_hi_i32 s1, s8, s36
	s_mul_i32 s0, s8, s36
	s_and_b32 s65, s50, 0xffff
	s_sub_i32 s50, 0, s67
	s_sub_i32 s55, 0, s68
	s_ashr_i32 s69, s3, 31
	s_sub_i32 s58, 0, s70
	s_ashr_i32 s71, s13, 31
	s_ashr_i32 s73, s14, 31
	s_sub_i32 s13, 0, s74
	s_ashr_i32 s75, s15, 31
	s_sub_i32 s59, 0, s76
	s_lshl_b64 s[2:3], s[0:1], 1
	s_add_u32 s14, s48, s2
	s_mul_i32 s2, s12, s11
	v_cvt_f32_u32_e32 v3, s68
	s_addc_u32 s15, s49, s3
	s_mul_i32 s3, s2, s54
	s_mul_hi_u32 s4, s2, s10
	v_mul_f32_e32 v1, 0x4f7ffffe, v1
	v_cvt_f32_u32_e32 v4, s70
	s_add_i32 s3, s4, s3
	s_mul_hi_i32 s4, s12, s11
	v_cvt_u32_f32_e32 v1, v1
	v_cvt_f32_u32_e32 v5, s74
	s_mul_i32 s4, s4, s10
	s_mul_i32 s2, s2, s10
	s_add_i32 s3, s3, s4
	s_mul_i32 s4, s2, s52
	s_mul_hi_u32 s5, s2, s51
	v_rcp_iflag_f32_e32 v3, v3
	v_cvt_f32_u32_e32 v9, s76
	s_add_i32 s4, s5, s4
	s_mul_i32 s3, s3, s51
	v_rcp_iflag_f32_e32 v4, v4
	s_add_i32 s3, s4, s3
	s_mul_i32 s4, s34, s31
	v_mul_lo_u32 v2, s50, v1
	v_rcp_iflag_f32_e32 v5, v5
	s_mul_i32 s5, s4, s37
	s_mul_hi_u32 s36, s4, s9
	v_mul_hi_u32 v2, v1, v2
	s_add_i32 s5, s36, s5
	s_mul_hi_i32 s36, s34, s31
	v_mul_f32_e32 v3, 0x4f7ffffe, v3
	v_add_u32_e32 v1, v1, v2
	v_rcp_iflag_f32_e32 v2, v9
	s_mul_i32 s36, s36, s9
	s_mul_i32 s4, s4, s9
	v_cvt_u32_f32_e32 v3, v3
	v_mul_f32_e32 v4, 0x4f7ffffe, v4
	s_add_i32 s5, s5, s36
	s_mul_i32 s36, s4, s53
	s_mul_hi_u32 s48, s4, s30
	v_cvt_u32_f32_e32 v4, v4
	v_mul_f32_e32 v5, 0x4f7ffffe, v5
	s_add_i32 s36, s48, s36
	s_mul_i32 s48, s5, s30
	v_cvt_u32_f32_e32 v5, v5
	s_add_i32 s57, s36, s48
	s_mul_i32 s56, s4, s30
	v_mul_f32_e32 v2, 0x4f7ffffe, v2
	s_mul_i32 s36, s0, s57
	s_mul_hi_u32 s48, s0, s56
	v_mul_lo_u32 v6, s55, v3
	v_cvt_u32_f32_e32 v2, v2
	s_add_i32 s36, s48, s36
	s_mul_i32 s1, s1, s56
	v_mul_lo_u32 v7, s58, v4
	v_mul_hi_u32 v6, v3, v6
	s_mul_i32 s2, s2, s51
	s_add_i32 s1, s36, s1
	s_mul_i32 s0, s0, s56
	v_mul_lo_u32 v8, s13, v5
	v_add_u32_e32 v20, v3, v6
	v_mul_hi_u32 v3, v4, v7
	s_lshl_b64 s[48:49], s[2:3], 1
	s_lshl_b64 s[0:1], s[0:1], 1
	v_add_u32_e32 v21, v4, v3
	v_mul_hi_u32 v3, v5, v8
	s_add_u32 s22, s22, s0
	v_add_u32_e32 v22, v5, v3
	v_mul_lo_u32 v3, s59, v2
	s_addc_u32 s23, s23, s1
	s_mov_b32 s36, s9
	v_mul_hi_u32 v3, v2, v3
	s_mul_hi_i32 s1, s34, s9
	s_mul_i32 s0, s34, s9
	s_mov_b32 s77, s12
	s_mov_b64 s[12:13], 0
	v_add_u32_e32 v23, v2, v3
	s_lshl_b64 s[50:51], s[4:5], 1
	s_lshl_b64 s[52:53], s[0:1], 1
	s_lshl_b64 s[54:55], s[36:37], 1
	s_lshl_b64 s[56:57], s[56:57], 1
	s_mov_b32 s9, 0x7f800000
	v_mov_b32_e32 v24, 0
	s_branch .LBB98_3
.LBB98_2:                               ;   in Loop: Header=BB98_3 Depth=1
	v_add_u32_e32 v0, s65, v0
	v_cmp_le_i32_e32 vcc, s7, v0
	s_or_b64 s[12:13], vcc, s[12:13]
	s_andn2_b64 exec, exec, s[12:13]
	s_cbranch_execz .LBB98_38
.LBB98_3:                               ; =>This Loop Header: Depth=1
                                        ;     Child Loop BB98_9 Depth 2
                                        ;       Child Loop BB98_18 Depth 3
                                        ;         Child Loop BB98_25 Depth 4
                                        ;           Child Loop BB98_32 Depth 5
	v_sub_u32_e32 v3, 0, v0
	v_max_i32_e32 v3, v0, v3
	v_mul_hi_u32 v5, v3, v1
	v_mul_lo_u32 v6, v5, s67
	v_sub_u32_e32 v6, v3, v6
	v_add_u32_e32 v7, 1, v5
	v_cmp_le_u32_e32 vcc, s67, v6
	v_ashrrev_i32_e32 v4, 31, v0
	v_xor_b32_e32 v2, s37, v4
	v_cndmask_b32_e32 v5, v5, v7, vcc
	v_subrev_u32_e32 v7, s67, v6
	v_cndmask_b32_e32 v6, v6, v7, vcc
	v_add_u32_e32 v7, 1, v5
	v_cmp_le_u32_e32 vcc, s67, v6
	s_nop 1
	v_cndmask_b32_e32 v5, v5, v7, vcc
	v_xor_b32_e32 v5, v5, v2
	v_sub_u32_e32 v5, v5, v2
	v_sub_u32_e32 v6, 0, v5
	v_max_i32_e32 v6, v5, v6
	v_mul_hi_u32 v7, v6, v20
	v_mul_lo_u32 v7, v7, s68
	v_sub_u32_e32 v6, v6, v7
	v_subrev_u32_e32 v7, s68, v6
	v_cmp_le_u32_e32 vcc, s68, v6
	v_mul_lo_u32 v2, v5, s36
	v_sub_u32_e32 v2, v0, v2
	v_cndmask_b32_e32 v6, v6, v7, vcc
	v_mul_hi_u32 v7, v3, v21
	v_mul_lo_u32 v8, v7, s70
	v_sub_u32_e32 v3, v3, v8
	v_subrev_u32_e32 v8, s70, v3
	v_cmp_le_u32_e64 s[2:3], s70, v3
	v_cmp_le_u32_e64 s[0:1], s68, v6
	s_andn2_b64 vcc, exec, s[38:39]
	v_cndmask_b32_e64 v3, v3, v8, s[2:3]
	v_cmp_le_u32_e64 s[4:5], s70, v3
	s_cbranch_vccnz .LBB98_5
; %bb.4:                                ;   in Loop: Header=BB98_3 Depth=1
	v_ashrrev_i32_e32 v3, 31, v2
	s_mov_b64 s[58:59], 0
	s_mov_b64 s[60:61], 0
	s_branch .LBB98_6
.LBB98_5:                               ;   in Loop: Header=BB98_3 Depth=1
	s_mov_b64 s[58:59], -1
                                        ; implicit-def: $sgpr60_sgpr61
.LBB98_6:                               ;   in Loop: Header=BB98_3 Depth=1
	v_subrev_u32_e32 v8, s68, v6
	v_ashrrev_i32_e32 v5, 31, v5
	v_cndmask_b32_e64 v6, v6, v8, s[0:1]
	v_xor_b32_e32 v6, v6, v5
	v_sub_u32_e32 v6, v6, v5
	v_add_u32_e32 v5, 1, v7
	v_cndmask_b32_e64 v5, v7, v5, s[2:3]
	v_add_u32_e32 v7, 1, v5
	v_xor_b32_e32 v4, s69, v4
	v_cndmask_b32_e64 v5, v5, v7, s[4:5]
	v_xor_b32_e32 v5, v5, v4
	v_sub_u32_e32 v25, v5, v4
	s_andn2_b64 vcc, exec, s[58:59]
	v_mov_b64_e32 v[4:5], s[60:61]
	s_cbranch_vccnz .LBB98_34
; %bb.7:                                ;   in Loop: Header=BB98_3 Depth=1
	v_ashrrev_i32_e32 v3, 31, v2
	v_add_u32_e32 v7, s28, v25
	v_add_u32_e32 v26, s29, v6
	v_lshl_add_u64 v[8:9], v[2:3], 1, s[22:23]
	s_mov_b32 s58, 0
	v_mov_b64_e32 v[4:5], 0
	s_branch .LBB98_9
.LBB98_8:                               ;   in Loop: Header=BB98_9 Depth=2
	s_add_i32 s58, s58, 1
	s_cmp_eq_u32 s58, s30
	v_lshl_add_u64 v[8:9], v[8:9], 0, s[50:51]
	s_cbranch_scc1 .LBB98_34
.LBB98_9:                               ;   Parent Loop BB98_3 Depth=1
                                        ; =>  This Loop Header: Depth=2
                                        ;       Child Loop BB98_18 Depth 3
                                        ;         Child Loop BB98_25 Depth 4
                                        ;           Child Loop BB98_32 Depth 5
	s_mul_i32 s0, s58, s16
	s_sub_i32 s78, s19, s0
	s_cmp_gt_i32 s78, -1
	s_cbranch_scc0 .LBB98_11
; %bb.10:                               ;   in Loop: Header=BB98_9 Depth=2
	s_abs_i32 s0, s78
	s_mul_hi_u32 s5, s0, s72
	s_mul_i32 s1, s5, s66
	s_sub_i32 s59, s0, s1
	s_ashr_i32 s4, s78, 31
	s_sub_i32 s60, s59, s66
	s_cmp_ge_u32 s59, s66
	s_cselect_b32 s0, s60, s59
	s_sub_i32 s1, s0, s66
	s_cmp_ge_u32 s0, s66
	s_cselect_b32 s0, s1, s0
	s_xor_b32 s0, s0, s4
	s_sub_i32 s0, s0, s4
	s_cmp_lg_u32 s0, 0
	s_mov_b32 s61, 1
	s_cselect_b64 s[0:1], -1, 0
	s_cbranch_execz .LBB98_12
	s_branch .LBB98_13
.LBB98_11:                              ;   in Loop: Header=BB98_9 Depth=2
	s_mov_b64 s[0:1], 0
                                        ; implicit-def: $sgpr61
                                        ; implicit-def: $sgpr4
                                        ; implicit-def: $sgpr5
                                        ; implicit-def: $sgpr59
                                        ; implicit-def: $sgpr60
.LBB98_12:                              ;   in Loop: Header=BB98_9 Depth=2
	s_abs_i32 s0, s78
	s_mul_hi_u32 s5, s0, s72
	s_mul_i32 s1, s5, s66
	s_sub_i32 s59, s0, s1
	s_ashr_i32 s4, s78, 31
	s_sub_i32 s60, s59, s66
	s_mov_b64 s[0:1], -1
                                        ; implicit-def: $sgpr61
.LBB98_13:                              ;   in Loop: Header=BB98_9 Depth=2
	s_andn2_b64 vcc, exec, s[0:1]
	s_cbranch_vccz .LBB98_15
; %bb.14:                               ;   in Loop: Header=BB98_9 Depth=2
	s_andn2_b64 vcc, exec, s[40:41]
	s_cbranch_vccz .LBB98_16
	s_branch .LBB98_8
.LBB98_15:                              ;   in Loop: Header=BB98_9 Depth=2
	s_mov_b32 s61, 0
	s_andn2_b64 vcc, exec, s[40:41]
	s_cbranch_vccnz .LBB98_8
.LBB98_16:                              ;   in Loop: Header=BB98_9 Depth=2
	s_xor_b32 s0, s4, s71
	s_add_i32 s1, s5, 1
	s_cmp_ge_u32 s59, s66
	s_cselect_b32 s1, s1, s5
	s_cselect_b32 s2, s60, s59
	s_add_i32 s3, s1, 1
	s_cmp_ge_u32 s2, s66
	s_cselect_b32 s1, s3, s1
	s_xor_b32 s1, s1, s0
	s_sub_i32 s0, s1, s0
	s_cmp_lt_i32 s0, s10
	s_mov_b32 s59, 0
	s_cselect_b32 s60, s61, 0
	s_mul_hi_i32 s1, s0, s11
	s_mul_i32 s0, s0, s11
	v_mov_b64_e32 v[10:11], v[8:9]
	s_branch .LBB98_18
.LBB98_17:                              ;   in Loop: Header=BB98_18 Depth=3
	s_add_i32 s59, s59, 1
	s_cmp_eq_u32 s59, s31
	v_lshl_add_u64 v[10:11], v[10:11], 0, s[52:53]
	s_cbranch_scc1 .LBB98_8
.LBB98_18:                              ;   Parent Loop BB98_3 Depth=1
                                        ;     Parent Loop BB98_9 Depth=2
                                        ; =>    This Loop Header: Depth=3
                                        ;         Child Loop BB98_25 Depth 4
                                        ;           Child Loop BB98_32 Depth 5
	s_mul_i32 s2, s59, s17
	v_subrev_u32_e32 v12, s2, v7
	v_cmp_gt_i32_e64 s[2:3], 0, v12
	v_cmp_lt_i32_e32 vcc, -1, v12
	v_ashrrev_i32_e32 v14, 31, v12
	v_sub_u32_e32 v13, 0, v12
                                        ; implicit-def: $sgpr61
	s_and_saveexec_b64 s[4:5], vcc
	s_cbranch_execnz .LBB98_21
; %bb.19:                               ;   in Loop: Header=BB98_18 Depth=3
	s_or_b64 exec, exec, s[4:5]
	v_mov_b32_e32 v15, s61
	s_and_saveexec_b64 s[4:5], s[2:3]
	s_cbranch_execnz .LBB98_22
.LBB98_20:                              ;   in Loop: Header=BB98_18 Depth=3
	s_or_b64 exec, exec, s[4:5]
	s_andn2_b64 vcc, exec, s[42:43]
	s_cbranch_vccz .LBB98_23
	s_branch .LBB98_17
.LBB98_21:                              ;   in Loop: Header=BB98_18 Depth=3
	v_max_i32_e32 v15, v12, v13
	v_mul_hi_u32 v16, v15, v22
	v_mul_lo_u32 v16, v16, s74
	v_sub_u32_e32 v15, v15, v16
	v_subrev_u32_e32 v16, s74, v15
	v_cmp_le_u32_e32 vcc, s74, v15
	s_andn2_b64 s[2:3], s[2:3], exec
	s_mov_b32 s61, 1
	v_cndmask_b32_e32 v15, v15, v16, vcc
	v_subrev_u32_e32 v16, s74, v15
	v_cmp_le_u32_e32 vcc, s74, v15
	s_nop 1
	v_cndmask_b32_e32 v15, v15, v16, vcc
	v_xor_b32_e32 v15, v15, v14
	v_sub_u32_e32 v15, v15, v14
	v_cmp_ne_u32_e32 vcc, 0, v15
	s_and_b64 s[78:79], vcc, exec
	s_or_b64 s[2:3], s[2:3], s[78:79]
	s_or_b64 exec, exec, s[4:5]
	v_mov_b32_e32 v15, s61
	s_and_saveexec_b64 s[4:5], s[2:3]
	s_cbranch_execz .LBB98_20
.LBB98_22:                              ;   in Loop: Header=BB98_18 Depth=3
	v_mov_b32_e32 v15, 0
	s_or_b64 exec, exec, s[4:5]
	s_andn2_b64 vcc, exec, s[42:43]
	s_cbranch_vccnz .LBB98_17
.LBB98_23:                              ;   in Loop: Header=BB98_18 Depth=3
	v_max_i32_e32 v12, v12, v13
	v_mul_hi_u32 v13, v12, v22
	v_mul_lo_u32 v16, v13, s74
	v_sub_u32_e32 v12, v12, v16
	v_add_u32_e32 v16, 1, v13
	v_cmp_le_u32_e32 vcc, s74, v12
	v_xor_b32_e32 v14, s73, v14
	s_mov_b32 s61, 0
	v_cndmask_b32_e32 v13, v13, v16, vcc
	v_subrev_u32_e32 v16, s74, v12
	v_cndmask_b32_e32 v12, v12, v16, vcc
	v_add_u32_e32 v16, 1, v13
	v_cmp_le_u32_e32 vcc, s74, v12
	s_nop 1
	v_cndmask_b32_e32 v12, v13, v16, vcc
	v_xor_b32_e32 v12, v12, v14
	v_sub_u32_e32 v12, v12, v14
	v_cmp_gt_i32_e32 vcc, s11, v12
	s_nop 1
	v_cndmask_b32_e32 v13, 0, v15, vcc
	v_and_b32_e32 v27, s60, v13
	v_ashrrev_i32_e32 v13, 31, v12
	v_lshl_add_u64 v[12:13], s[0:1], 0, v[12:13]
	v_mul_lo_u32 v14, v13, s77
	v_mul_lo_u32 v15, v12, s63
	v_mad_u64_u32 v[12:13], s[2:3], v12, s77, 0
	v_add3_u32 v13, v13, v15, v14
	v_mov_b64_e32 v[14:15], v[10:11]
	s_branch .LBB98_25
.LBB98_24:                              ;   in Loop: Header=BB98_25 Depth=4
	s_add_i32 s61, s61, 1
	s_cmp_eq_u32 s61, s34
	v_lshl_add_u64 v[14:15], v[14:15], 0, s[54:55]
	s_cbranch_scc1 .LBB98_17
.LBB98_25:                              ;   Parent Loop BB98_3 Depth=1
                                        ;     Parent Loop BB98_9 Depth=2
                                        ;       Parent Loop BB98_18 Depth=3
                                        ; =>      This Loop Header: Depth=4
                                        ;           Child Loop BB98_32 Depth 5
	s_mul_i32 s2, s61, s18
	v_subrev_u32_e32 v16, s2, v26
	v_sub_u32_e32 v18, 0, v16
	v_cmp_gt_i32_e64 s[2:3], 0, v16
	v_cmp_lt_i32_e32 vcc, -1, v16
	v_ashrrev_i32_e32 v17, 31, v16
	v_max_i32_e32 v16, v16, v18
                                        ; implicit-def: $sgpr78
	s_and_saveexec_b64 s[4:5], vcc
	s_cbranch_execnz .LBB98_28
; %bb.26:                               ;   in Loop: Header=BB98_25 Depth=4
	s_or_b64 exec, exec, s[4:5]
	v_mov_b32_e32 v18, s78
	s_and_saveexec_b64 s[4:5], s[2:3]
	s_cbranch_execnz .LBB98_29
.LBB98_27:                              ;   in Loop: Header=BB98_25 Depth=4
	s_or_b64 exec, exec, s[4:5]
	s_andn2_b64 vcc, exec, s[44:45]
	s_cbranch_vccz .LBB98_30
	s_branch .LBB98_24
.LBB98_28:                              ;   in Loop: Header=BB98_25 Depth=4
	v_mul_hi_u32 v18, v16, v23
	v_mul_lo_u32 v18, v18, s76
	v_sub_u32_e32 v18, v16, v18
	v_subrev_u32_e32 v19, s76, v18
	v_cmp_le_u32_e32 vcc, s76, v18
	s_andn2_b64 s[2:3], s[2:3], exec
	s_mov_b32 s78, 1
	v_cndmask_b32_e32 v18, v18, v19, vcc
	v_subrev_u32_e32 v19, s76, v18
	v_cmp_le_u32_e32 vcc, s76, v18
	s_nop 1
	v_cndmask_b32_e32 v18, v18, v19, vcc
	v_xor_b32_e32 v18, v18, v17
	v_sub_u32_e32 v18, v18, v17
	v_cmp_ne_u32_e32 vcc, 0, v18
	s_and_b64 s[80:81], vcc, exec
	s_or_b64 s[2:3], s[2:3], s[80:81]
	s_or_b64 exec, exec, s[4:5]
	v_mov_b32_e32 v18, s78
	s_and_saveexec_b64 s[4:5], s[2:3]
	s_cbranch_execz .LBB98_27
.LBB98_29:                              ;   in Loop: Header=BB98_25 Depth=4
	v_mov_b32_e32 v18, 0
	s_or_b64 exec, exec, s[4:5]
	s_andn2_b64 vcc, exec, s[44:45]
	s_cbranch_vccnz .LBB98_24
.LBB98_30:                              ;   in Loop: Header=BB98_25 Depth=4
	v_mul_hi_u32 v19, v16, v23
	v_mul_lo_u32 v28, v19, s76
	v_sub_u32_e32 v16, v16, v28
	v_add_u32_e32 v28, 1, v19
	v_cmp_le_u32_e32 vcc, s76, v16
	v_xor_b32_e32 v17, s75, v17
	s_mov_b32 s4, s8
	v_cndmask_b32_e32 v19, v19, v28, vcc
	v_subrev_u32_e32 v28, s76, v16
	v_cndmask_b32_e32 v16, v16, v28, vcc
	v_add_u32_e32 v28, 1, v19
	v_cmp_le_u32_e32 vcc, s76, v16
	s_nop 1
	v_cndmask_b32_e32 v16, v19, v28, vcc
	v_xor_b32_e32 v16, v16, v17
	v_sub_u32_e32 v16, v16, v17
	v_cmp_gt_i32_e32 vcc, s77, v16
	s_nop 1
	v_cndmask_b32_e32 v17, 0, v18, vcc
	v_and_b32_e32 v17, v27, v17
	v_cmp_ne_u32_e32 vcc, 0, v17
	v_ashrrev_i32_e32 v17, 31, v16
	v_lshl_add_u64 v[16:17], v[12:13], 0, v[16:17]
	v_lshl_add_u64 v[16:17], v[16:17], 1, s[48:49]
	v_mov_b64_e32 v[18:19], s[14:15]
	v_mul_lo_u32 v28, s33, v17
	v_mul_lo_u32 v29, s64, v16
	v_mad_u64_u32 v[16:17], s[2:3], s33, v16, v[18:19]
	v_add3_u32 v17, v29, v17, v28
	v_mov_b64_e32 v[18:19], v[14:15]
	s_branch .LBB98_32
.LBB98_31:                              ;   in Loop: Header=BB98_32 Depth=5
	s_or_b64 exec, exec, s[2:3]
	s_add_i32 s4, s4, -1
	v_lshl_add_u64 v[16:17], v[16:17], 0, 2
	s_cmp_eq_u32 s4, 0
	v_lshl_add_u64 v[18:19], v[18:19], 0, s[56:57]
	s_cbranch_scc1 .LBB98_24
.LBB98_32:                              ;   Parent Loop BB98_3 Depth=1
                                        ;     Parent Loop BB98_9 Depth=2
                                        ;       Parent Loop BB98_18 Depth=3
                                        ;         Parent Loop BB98_25 Depth=4
                                        ; =>        This Inner Loop Header: Depth=5
	s_and_saveexec_b64 s[2:3], vcc
	s_cbranch_execz .LBB98_31
; %bb.33:                               ;   in Loop: Header=BB98_32 Depth=5
	global_load_ushort v28, v[16:17], off
	global_load_ushort v29, v[18:19], off
	s_waitcnt vmcnt(1)
	v_lshlrev_b32_e32 v28, 16, v28
	s_waitcnt vmcnt(0)
	v_lshlrev_b32_e32 v30, 16, v29
	v_cvt_f64_f32_e32 v[28:29], v28
	v_cvt_f64_f32_e32 v[30:31], v30
	v_fmac_f64_e32 v[4:5], v[28:29], v[30:31]
	s_branch .LBB98_31
.LBB98_34:                              ;   in Loop: Header=BB98_3 Depth=1
	v_ashrrev_i32_e32 v7, 31, v6
	v_mad_i64_i32 v[6:7], s[0:1], v25, s6, v[6:7]
	v_mul_lo_u32 v8, v6, s62
	v_mul_lo_u32 v7, v7, s35
	v_mad_u64_u32 v[2:3], s[0:1], v6, s35, v[2:3]
	v_add3_u32 v3, v7, v3, v8
	s_mov_b64 s[0:1], -1
	s_and_b64 vcc, exec, s[46:47]
	s_cbranch_vccz .LBB98_36
; %bb.35:                               ;   in Loop: Header=BB98_3 Depth=1
	v_lshl_add_u64 v[6:7], v[2:3], 1, s[20:21]
	global_load_ushort v8, v[6:7], off
	s_waitcnt vmcnt(0)
	v_lshlrev_b32_e32 v8, 16, v8
	v_cvt_f64_f32_e32 v[8:9], v8
	v_mul_f64 v[8:9], v[8:9], s[26:27]
	v_fmac_f64_e32 v[8:9], s[24:25], v[4:5]
	v_cvt_f32_f64_e32 v8, v[8:9]
	v_and_b32_e32 v9, 0x7f800000, v8
	v_cmp_ne_u32_sdwa s[0:1], v8, v24 src0_sel:WORD_0 src1_sel:DWORD
	v_cmp_eq_u32_e32 vcc, s9, v9
	s_and_b64 s[0:1], vcc, s[0:1]
	v_cndmask_b32_e64 v9, 0, 1, s[0:1]
	v_or_b32_sdwa v8, v8, v9 dst_sel:DWORD dst_unused:UNUSED_PAD src0_sel:WORD_1 src1_sel:DWORD
	global_store_short v[6:7], v8, off
	s_mov_b64 s[0:1], 0
.LBB98_36:                              ;   in Loop: Header=BB98_3 Depth=1
	s_andn2_b64 vcc, exec, s[0:1]
	s_cbranch_vccnz .LBB98_2
; %bb.37:                               ;   in Loop: Header=BB98_3 Depth=1
	v_cvt_f32_f64_e32 v4, v[4:5]
	v_and_b32_e32 v5, 0x7f800000, v4
	v_cmp_eq_u32_e32 vcc, s9, v5
	v_cmp_ne_u32_sdwa s[0:1], v4, v24 src0_sel:WORD_0 src1_sel:DWORD
	s_and_b64 s[0:1], vcc, s[0:1]
	v_lshl_add_u64 v[2:3], v[2:3], 1, s[20:21]
	v_cndmask_b32_e64 v5, 0, 1, s[0:1]
	v_or_b32_sdwa v4, v4, v5 dst_sel:DWORD dst_unused:UNUSED_PAD src0_sel:WORD_1 src1_sel:DWORD
	global_store_short v[2:3], v4, off
	s_branch .LBB98_2
.LBB98_38:
	s_endpgm
	.section	.rodata,"a",@progbits
	.p2align	6, 0x0
	.amdhsa_kernel naive_conv_ab_packed_bwd_ndhwc_ushort_double_ushort_0
		.amdhsa_group_segment_fixed_size 0
		.amdhsa_private_segment_fixed_size 0
		.amdhsa_kernarg_size 528
		.amdhsa_user_sgpr_count 2
		.amdhsa_user_sgpr_dispatch_ptr 0
		.amdhsa_user_sgpr_queue_ptr 0
		.amdhsa_user_sgpr_kernarg_segment_ptr 1
		.amdhsa_user_sgpr_dispatch_id 0
		.amdhsa_user_sgpr_kernarg_preload_length 0
		.amdhsa_user_sgpr_kernarg_preload_offset 0
		.amdhsa_user_sgpr_private_segment_size 0
		.amdhsa_uses_dynamic_stack 0
		.amdhsa_enable_private_segment 0
		.amdhsa_system_sgpr_workgroup_id_x 1
		.amdhsa_system_sgpr_workgroup_id_y 0
		.amdhsa_system_sgpr_workgroup_id_z 0
		.amdhsa_system_sgpr_workgroup_info 0
		.amdhsa_system_vgpr_workitem_id 0
		.amdhsa_next_free_vgpr 32
		.amdhsa_next_free_sgpr 82
		.amdhsa_accum_offset 32
		.amdhsa_reserve_vcc 1
		.amdhsa_float_round_mode_32 0
		.amdhsa_float_round_mode_16_64 0
		.amdhsa_float_denorm_mode_32 3
		.amdhsa_float_denorm_mode_16_64 3
		.amdhsa_dx10_clamp 1
		.amdhsa_ieee_mode 1
		.amdhsa_fp16_overflow 0
		.amdhsa_tg_split 0
		.amdhsa_exception_fp_ieee_invalid_op 0
		.amdhsa_exception_fp_denorm_src 0
		.amdhsa_exception_fp_ieee_div_zero 0
		.amdhsa_exception_fp_ieee_overflow 0
		.amdhsa_exception_fp_ieee_underflow 0
		.amdhsa_exception_fp_ieee_inexact 0
		.amdhsa_exception_int_div_zero 0
	.end_amdhsa_kernel
	.text
.Lfunc_end98:
	.size	naive_conv_ab_packed_bwd_ndhwc_ushort_double_ushort_0, .Lfunc_end98-naive_conv_ab_packed_bwd_ndhwc_ushort_double_ushort_0
                                        ; -- End function
	.section	.AMDGPU.csdata,"",@progbits
; Kernel info:
; codeLenInByte = 2736
; NumSgprs: 88
; NumVgprs: 32
; NumAgprs: 0
; TotalNumVgprs: 32
; ScratchSize: 0
; MemoryBound: 0
; FloatMode: 240
; IeeeMode: 1
; LDSByteSize: 0 bytes/workgroup (compile time only)
; SGPRBlocks: 10
; VGPRBlocks: 3
; NumSGPRsForWavesPerEU: 88
; NumVGPRsForWavesPerEU: 32
; AccumOffset: 32
; Occupancy: 8
; WaveLimiterHint : 1
; COMPUTE_PGM_RSRC2:SCRATCH_EN: 0
; COMPUTE_PGM_RSRC2:USER_SGPR: 2
; COMPUTE_PGM_RSRC2:TRAP_HANDLER: 0
; COMPUTE_PGM_RSRC2:TGID_X_EN: 1
; COMPUTE_PGM_RSRC2:TGID_Y_EN: 0
; COMPUTE_PGM_RSRC2:TGID_Z_EN: 0
; COMPUTE_PGM_RSRC2:TIDIG_COMP_CNT: 0
; COMPUTE_PGM_RSRC3_GFX90A:ACCUM_OFFSET: 7
; COMPUTE_PGM_RSRC3_GFX90A:TG_SPLIT: 0
	.text
	.protected	naive_conv_ab_nonpacked_bwd_ndhwc_ushort_double_ushort_0 ; -- Begin function naive_conv_ab_nonpacked_bwd_ndhwc_ushort_double_ushort_0
	.globl	naive_conv_ab_nonpacked_bwd_ndhwc_ushort_double_ushort_0
	.p2align	8
	.type	naive_conv_ab_nonpacked_bwd_ndhwc_ushort_double_ushort_0,@function
naive_conv_ab_nonpacked_bwd_ndhwc_ushort_double_ushort_0: ; @naive_conv_ab_nonpacked_bwd_ndhwc_ushort_double_ushort_0
; %bb.0:
	s_load_dwordx16 s[4:19], s[0:1], 0xb8
	s_abs_i32 s34, s2
	s_waitcnt lgkmcnt(0)
	s_abs_i32 s3, s4
	v_cvt_f32_u32_e32 v1, s3
	s_sub_i32 s20, 0, s3
	s_mul_i32 s28, s7, s4
	v_rcp_iflag_f32_e32 v1, v1
	s_nop 0
	v_mul_f32_e32 v1, 0x4f7ffffe, v1
	v_cvt_u32_f32_e32 v1, v1
	s_nop 0
	v_readfirstlane_b32 s21, v1
	s_mul_i32 s20, s20, s21
	s_mul_hi_u32 s20, s21, s20
	s_add_i32 s21, s21, s20
	s_mul_hi_u32 s20, s34, s21
	s_mul_i32 s21, s20, s3
	s_sub_i32 s21, s34, s21
	s_add_i32 s22, s20, 1
	s_sub_i32 s23, s21, s3
	s_cmp_ge_u32 s21, s3
	s_cselect_b32 s20, s22, s20
	s_cselect_b32 s21, s23, s21
	s_add_i32 s22, s20, 1
	s_cmp_ge_u32 s21, s3
	s_cselect_b32 s29, s22, s20
	s_abs_i32 s35, s7
	s_abs_i32 s7, s28
	v_cvt_f32_u32_e32 v1, s35
	v_cvt_f32_u32_e32 v2, s7
	s_mul_i32 s3, s9, s6
	s_mul_i32 s33, s3, s5
	v_rcp_iflag_f32_e32 v1, v1
	v_rcp_iflag_f32_e32 v2, v2
	v_cmp_gt_i32_e32 vcc, s33, v0
	v_mul_f32_e32 v1, 0x4f7ffffe, v1
	v_mul_f32_e32 v2, 0x4f7ffffe, v2
	v_cvt_u32_f32_e32 v1, v1
	v_cvt_u32_f32_e32 v2, v2
	v_readfirstlane_b32 s30, v1
	v_readfirstlane_b32 s5, v2
	s_and_saveexec_b64 s[20:21], vcc
	s_cbranch_execz .LBB99_38
; %bb.1:
	s_ashr_i32 s52, s2, 31
	s_ashr_i32 s31, s4, 31
	s_xor_b32 s31, s52, s31
	s_xor_b32 s29, s29, s31
	s_sub_i32 s53, s29, s31
	s_sub_i32 s29, 0, s35
	s_mul_i32 s29, s29, s30
	s_mul_hi_u32 s29, s30, s29
	s_abs_i32 s55, s53
	s_add_i32 s30, s30, s29
	s_mul_hi_u32 s56, s55, s30
	s_ashr_i32 s57, s28, 31
	s_sub_i32 s28, 0, s7
	s_mul_i32 s28, s28, s5
	s_mul_i32 s56, s56, s35
	s_ashr_i32 s54, s53, 31
	s_mul_hi_u32 s28, s5, s28
	s_mul_i32 s53, s53, s4
	s_sub_i32 s4, s55, s56
	s_add_i32 s5, s5, s28
	s_sub_i32 s2, s2, s53
	s_sub_i32 s53, s4, s35
	s_cmp_ge_u32 s4, s35
	s_cselect_b32 s4, s53, s4
	s_sub_i32 s53, s4, s35
	s_mul_hi_u32 s5, s34, s5
	s_cmp_ge_u32 s4, s35
	s_cselect_b32 s4, s53, s4
	s_mul_i32 s35, s5, s7
	s_xor_b32 s4, s4, s54
	s_sub_i32 s34, s34, s35
	s_sub_i32 s87, s4, s54
	s_xor_b32 s4, s52, s57
	s_add_i32 s35, s5, 1
	s_sub_i32 s52, s34, s7
	s_cmp_ge_u32 s34, s7
	s_cselect_b32 s5, s35, s5
	s_cselect_b32 s34, s52, s34
	s_add_i32 s35, s5, 1
	s_load_dwordx16 s[36:51], s[0:1], 0x28
	s_load_dwordx4 s[28:31], s[0:1], 0xf8
	s_load_dwordx4 s[68:71], s[0:1], 0xa8
	s_cmp_ge_u32 s34, s7
	s_cselect_b32 s5, s35, s5
	s_xor_b32 s5, s5, s4
	s_ashr_i32 s7, s2, 31
	s_load_dwordx8 s[20:27], s[0:1], 0x0
	s_sub_i32 s88, s5, s4
	s_ashr_i32 s89, s87, 31
	s_waitcnt lgkmcnt(0)
	s_mul_i32 s7, s44, s7
	s_mul_hi_u32 s34, s44, s2
	s_mul_i32 s4, s46, s89
	s_mul_hi_u32 s5, s46, s87
	s_add_i32 s7, s34, s7
	s_mul_i32 s34, s45, s2
	s_ashr_i32 s90, s88, 31
	s_add_i32 s4, s5, s4
	s_mul_i32 s5, s47, s87
	s_add_i32 s35, s7, s34
	s_mul_i32 s34, s44, s2
	s_mul_i32 s7, s38, s90
	s_mul_hi_u32 s44, s38, s88
	s_add_i32 s5, s4, s5
	s_mul_i32 s4, s46, s87
	s_add_i32 s7, s44, s7
	s_mul_i32 s39, s39, s88
	s_add_i32 s39, s7, s39
	s_lshl_b64 s[4:5], s[4:5], 1
	s_add_u32 s7, s20, s4
	s_addc_u32 s20, s21, s5
	s_lshl_b64 s[4:5], s[34:35], 1
	s_mul_i32 s38, s38, s88
	s_add_u32 s7, s7, s4
	s_addc_u32 s21, s20, s5
	s_lshl_b64 s[4:5], s[38:39], 1
	s_add_u32 s20, s7, s4
	s_load_dword s74, s[0:1], 0x108
	s_addc_u32 s21, s21, s5
	s_cmp_lt_i32 s30, 1
	s_cselect_b64 s[34:35], -1, 0
	s_add_i32 s19, s2, s19
	s_load_dword s2, s[0:1], 0x11c
	s_cmp_gt_i32 s31, 0
	s_cselect_b64 s[38:39], -1, 0
	s_waitcnt lgkmcnt(0)
	s_cmp_gt_i32 s74, 0
	s_cselect_b64 s[44:45], -1, 0
	s_cmp_gt_i32 s8, 0
	s_cselect_b64 s[46:47], -1, 0
	s_abs_i32 s75, s13
	v_cvt_f32_u32_e32 v1, s75
	v_cmp_neq_f64_e64 s[4:5], s[24:25], 1.0
	v_cmp_neq_f64_e64 s[52:53], s[26:27], 0
	s_abs_i32 s81, s9
	v_rcp_iflag_f32_e32 v1, v1
	s_or_b64 s[72:73], s[4:5], s[52:53]
	s_abs_i32 s82, s6
	s_abs_i32 s79, s3
	v_mul_f32_e32 v1, 0x4f7ffffe, v1
	v_cvt_u32_f32_e32 v1, v1
	v_cvt_f32_u32_e32 v3, s82
	s_load_dwordx16 s[52:67], s[0:1], 0x68
	s_abs_i32 s84, s14
	v_readfirstlane_b32 s5, v1
	v_cvt_f32_u32_e32 v1, s81
	v_cvt_f32_u32_e32 v5, s79
	s_abs_i32 s86, s15
	v_cvt_f32_u32_e32 v7, s84
	s_sub_i32 s4, 0, s75
	v_rcp_iflag_f32_e32 v1, v1
	v_cvt_f32_u32_e32 v9, s86
	s_mul_i32 s4, s4, s5
	v_rcp_iflag_f32_e32 v3, v3
	s_mul_hi_u32 s4, s5, s4
	v_rcp_iflag_f32_e32 v5, v5
	s_add_i32 s76, s5, s4
	s_waitcnt lgkmcnt(0)
	s_mul_i32 s4, s58, s90
	s_mul_hi_u32 s5, s58, s88
	v_rcp_iflag_f32_e32 v7, v7
	s_add_i32 s4, s5, s4
	s_and_b32 s77, s2, 0xffff
	s_mul_i32 s2, s59, s88
	v_mul_f32_e32 v1, 0x4f7ffffe, v1
	v_rcp_iflag_f32_e32 v9, v9
	s_ashr_i32 s78, s3, 31
	s_add_i32 s3, s4, s2
	s_mul_i32 s2, s58, s88
	v_cvt_u32_f32_e32 v1, v1
	v_mul_f32_e32 v3, 0x4f7ffffe, v3
	s_lshl_b64 s[2:3], s[2:3], 1
	s_ashr_i32 s80, s9, 31
	s_sub_i32 s91, 0, s81
	s_sub_i32 s92, 0, s82
	;; [unrolled: 1-line block ×3, first 2 shown]
	s_ashr_i32 s13, s13, 31
	s_ashr_i32 s83, s14, 31
	s_sub_i32 s94, 0, s84
	s_ashr_i32 s85, s15, 31
	s_sub_i32 s95, 0, s86
	v_cvt_u32_f32_e32 v3, v3
	v_mul_f32_e32 v5, 0x4f7ffffe, v5
	s_add_u32 s6, s22, s2
	v_cvt_u32_f32_e32 v5, v5
	v_mul_f32_e32 v7, 0x4f7ffffe, v7
	s_addc_u32 s7, s23, s3
	s_mul_i32 s2, s62, s90
	s_mul_hi_u32 s3, s62, s88
	s_mul_i32 s4, s70, s89
	s_mul_hi_u32 s5, s70, s87
	v_cvt_u32_f32_e32 v7, v7
	v_mul_f32_e32 v9, 0x4f7ffffe, v9
	s_add_i32 s2, s3, s2
	s_mul_i32 s3, s63, s88
	s_add_i32 s4, s5, s4
	s_mul_i32 s5, s71, s87
	s_load_dwordx2 s[0:1], s[0:1], 0x20
	v_mul_lo_u32 v2, s91, v1
	v_cvt_u32_f32_e32 v9, v9
	s_add_i32 s3, s2, s3
	s_mul_i32 s2, s62, s88
	s_add_i32 s5, s4, s5
	s_mul_i32 s4, s70, s87
	v_mul_lo_u32 v4, s92, v3
	v_mul_hi_u32 v2, v1, v2
	s_lshl_b64 s[2:3], s[2:3], 1
	s_lshl_b64 s[4:5], s[4:5], 1
	;; [unrolled: 1-line block ×7, first 2 shown]
	v_mul_lo_u32 v6, s93, v5
	v_add_u32_e32 v1, v1, v2
	v_mul_hi_u32 v2, v3, v4
	s_add_u32 s2, s2, s4
	v_mul_lo_u32 v8, s94, v7
	v_add_u32_e32 v3, v3, v2
	v_mul_hi_u32 v2, v5, v6
	s_addc_u32 s3, s3, s5
	v_mul_lo_u32 v10, s95, v9
	v_add_u32_e32 v20, v5, v2
	v_mul_hi_u32 v2, v7, v8
	s_waitcnt lgkmcnt(0)
	s_add_u32 s70, s0, s2
	v_add_u32_e32 v21, v7, v2
	v_mul_hi_u32 v2, v9, v10
	s_addc_u32 s71, s1, s3
	s_lshl_b64 s[54:55], s[66:67], 1
	s_lshl_b64 s[56:57], s[64:65], 1
	;; [unrolled: 1-line block ×4, first 2 shown]
	v_add_u32_e32 v22, v9, v2
	v_mov_b32_e32 v23, 0
	s_mov_b32 s68, 0x7f800000
	s_mov_b64 s[62:63], 0
	s_branch .LBB99_3
.LBB99_2:                               ;   in Loop: Header=BB99_3 Depth=1
	v_add_u32_e32 v0, s77, v0
	v_cmp_le_i32_e32 vcc, s33, v0
	s_or_b64 s[62:63], vcc, s[62:63]
	s_andn2_b64 exec, exec, s[62:63]
	s_cbranch_execz .LBB99_38
.LBB99_3:                               ; =>This Loop Header: Depth=1
                                        ;     Child Loop BB99_9 Depth 2
                                        ;       Child Loop BB99_18 Depth 3
                                        ;         Child Loop BB99_25 Depth 4
                                        ;           Child Loop BB99_32 Depth 5
	v_sub_u32_e32 v4, 0, v0
	v_max_i32_e32 v4, v0, v4
	v_mul_hi_u32 v5, v4, v1
	v_mul_lo_u32 v7, v5, s81
	v_sub_u32_e32 v7, v4, v7
	v_add_u32_e32 v8, 1, v5
	v_cmp_le_u32_e32 vcc, s81, v7
	v_ashrrev_i32_e32 v6, 31, v0
	v_xor_b32_e32 v2, s80, v6
	v_cndmask_b32_e32 v5, v5, v8, vcc
	v_subrev_u32_e32 v8, s81, v7
	v_cndmask_b32_e32 v7, v7, v8, vcc
	v_add_u32_e32 v8, 1, v5
	v_cmp_le_u32_e32 vcc, s81, v7
	s_nop 1
	v_cndmask_b32_e32 v5, v5, v8, vcc
	v_xor_b32_e32 v5, v5, v2
	v_sub_u32_e32 v7, v5, v2
	v_sub_u32_e32 v5, 0, v7
	v_max_i32_e32 v5, v7, v5
	v_mul_hi_u32 v8, v5, v3
	v_mul_lo_u32 v8, v8, s82
	v_sub_u32_e32 v5, v5, v8
	v_subrev_u32_e32 v8, s82, v5
	v_cmp_le_u32_e32 vcc, s82, v5
	v_mul_lo_u32 v2, v7, s9
	v_sub_u32_e32 v2, v0, v2
	v_cndmask_b32_e32 v9, v5, v8, vcc
	v_mul_hi_u32 v8, v4, v20
	v_mul_lo_u32 v5, v8, s79
	v_sub_u32_e32 v4, v4, v5
	v_subrev_u32_e32 v5, s79, v4
	v_cmp_le_u32_e64 s[2:3], s79, v4
	v_cmp_le_u32_e64 s[0:1], s82, v9
	s_andn2_b64 vcc, exec, s[34:35]
	v_cndmask_b32_e64 v4, v4, v5, s[2:3]
	v_cmp_le_u32_e64 s[4:5], s79, v4
	s_cbranch_vccnz .LBB99_5
; %bb.4:                                ;   in Loop: Header=BB99_3 Depth=1
	v_ashrrev_i32_e32 v5, 31, v2
	s_mov_b64 s[64:65], 0
	s_mov_b64 s[66:67], 0
	s_branch .LBB99_6
.LBB99_5:                               ;   in Loop: Header=BB99_3 Depth=1
	s_mov_b64 s[64:65], -1
                                        ; implicit-def: $sgpr66_sgpr67
                                        ; implicit-def: $vgpr4_vgpr5
.LBB99_6:                               ;   in Loop: Header=BB99_3 Depth=1
	v_ashrrev_i32_e32 v4, 31, v7
	v_subrev_u32_e32 v7, s82, v9
	v_cndmask_b32_e64 v7, v9, v7, s[0:1]
	v_xor_b32_e32 v7, v7, v4
	v_sub_u32_e32 v4, v7, v4
	v_add_u32_e32 v7, 1, v8
	v_cndmask_b32_e64 v7, v8, v7, s[2:3]
	v_add_u32_e32 v8, 1, v7
	v_xor_b32_e32 v6, s78, v6
	v_cndmask_b32_e64 v7, v7, v8, s[4:5]
	v_xor_b32_e32 v7, v7, v6
	v_sub_u32_e32 v24, v7, v6
	s_andn2_b64 vcc, exec, s[64:65]
	v_mov_b64_e32 v[6:7], s[66:67]
	s_cbranch_vccnz .LBB99_34
; %bb.7:                                ;   in Loop: Header=BB99_3 Depth=1
	v_ashrrev_i32_e32 v5, 31, v2
	v_mov_b64_e32 v[6:7], s[6:7]
	v_mad_u64_u32 v[8:9], s[0:1], s14, v2, v[6:7]
	v_mul_lo_u32 v6, s15, v2
	v_mul_lo_u32 v7, s14, v5
	v_add_u32_e32 v25, s28, v24
	v_add_u32_e32 v26, s29, v4
	v_add3_u32 v9, v6, v9, v7
	s_mov_b32 s64, 0
	v_mov_b64_e32 v[6:7], 0
	s_branch .LBB99_9
.LBB99_8:                               ;   in Loop: Header=BB99_9 Depth=2
	s_add_i32 s64, s64, 1
	s_cmp_eq_u32 s64, s30
	v_lshl_add_u64 v[8:9], v[8:9], 0, s[22:23]
	s_cbranch_scc1 .LBB99_34
.LBB99_9:                               ;   Parent Loop BB99_3 Depth=1
                                        ; =>  This Loop Header: Depth=2
                                        ;       Child Loop BB99_18 Depth 3
                                        ;         Child Loop BB99_25 Depth 4
                                        ;           Child Loop BB99_32 Depth 5
	s_mul_i32 s0, s64, s16
	s_sub_i32 s69, s19, s0
	s_cmp_gt_i32 s69, -1
	s_cbranch_scc0 .LBB99_11
; %bb.10:                               ;   in Loop: Header=BB99_9 Depth=2
	s_abs_i32 s0, s69
	s_mul_hi_u32 s5, s0, s76
	s_mul_i32 s1, s5, s75
	s_sub_i32 s65, s0, s1
	s_ashr_i32 s4, s69, 31
	s_sub_i32 s66, s65, s75
	s_cmp_ge_u32 s65, s75
	s_cselect_b32 s0, s66, s65
	s_sub_i32 s1, s0, s75
	s_cmp_ge_u32 s0, s75
	s_cselect_b32 s0, s1, s0
	s_xor_b32 s0, s0, s4
	s_sub_i32 s0, s0, s4
	s_cmp_lg_u32 s0, 0
	s_mov_b32 s67, 1
	s_cselect_b64 s[0:1], -1, 0
	s_cbranch_execz .LBB99_12
	s_branch .LBB99_13
.LBB99_11:                              ;   in Loop: Header=BB99_9 Depth=2
	s_mov_b64 s[0:1], 0
                                        ; implicit-def: $sgpr67
                                        ; implicit-def: $sgpr4
                                        ; implicit-def: $sgpr5
                                        ; implicit-def: $sgpr65
                                        ; implicit-def: $sgpr66
.LBB99_12:                              ;   in Loop: Header=BB99_9 Depth=2
	s_abs_i32 s0, s69
	s_mul_hi_u32 s5, s0, s76
	s_mul_i32 s1, s5, s75
	s_sub_i32 s65, s0, s1
	s_ashr_i32 s4, s69, 31
	s_sub_i32 s66, s65, s75
	s_mov_b64 s[0:1], -1
                                        ; implicit-def: $sgpr67
.LBB99_13:                              ;   in Loop: Header=BB99_9 Depth=2
	s_andn2_b64 vcc, exec, s[0:1]
	s_cbranch_vccz .LBB99_15
; %bb.14:                               ;   in Loop: Header=BB99_9 Depth=2
	s_andn2_b64 vcc, exec, s[38:39]
	s_cbranch_vccz .LBB99_16
	s_branch .LBB99_8
.LBB99_15:                              ;   in Loop: Header=BB99_9 Depth=2
	s_mov_b32 s67, 0
	s_andn2_b64 vcc, exec, s[38:39]
	s_cbranch_vccnz .LBB99_8
.LBB99_16:                              ;   in Loop: Header=BB99_9 Depth=2
	s_xor_b32 s0, s4, s13
	s_add_i32 s1, s5, 1
	s_cmp_ge_u32 s65, s75
	s_cselect_b32 s1, s1, s5
	s_cselect_b32 s2, s66, s65
	s_add_i32 s3, s1, 1
	s_cmp_ge_u32 s2, s75
	s_cselect_b32 s1, s3, s1
	s_xor_b32 s1, s1, s0
	s_sub_i32 s0, s1, s0
	s_cmp_lt_i32 s0, s10
	s_cselect_b32 s66, s67, 0
	s_ashr_i32 s1, s0, 31
	s_mul_i32 s1, s60, s1
	s_mul_hi_u32 s2, s60, s0
	s_add_i32 s1, s2, s1
	s_mul_i32 s2, s61, s0
	s_add_i32 s1, s1, s2
	s_mul_i32 s0, s60, s0
	s_add_u32 s0, s70, s0
	s_mov_b32 s65, 0
	s_addc_u32 s1, s71, s1
	v_mov_b64_e32 v[10:11], v[8:9]
	s_branch .LBB99_18
.LBB99_17:                              ;   in Loop: Header=BB99_18 Depth=3
	s_add_i32 s65, s65, 1
	s_cmp_eq_u32 s65, s31
	v_lshl_add_u64 v[10:11], v[10:11], 0, s[48:49]
	s_cbranch_scc1 .LBB99_8
.LBB99_18:                              ;   Parent Loop BB99_3 Depth=1
                                        ;     Parent Loop BB99_9 Depth=2
                                        ; =>    This Loop Header: Depth=3
                                        ;         Child Loop BB99_25 Depth 4
                                        ;           Child Loop BB99_32 Depth 5
	s_mul_i32 s2, s65, s17
	v_subrev_u32_e32 v12, s2, v25
	v_cmp_gt_i32_e64 s[2:3], 0, v12
	v_cmp_lt_i32_e32 vcc, -1, v12
	v_ashrrev_i32_e32 v14, 31, v12
	v_sub_u32_e32 v13, 0, v12
                                        ; implicit-def: $sgpr67
	s_and_saveexec_b64 s[4:5], vcc
	s_cbranch_execnz .LBB99_21
; %bb.19:                               ;   in Loop: Header=BB99_18 Depth=3
	s_or_b64 exec, exec, s[4:5]
	v_mov_b32_e32 v15, s67
	s_and_saveexec_b64 s[4:5], s[2:3]
	s_cbranch_execnz .LBB99_22
.LBB99_20:                              ;   in Loop: Header=BB99_18 Depth=3
	s_or_b64 exec, exec, s[4:5]
	s_andn2_b64 vcc, exec, s[44:45]
	s_cbranch_vccz .LBB99_23
	s_branch .LBB99_17
.LBB99_21:                              ;   in Loop: Header=BB99_18 Depth=3
	v_max_i32_e32 v15, v12, v13
	v_mul_hi_u32 v16, v15, v21
	v_mul_lo_u32 v16, v16, s84
	v_sub_u32_e32 v15, v15, v16
	v_subrev_u32_e32 v16, s84, v15
	v_cmp_le_u32_e32 vcc, s84, v15
	s_andn2_b64 s[2:3], s[2:3], exec
	s_mov_b32 s67, 1
	v_cndmask_b32_e32 v15, v15, v16, vcc
	v_subrev_u32_e32 v16, s84, v15
	v_cmp_le_u32_e32 vcc, s84, v15
	s_nop 1
	v_cndmask_b32_e32 v15, v15, v16, vcc
	v_xor_b32_e32 v15, v15, v14
	v_sub_u32_e32 v15, v15, v14
	v_cmp_ne_u32_e32 vcc, 0, v15
	s_and_b64 s[88:89], vcc, exec
	s_or_b64 s[2:3], s[2:3], s[88:89]
	s_or_b64 exec, exec, s[4:5]
	v_mov_b32_e32 v15, s67
	s_and_saveexec_b64 s[4:5], s[2:3]
	s_cbranch_execz .LBB99_20
.LBB99_22:                              ;   in Loop: Header=BB99_18 Depth=3
	v_mov_b32_e32 v15, 0
	s_or_b64 exec, exec, s[4:5]
	s_andn2_b64 vcc, exec, s[44:45]
	s_cbranch_vccnz .LBB99_17
.LBB99_23:                              ;   in Loop: Header=BB99_18 Depth=3
	v_max_i32_e32 v12, v12, v13
	v_mul_hi_u32 v13, v12, v21
	v_mul_lo_u32 v16, v13, s84
	v_sub_u32_e32 v12, v12, v16
	v_add_u32_e32 v16, 1, v13
	v_cmp_le_u32_e32 vcc, s84, v12
	v_xor_b32_e32 v14, s83, v14
	s_mov_b32 s67, 0
	v_cndmask_b32_e32 v13, v13, v16, vcc
	v_subrev_u32_e32 v16, s84, v12
	v_cndmask_b32_e32 v12, v12, v16, vcc
	v_add_u32_e32 v16, 1, v13
	v_cmp_le_u32_e32 vcc, s84, v12
	s_nop 1
	v_cndmask_b32_e32 v12, v13, v16, vcc
	v_xor_b32_e32 v12, v12, v14
	v_sub_u32_e32 v14, v12, v14
	v_cmp_gt_i32_e32 vcc, s11, v14
	v_mul_lo_u32 v16, s55, v14
	s_nop 0
	v_cndmask_b32_e32 v12, 0, v15, vcc
	v_and_b32_e32 v27, s66, v12
	v_ashrrev_i32_e32 v12, 31, v14
	v_mul_lo_u32 v15, s54, v12
	v_mov_b64_e32 v[12:13], s[0:1]
	v_mad_u64_u32 v[12:13], s[2:3], s54, v14, v[12:13]
	v_add3_u32 v13, v16, v13, v15
	v_mov_b64_e32 v[14:15], v[10:11]
	s_branch .LBB99_25
.LBB99_24:                              ;   in Loop: Header=BB99_25 Depth=4
	s_add_i32 s67, s67, 1
	s_cmp_eq_u32 s67, s74
	v_lshl_add_u64 v[14:15], v[14:15], 0, s[50:51]
	s_cbranch_scc1 .LBB99_17
.LBB99_25:                              ;   Parent Loop BB99_3 Depth=1
                                        ;     Parent Loop BB99_9 Depth=2
                                        ;       Parent Loop BB99_18 Depth=3
                                        ; =>      This Loop Header: Depth=4
                                        ;           Child Loop BB99_32 Depth 5
	s_mul_i32 s2, s67, s18
	v_subrev_u32_e32 v16, s2, v26
	v_sub_u32_e32 v18, 0, v16
	v_cmp_gt_i32_e64 s[2:3], 0, v16
	v_cmp_lt_i32_e32 vcc, -1, v16
	v_ashrrev_i32_e32 v17, 31, v16
	v_max_i32_e32 v16, v16, v18
                                        ; implicit-def: $sgpr69
	s_and_saveexec_b64 s[4:5], vcc
	s_cbranch_execnz .LBB99_28
; %bb.26:                               ;   in Loop: Header=BB99_25 Depth=4
	s_or_b64 exec, exec, s[4:5]
	v_mov_b32_e32 v18, s69
	s_and_saveexec_b64 s[4:5], s[2:3]
	s_cbranch_execnz .LBB99_29
.LBB99_27:                              ;   in Loop: Header=BB99_25 Depth=4
	s_or_b64 exec, exec, s[4:5]
	s_andn2_b64 vcc, exec, s[46:47]
	s_cbranch_vccz .LBB99_30
	s_branch .LBB99_24
.LBB99_28:                              ;   in Loop: Header=BB99_25 Depth=4
	v_mul_hi_u32 v18, v16, v22
	v_mul_lo_u32 v18, v18, s86
	v_sub_u32_e32 v18, v16, v18
	v_subrev_u32_e32 v19, s86, v18
	v_cmp_le_u32_e32 vcc, s86, v18
	s_andn2_b64 s[2:3], s[2:3], exec
	s_mov_b32 s69, 1
	v_cndmask_b32_e32 v18, v18, v19, vcc
	v_subrev_u32_e32 v19, s86, v18
	v_cmp_le_u32_e32 vcc, s86, v18
	s_nop 1
	v_cndmask_b32_e32 v18, v18, v19, vcc
	v_xor_b32_e32 v18, v18, v17
	v_sub_u32_e32 v18, v18, v17
	v_cmp_ne_u32_e32 vcc, 0, v18
	s_and_b64 s[88:89], vcc, exec
	s_or_b64 s[2:3], s[2:3], s[88:89]
	s_or_b64 exec, exec, s[4:5]
	v_mov_b32_e32 v18, s69
	s_and_saveexec_b64 s[4:5], s[2:3]
	s_cbranch_execz .LBB99_27
.LBB99_29:                              ;   in Loop: Header=BB99_25 Depth=4
	v_mov_b32_e32 v18, 0
	s_or_b64 exec, exec, s[4:5]
	s_andn2_b64 vcc, exec, s[46:47]
	s_cbranch_vccnz .LBB99_24
.LBB99_30:                              ;   in Loop: Header=BB99_25 Depth=4
	v_mul_hi_u32 v19, v16, v22
	v_mul_lo_u32 v28, v19, s86
	v_sub_u32_e32 v16, v16, v28
	v_add_u32_e32 v28, 1, v19
	v_cmp_le_u32_e32 vcc, s86, v16
	v_xor_b32_e32 v17, s85, v17
	s_mov_b32 s4, s8
	v_cndmask_b32_e32 v19, v19, v28, vcc
	v_subrev_u32_e32 v28, s86, v16
	v_cndmask_b32_e32 v16, v16, v28, vcc
	v_add_u32_e32 v28, 1, v19
	v_cmp_le_u32_e32 vcc, s86, v16
	s_nop 1
	v_cndmask_b32_e32 v16, v19, v28, vcc
	v_xor_b32_e32 v16, v16, v17
	v_sub_u32_e32 v16, v16, v17
	v_cmp_gt_i32_e32 vcc, s12, v16
	v_mul_lo_u32 v19, s57, v16
	s_nop 0
	v_cndmask_b32_e32 v17, 0, v18, vcc
	v_and_b32_e32 v17, v27, v17
	v_cmp_ne_u32_e32 vcc, 0, v17
	v_ashrrev_i32_e32 v17, 31, v16
	v_mul_lo_u32 v18, s56, v17
	v_mad_u64_u32 v[16:17], s[2:3], s56, v16, v[12:13]
	v_add3_u32 v17, v19, v17, v18
	v_mov_b64_e32 v[18:19], v[14:15]
	s_branch .LBB99_32
.LBB99_31:                              ;   in Loop: Header=BB99_32 Depth=5
	s_or_b64 exec, exec, s[2:3]
	s_add_i32 s4, s4, -1
	v_lshl_add_u64 v[18:19], v[18:19], 0, s[52:53]
	s_cmp_eq_u32 s4, 0
	v_lshl_add_u64 v[16:17], v[16:17], 0, s[58:59]
	s_cbranch_scc1 .LBB99_24
.LBB99_32:                              ;   Parent Loop BB99_3 Depth=1
                                        ;     Parent Loop BB99_9 Depth=2
                                        ;       Parent Loop BB99_18 Depth=3
                                        ;         Parent Loop BB99_25 Depth=4
                                        ; =>        This Inner Loop Header: Depth=5
	s_and_saveexec_b64 s[2:3], vcc
	s_cbranch_execz .LBB99_31
; %bb.33:                               ;   in Loop: Header=BB99_32 Depth=5
	global_load_ushort v28, v[16:17], off
	global_load_ushort v29, v[18:19], off
	s_waitcnt vmcnt(1)
	v_lshlrev_b32_e32 v28, 16, v28
	s_waitcnt vmcnt(0)
	v_lshlrev_b32_e32 v30, 16, v29
	v_cvt_f64_f32_e32 v[28:29], v28
	v_cvt_f64_f32_e32 v[30:31], v30
	v_fmac_f64_e32 v[6:7], v[28:29], v[30:31]
	s_branch .LBB99_31
.LBB99_34:                              ;   in Loop: Header=BB99_3 Depth=1
	v_ashrrev_i32_e32 v8, 31, v4
	v_mul_lo_u32 v11, s41, v4
	v_mul_lo_u32 v12, s40, v8
	v_mad_u64_u32 v[8:9], s[0:1], s40, v4, 0
	v_ashrrev_i32_e32 v10, 31, v24
	v_add3_u32 v9, v9, v12, v11
	v_mad_u64_u32 v[8:9], s[0:1], s42, v24, v[8:9]
	v_mul_lo_u32 v4, s43, v24
	v_mul_lo_u32 v10, s42, v10
	v_add3_u32 v9, v4, v9, v10
	v_mad_u64_u32 v[8:9], s[0:1], v2, s36, v[8:9]
	v_mul_lo_u32 v2, v2, s37
	v_mul_lo_u32 v4, v5, s36
	v_add3_u32 v9, v4, v9, v2
	s_mov_b64 s[0:1], -1
	s_and_b64 vcc, exec, s[72:73]
	s_cbranch_vccz .LBB99_36
; %bb.35:                               ;   in Loop: Header=BB99_3 Depth=1
	v_lshl_add_u64 v[4:5], v[8:9], 1, s[20:21]
	global_load_ushort v2, v[4:5], off
	s_waitcnt vmcnt(0)
	v_lshlrev_b32_e32 v2, 16, v2
	v_cvt_f64_f32_e32 v[10:11], v2
	v_mul_f64 v[10:11], v[10:11], s[26:27]
	v_fmac_f64_e32 v[10:11], s[24:25], v[6:7]
	v_cvt_f32_f64_e32 v2, v[10:11]
	v_and_b32_e32 v10, 0x7f800000, v2
	v_cmp_ne_u32_sdwa s[0:1], v2, v23 src0_sel:WORD_0 src1_sel:DWORD
	v_cmp_eq_u32_e32 vcc, s68, v10
	s_and_b64 s[0:1], vcc, s[0:1]
	v_cndmask_b32_e64 v10, 0, 1, s[0:1]
	v_or_b32_sdwa v2, v2, v10 dst_sel:DWORD dst_unused:UNUSED_PAD src0_sel:WORD_1 src1_sel:DWORD
	global_store_short v[4:5], v2, off
	s_mov_b64 s[0:1], 0
.LBB99_36:                              ;   in Loop: Header=BB99_3 Depth=1
	s_andn2_b64 vcc, exec, s[0:1]
	s_cbranch_vccnz .LBB99_2
; %bb.37:                               ;   in Loop: Header=BB99_3 Depth=1
	v_cvt_f32_f64_e32 v2, v[6:7]
	v_and_b32_e32 v4, 0x7f800000, v2
	v_cmp_eq_u32_e32 vcc, s68, v4
	v_cmp_ne_u32_sdwa s[0:1], v2, v23 src0_sel:WORD_0 src1_sel:DWORD
	s_and_b64 s[0:1], vcc, s[0:1]
	s_nop 0
	v_cndmask_b32_e64 v4, 0, 1, s[0:1]
	v_or_b32_sdwa v2, v2, v4 dst_sel:DWORD dst_unused:UNUSED_PAD src0_sel:WORD_1 src1_sel:DWORD
	v_lshl_add_u64 v[4:5], v[8:9], 1, s[20:21]
	global_store_short v[4:5], v2, off
	s_branch .LBB99_2
.LBB99_38:
	s_endpgm
	.section	.rodata,"a",@progbits
	.p2align	6, 0x0
	.amdhsa_kernel naive_conv_ab_nonpacked_bwd_ndhwc_ushort_double_ushort_0
		.amdhsa_group_segment_fixed_size 0
		.amdhsa_private_segment_fixed_size 0
		.amdhsa_kernarg_size 528
		.amdhsa_user_sgpr_count 2
		.amdhsa_user_sgpr_dispatch_ptr 0
		.amdhsa_user_sgpr_queue_ptr 0
		.amdhsa_user_sgpr_kernarg_segment_ptr 1
		.amdhsa_user_sgpr_dispatch_id 0
		.amdhsa_user_sgpr_kernarg_preload_length 0
		.amdhsa_user_sgpr_kernarg_preload_offset 0
		.amdhsa_user_sgpr_private_segment_size 0
		.amdhsa_uses_dynamic_stack 0
		.amdhsa_enable_private_segment 0
		.amdhsa_system_sgpr_workgroup_id_x 1
		.amdhsa_system_sgpr_workgroup_id_y 0
		.amdhsa_system_sgpr_workgroup_id_z 0
		.amdhsa_system_sgpr_workgroup_info 0
		.amdhsa_system_vgpr_workitem_id 0
		.amdhsa_next_free_vgpr 32
		.amdhsa_next_free_sgpr 96
		.amdhsa_accum_offset 32
		.amdhsa_reserve_vcc 1
		.amdhsa_float_round_mode_32 0
		.amdhsa_float_round_mode_16_64 0
		.amdhsa_float_denorm_mode_32 3
		.amdhsa_float_denorm_mode_16_64 3
		.amdhsa_dx10_clamp 1
		.amdhsa_ieee_mode 1
		.amdhsa_fp16_overflow 0
		.amdhsa_tg_split 0
		.amdhsa_exception_fp_ieee_invalid_op 0
		.amdhsa_exception_fp_denorm_src 0
		.amdhsa_exception_fp_ieee_div_zero 0
		.amdhsa_exception_fp_ieee_overflow 0
		.amdhsa_exception_fp_ieee_underflow 0
		.amdhsa_exception_fp_ieee_inexact 0
		.amdhsa_exception_int_div_zero 0
	.end_amdhsa_kernel
	.text
.Lfunc_end99:
	.size	naive_conv_ab_nonpacked_bwd_ndhwc_ushort_double_ushort_0, .Lfunc_end99-naive_conv_ab_nonpacked_bwd_ndhwc_ushort_double_ushort_0
                                        ; -- End function
	.section	.AMDGPU.csdata,"",@progbits
; Kernel info:
; codeLenInByte = 2788
; NumSgprs: 102
; NumVgprs: 32
; NumAgprs: 0
; TotalNumVgprs: 32
; ScratchSize: 0
; MemoryBound: 0
; FloatMode: 240
; IeeeMode: 1
; LDSByteSize: 0 bytes/workgroup (compile time only)
; SGPRBlocks: 12
; VGPRBlocks: 3
; NumSGPRsForWavesPerEU: 102
; NumVGPRsForWavesPerEU: 32
; AccumOffset: 32
; Occupancy: 7
; WaveLimiterHint : 1
; COMPUTE_PGM_RSRC2:SCRATCH_EN: 0
; COMPUTE_PGM_RSRC2:USER_SGPR: 2
; COMPUTE_PGM_RSRC2:TRAP_HANDLER: 0
; COMPUTE_PGM_RSRC2:TGID_X_EN: 1
; COMPUTE_PGM_RSRC2:TGID_Y_EN: 0
; COMPUTE_PGM_RSRC2:TGID_Z_EN: 0
; COMPUTE_PGM_RSRC2:TIDIG_COMP_CNT: 0
; COMPUTE_PGM_RSRC3_GFX90A:ACCUM_OFFSET: 7
; COMPUTE_PGM_RSRC3_GFX90A:TG_SPLIT: 0
	.text
	.protected	naive_conv_ab_packed_wrw_ncdhw_float_double_float_0 ; -- Begin function naive_conv_ab_packed_wrw_ncdhw_float_double_float_0
	.globl	naive_conv_ab_packed_wrw_ncdhw_float_double_float_0
	.p2align	8
	.type	naive_conv_ab_packed_wrw_ncdhw_float_double_float_0,@function
naive_conv_ab_packed_wrw_ncdhw_float_double_float_0: ; @naive_conv_ab_packed_wrw_ncdhw_float_double_float_0
; %bb.0:
	s_load_dwordx16 s[4:19], s[0:1], 0xb8
	s_load_dwordx2 s[44:45], s[0:1], 0x108
	s_load_dwordx4 s[28:31], s[0:1], 0xf8
	s_waitcnt lgkmcnt(0)
	s_abs_i32 s3, s8
	v_cvt_f32_u32_e32 v1, s3
	s_mul_i32 s43, s44, s31
	s_mul_i32 s42, s43, s30
	;; [unrolled: 1-line block ×3, first 2 shown]
	v_rcp_iflag_f32_e32 v1, v1
	v_cmp_gt_i32_e32 vcc, s33, v0
	v_mul_f32_e32 v1, 0x4f7ffffe, v1
	v_cvt_u32_f32_e32 v1, v1
	s_nop 0
	v_readfirstlane_b32 s34, v1
	s_and_saveexec_b64 s[20:21], vcc
	s_cbranch_execz .LBB100_21
; %bb.1:
	s_sub_i32 s38, 0, s3
	s_mul_i32 s38, s38, s34
	s_mul_hi_u32 s38, s34, s38
	s_abs_i32 s37, s2
	s_add_i32 s34, s34, s38
	s_ashr_i32 s35, s2, 31
	s_ashr_i32 s36, s8, 31
	s_mul_hi_u32 s34, s37, s34
	s_xor_b32 s35, s35, s36
	s_mul_i32 s36, s34, s3
	s_sub_i32 s36, s37, s36
	s_add_i32 s37, s34, 1
	s_sub_i32 s38, s36, s3
	s_cmp_ge_u32 s36, s3
	s_cselect_b32 s34, s37, s34
	s_cselect_b32 s36, s38, s36
	s_add_i32 s37, s34, 1
	s_cmp_ge_u32 s36, s3
	s_cselect_b32 s3, s37, s34
	s_ashr_i32 s60, s6, 31
	s_mul_i32 s38, s5, s4
	s_xor_b32 s3, s3, s35
	s_mul_hi_i32 s37, s5, s4
	s_mul_i32 s39, s38, s60
	s_mul_hi_u32 s40, s38, s6
	s_sub_i32 s34, s3, s35
	s_ashr_i32 s3, s9, 31
	s_add_i32 s39, s40, s39
	s_mul_i32 s37, s37, s6
	s_mul_i32 s38, s38, s6
	s_add_i32 s37, s39, s37
	s_mul_i32 s3, s38, s3
	s_mul_hi_u32 s39, s38, s9
	s_mul_i32 s35, s34, s8
	s_add_i32 s3, s39, s3
	s_mul_i32 s37, s37, s9
	s_load_dwordx8 s[20:27], s[0:1], 0x0
	s_sub_i32 s36, s2, s35
	s_ashr_i32 s2, s34, 31
	s_add_i32 s3, s3, s37
	s_mul_i32 s37, s38, s9
	s_mul_i32 s2, s37, s2
	s_mul_hi_u32 s38, s37, s34
	s_mul_i32 s3, s3, s34
	s_add_i32 s2, s38, s2
	s_add_i32 s3, s2, s3
	s_mul_i32 s2, s37, s34
	s_ashr_i32 s58, s4, 31
	s_ashr_i32 s59, s5, 31
	s_lshl_b64 s[2:3], s[2:3], 2
	s_waitcnt lgkmcnt(0)
	s_add_u32 s20, s20, s2
	s_addc_u32 s21, s21, s3
	s_ashr_i32 s61, s30, 31
	s_ashr_i32 s62, s31, 31
	;; [unrolled: 1-line block ×4, first 2 shown]
	s_mul_hi_i32 s2, s34, s8
	s_add_u32 s48, s35, s36
	s_addc_u32 s49, s2, s3
	s_mul_i32 s3, s30, s9
	s_mul_hi_i32 s2, s30, s9
	s_mul_i32 s34, s3, s62
	s_mul_hi_u32 s35, s3, s31
	s_add_i32 s34, s35, s34
	s_mul_i32 s2, s2, s31
	s_mul_i32 s3, s3, s31
	s_add_i32 s2, s34, s2
	s_mul_i32 s34, s3, s63
	s_mul_hi_u32 s35, s3, s44
	s_add_i32 s34, s35, s34
	s_mul_i32 s2, s2, s44
	s_add_i32 s2, s34, s2
	s_mul_i32 s34, s3, s44
	s_mul_i32 s3, s34, s49
	s_mul_hi_u32 s35, s34, s48
	s_add_i32 s3, s35, s3
	s_mul_i32 s2, s2, s48
	s_add_i32 s3, s3, s2
	s_mul_i32 s2, s34, s48
	s_lshl_b64 s[2:3], s[2:3], 2
	s_add_u32 s22, s22, s2
	s_addc_u32 s23, s23, s3
	s_ashr_i32 s2, s10, 31
	s_ashr_i32 s3, s12, 31
	s_cmp_lt_i32 s7, 1
	s_mul_i32 s64, s45, s9
	s_mul_i32 s45, s45, s8
	s_cselect_b64 s[8:9], -1, 0
	s_cmp_gt_i32 s10, 0
	s_cselect_b64 s[34:35], -1, 0
	s_cmp_gt_i32 s11, 0
	;; [unrolled: 2-line block ×3, first 2 shown]
	s_cselect_b64 s[38:39], -1, 0
	s_abs_i32 s67, s44
	v_cvt_f32_u32_e32 v1, s67
	s_abs_i32 s68, s31
	s_load_dwordx2 s[46:47], s[0:1], 0x20
	s_load_dword s50, s[0:1], 0x11c
	s_abs_i32 s70, s43
	v_rcp_iflag_f32_e32 v1, v1
	v_cvt_f32_u32_e32 v2, s68
	s_abs_i32 s71, s30
	v_cvt_f32_u32_e32 v4, s70
	v_mul_f32_e32 v1, 0x4f7ffffe, v1
	v_cvt_u32_f32_e32 v1, v1
	v_cvt_f32_u32_e32 v5, s71
	s_abs_i32 s73, s42
	v_rcp_iflag_f32_e32 v2, v2
	v_cvt_f32_u32_e32 v9, s73
	s_waitcnt lgkmcnt(0)
	s_and_b32 s66, s50, 0xffff
	s_sub_i32 s50, 0, s67
	v_rcp_iflag_f32_e32 v4, v4
	v_cmp_neq_f64_e64 s[0:1], s[24:25], 1.0
	v_cmp_neq_f64_e64 s[40:41], s[26:27], 0
	v_mul_lo_u32 v3, s50, v1
	v_rcp_iflag_f32_e32 v5, v5
	s_or_b64 s[40:41], s[0:1], s[40:41]
	s_mul_i32 s0, s12, s11
	v_mul_hi_u32 v3, v1, v3
	s_mul_i32 s55, s0, s10
	v_mul_f32_e32 v2, 0x4f7ffffe, v2
	v_add_u32_e32 v1, v1, v3
	v_rcp_iflag_f32_e32 v3, v9
	s_ashr_i32 s69, s43, 31
	s_mul_i32 s1, s55, s49
	s_mul_hi_u32 s43, s55, s48
	v_cvt_u32_f32_e32 v2, v2
	v_mul_f32_e32 v4, 0x4f7ffffe, v4
	s_add_i32 s43, s43, s1
	s_mul_hi_i32 s1, s12, s11
	s_mul_i32 s2, s0, s2
	s_mul_hi_u32 s49, s0, s10
	v_cvt_u32_f32_e32 v4, v4
	v_mul_f32_e32 v5, 0x4f7ffffe, v5
	s_add_i32 s2, s49, s2
	s_mul_i32 s49, s1, s10
	v_cvt_u32_f32_e32 v5, v5
	s_sub_i32 s52, 0, s68
	s_add_i32 s56, s2, s49
	v_mul_f32_e32 v3, 0x4f7ffffe, v3
	s_sub_i32 s53, 0, s70
	s_mul_i32 s2, s56, s48
	v_mul_lo_u32 v6, s52, v2
	v_cvt_u32_f32_e32 v3, v3
	s_sub_i32 s54, 0, s71
	s_add_i32 s49, s43, s2
	s_mul_i32 s48, s55, s48
	v_mul_lo_u32 v7, s53, v4
	v_mul_hi_u32 v6, v2, v6
	s_ashr_i32 s65, s64, 31
	s_ashr_i32 s51, s45, 31
	s_ashr_i32 s72, s42, 31
	s_lshl_b64 s[42:43], s[48:49], 2
	s_sub_i32 s48, 0, s73
	v_mul_lo_u32 v8, s54, v5
	v_add_u32_e32 v20, v2, v6
	v_mul_hi_u32 v2, v4, v7
	s_add_u32 s42, s46, s42
	s_mov_b32 s74, s4
	s_mul_hi_u32 s2, s55, s45
	s_mul_i32 s4, s55, s51
	v_add_u32_e32 v21, v4, v2
	v_mul_hi_u32 v2, v5, v8
	s_addc_u32 s43, s47, s43
	s_add_i32 s4, s2, s4
	s_mul_i32 s56, s56, s45
	v_add_u32_e32 v22, v5, v2
	v_mul_lo_u32 v2, s48, v3
	s_mov_b32 s77, s30
	s_mov_b32 s78, s31
	;; [unrolled: 1-line block ×3, first 2 shown]
	s_add_i32 s31, s4, s56
	s_mul_i32 s30, s55, s45
	v_mul_hi_u32 v2, v3, v2
	s_mov_b32 s75, s44
	s_mov_b32 s76, s5
	s_mov_b64 s[4:5], 0
	v_add_u32_e32 v23, v3, v2
	s_lshl_b64 s[30:31], s[30:31], 2
	s_lshl_b64 s[44:45], s[0:1], 2
	;; [unrolled: 1-line block ×3, first 2 shown]
	s_sub_i32 s29, 0, s29
	v_mov_b32_e32 v3, 0
	s_branch .LBB100_3
.LBB100_2:                              ;   in Loop: Header=BB100_3 Depth=1
	v_add_u32_e32 v0, s66, v0
	v_cmp_le_i32_e32 vcc, s33, v0
	v_cvt_f32_f64_e32 v2, v[8:9]
	s_or_b64 s[4:5], vcc, s[4:5]
	global_store_dword v[4:5], v2, off
	s_andn2_b64 exec, exec, s[4:5]
	s_cbranch_execz .LBB100_21
.LBB100_3:                              ; =>This Loop Header: Depth=1
                                        ;     Child Loop BB100_8 Depth 2
                                        ;       Child Loop BB100_11 Depth 3
                                        ;         Child Loop BB100_14 Depth 4
                                        ;           Child Loop BB100_17 Depth 5
	v_sub_u32_e32 v5, 0, v0
	v_max_i32_e32 v6, v0, v5
	v_mul_hi_u32 v5, v6, v1
	v_mul_lo_u32 v7, v5, s67
	v_sub_u32_e32 v7, v6, v7
	v_add_u32_e32 v8, 1, v5
	v_cmp_le_u32_e32 vcc, s67, v7
	v_ashrrev_i32_e32 v4, 31, v0
	v_xor_b32_e32 v2, s63, v4
	v_cndmask_b32_e32 v5, v5, v8, vcc
	v_subrev_u32_e32 v8, s67, v7
	v_cndmask_b32_e32 v7, v7, v8, vcc
	v_add_u32_e32 v8, 1, v5
	v_cmp_le_u32_e32 vcc, s67, v7
	s_mov_b64 s[50:51], -1
                                        ; implicit-def: $sgpr48_sgpr49
	s_nop 0
	v_cndmask_b32_e32 v5, v5, v8, vcc
	v_xor_b32_e32 v5, v5, v2
	v_sub_u32_e32 v2, v5, v2
	v_sub_u32_e32 v5, 0, v2
	v_max_i32_e32 v5, v2, v5
	v_mul_hi_u32 v7, v5, v20
	v_mul_lo_u32 v7, v7, s68
	v_mul_hi_u32 v8, v6, v21
	v_sub_u32_e32 v5, v5, v7
	v_mul_lo_u32 v9, v8, s70
	v_subrev_u32_e32 v7, s68, v5
	v_cmp_le_u32_e32 vcc, s68, v5
	v_sub_u32_e32 v9, v6, v9
	v_add_u32_e32 v10, 1, v8
	v_cndmask_b32_e32 v5, v5, v7, vcc
	v_cmp_le_u32_e32 vcc, s70, v9
	v_xor_b32_e32 v7, s69, v4
	v_xor_b32_e32 v4, s72, v4
	v_cndmask_b32_e32 v8, v8, v10, vcc
	v_subrev_u32_e32 v10, s70, v9
	v_cndmask_b32_e32 v9, v9, v10, vcc
	v_add_u32_e32 v10, 1, v8
	v_cmp_le_u32_e32 vcc, s70, v9
	v_cmp_le_u32_e64 s[0:1], s68, v5
	s_nop 0
	v_cndmask_b32_e32 v8, v8, v10, vcc
	v_xor_b32_e32 v8, v8, v7
	v_sub_u32_e32 v8, v8, v7
	v_sub_u32_e32 v7, 0, v8
	v_max_i32_e32 v7, v8, v7
	v_mul_hi_u32 v9, v7, v22
	v_mul_lo_u32 v9, v9, s71
	v_sub_u32_e32 v7, v7, v9
	v_subrev_u32_e32 v9, s71, v7
	v_cmp_le_u32_e32 vcc, s71, v7
	s_nop 1
	v_cndmask_b32_e32 v9, v7, v9, vcc
	v_mul_hi_u32 v7, v6, v23
	v_mul_lo_u32 v10, v7, s73
	v_sub_u32_e32 v6, v6, v10
	v_add_u32_e32 v10, 1, v7
	v_cmp_le_u32_e32 vcc, s73, v6
	v_cmp_le_u32_e64 s[2:3], s71, v9
	s_nop 0
	v_cndmask_b32_e32 v7, v7, v10, vcc
	v_subrev_u32_e32 v10, s73, v6
	v_cndmask_b32_e32 v6, v6, v10, vcc
	v_add_u32_e32 v10, 1, v7
	v_cmp_le_u32_e32 vcc, s73, v6
	s_nop 1
	v_cndmask_b32_e32 v6, v7, v10, vcc
	v_xor_b32_e32 v6, v6, v4
	v_sub_u32_e32 v6, v6, v4
	s_andn2_b64 vcc, exec, s[8:9]
	s_cbranch_vccnz .LBB100_5
; %bb.4:                                ;   in Loop: Header=BB100_3 Depth=1
	v_ashrrev_i32_e32 v7, 31, v6
	s_mov_b64 s[50:51], 0
	s_mov_b64 s[48:49], 0
.LBB100_5:                              ;   in Loop: Header=BB100_3 Depth=1
	v_subrev_u32_e32 v10, s68, v5
	v_mul_lo_u32 v4, v2, s75
	v_ashrrev_i32_e32 v2, 31, v2
	v_cndmask_b32_e64 v5, v5, v10, s[0:1]
	v_xor_b32_e32 v5, v5, v2
	v_sub_u32_e32 v10, v5, v2
	v_subrev_u32_e32 v5, s71, v9
	v_ashrrev_i32_e32 v2, 31, v8
	v_cndmask_b32_e64 v5, v9, v5, s[2:3]
	v_xor_b32_e32 v5, v5, v2
	v_sub_u32_e32 v4, v0, v4
	v_sub_u32_e32 v12, v5, v2
	s_andn2_b64 vcc, exec, s[50:51]
	v_mov_b64_e32 v[8:9], s[48:49]
	s_cbranch_vccnz .LBB100_19
; %bb.6:                                ;   in Loop: Header=BB100_3 Depth=1
	v_mul_lo_u32 v2, v4, s18
	v_mul_lo_u32 v5, v12, s16
	;; [unrolled: 1-line block ×3, first 2 shown]
	v_ashrrev_i32_e32 v7, 31, v6
	v_add_u32_e32 v13, s29, v2
	s_mov_b32 s79, 0
	v_mov_b64_e32 v[8:9], 0
	s_mov_b64 s[2:3], s[42:43]
	s_branch .LBB100_8
.LBB100_7:                              ;   in Loop: Header=BB100_8 Depth=2
	s_add_i32 s79, s79, 1
	s_add_u32 s2, s2, s30
	s_addc_u32 s3, s3, s31
	s_cmp_eq_u32 s79, s7
	s_cbranch_scc1 .LBB100_19
.LBB100_8:                              ;   Parent Loop BB100_3 Depth=1
                                        ; =>  This Loop Header: Depth=2
                                        ;       Child Loop BB100_11 Depth 3
                                        ;         Child Loop BB100_14 Depth 4
                                        ;           Child Loop BB100_17 Depth 5
	s_andn2_b64 vcc, exec, s[34:35]
	s_cbranch_vccnz .LBB100_7
; %bb.9:                                ;   in Loop: Header=BB100_8 Depth=2
	v_mov_b32_e32 v2, s64
	v_mad_u64_u32 v[14:15], s[0:1], s79, v2, v[6:7]
	s_mul_i32 s0, s79, s65
	s_nop 0
	v_add_u32_e32 v2, s0, v15
	v_mul_lo_u32 v16, v14, s58
	v_mul_lo_u32 v2, v2, s74
	v_mad_u64_u32 v[14:15], s[0:1], v14, s74, 0
	v_add3_u32 v15, v15, v16, v2
	s_mov_b32 s80, 0
	s_mov_b64 s[48:49], s[2:3]
	s_branch .LBB100_11
.LBB100_10:                             ;   in Loop: Header=BB100_11 Depth=3
	s_add_i32 s80, s80, 1
	s_add_u32 s48, s48, s44
	s_addc_u32 s49, s49, s45
	s_cmp_eq_u32 s80, s10
	s_cbranch_scc1 .LBB100_7
.LBB100_11:                             ;   Parent Loop BB100_3 Depth=1
                                        ;     Parent Loop BB100_8 Depth=2
                                        ; =>    This Loop Header: Depth=3
                                        ;         Child Loop BB100_14 Depth 4
                                        ;           Child Loop BB100_17 Depth 5
	s_andn2_b64 vcc, exec, s[36:37]
	s_cbranch_vccnz .LBB100_10
; %bb.12:                               ;   in Loop: Header=BB100_11 Depth=3
	s_mul_i32 s0, s80, s13
	s_sub_i32 s0, s0, s19
	v_add_u32_e32 v2, s0, v5
	v_cmp_gt_i32_e32 vcc, 0, v2
	v_cmp_le_i32_e64 s[0:1], s74, v2
	v_lshl_add_u64 v[16:17], v[14:15], 0, v[2:3]
	s_or_b64 s[50:51], vcc, s[0:1]
	v_mul_lo_u32 v2, v17, s76
	v_mul_lo_u32 v18, v16, s59
	v_mad_u64_u32 v[16:17], s[0:1], v16, s76, 0
	s_mov_b32 s81, 0
	v_add3_u32 v17, v17, v18, v2
	s_mov_b64 s[52:53], s[48:49]
	s_branch .LBB100_14
.LBB100_13:                             ;   in Loop: Header=BB100_14 Depth=4
	s_add_i32 s81, s81, 1
	s_add_u32 s52, s52, s46
	s_addc_u32 s53, s53, s47
	s_cmp_eq_u32 s81, s11
	s_cbranch_scc1 .LBB100_10
.LBB100_14:                             ;   Parent Loop BB100_3 Depth=1
                                        ;     Parent Loop BB100_8 Depth=2
                                        ;       Parent Loop BB100_11 Depth=3
                                        ; =>      This Loop Header: Depth=4
                                        ;           Child Loop BB100_17 Depth 5
	s_andn2_b64 vcc, exec, s[38:39]
	s_cbranch_vccnz .LBB100_13
; %bb.15:                               ;   in Loop: Header=BB100_14 Depth=4
	s_mul_i32 s0, s81, s14
	s_sub_i32 s0, s0, s28
	v_add_u32_e32 v2, s0, v11
	v_cmp_gt_i32_e32 vcc, 0, v2
	v_cmp_le_i32_e64 s[0:1], s76, v2
	s_or_b64 s[0:1], vcc, s[0:1]
	v_lshl_add_u64 v[18:19], v[16:17], 0, v[2:3]
	s_or_b64 s[54:55], s[50:51], s[0:1]
	v_mul_lo_u32 v2, v19, s6
	v_mul_lo_u32 v24, v18, s60
	v_mad_u64_u32 v[18:19], s[0:1], v18, s6, 0
	v_add3_u32 v19, v19, v24, v2
	v_lshl_add_u64 v[18:19], v[18:19], 2, s[20:21]
	v_mov_b32_e32 v2, v13
	s_mov_b64 s[56:57], s[52:53]
	s_mov_b32 s82, s12
	s_branch .LBB100_17
.LBB100_16:                             ;   in Loop: Header=BB100_17 Depth=5
	s_or_b64 exec, exec, s[0:1]
	s_add_i32 s82, s82, -1
	s_add_u32 s56, s56, 4
	s_addc_u32 s57, s57, 0
	s_cmp_eq_u32 s82, 0
	v_add_u32_e32 v2, s15, v2
	s_cbranch_scc1 .LBB100_13
.LBB100_17:                             ;   Parent Loop BB100_3 Depth=1
                                        ;     Parent Loop BB100_8 Depth=2
                                        ;       Parent Loop BB100_11 Depth=3
                                        ;         Parent Loop BB100_14 Depth=4
                                        ; =>        This Inner Loop Header: Depth=5
	v_cmp_gt_i32_e32 vcc, 0, v2
	v_cmp_le_i32_e64 s[0:1], s6, v2
	s_or_b64 s[0:1], vcc, s[0:1]
	s_or_b64 s[0:1], s[54:55], s[0:1]
	s_xor_b64 s[84:85], s[0:1], -1
	s_and_saveexec_b64 s[0:1], s[84:85]
	s_cbranch_execz .LBB100_16
; %bb.18:                               ;   in Loop: Header=BB100_17 Depth=5
	v_lshl_add_u64 v[24:25], v[2:3], 2, v[18:19]
	global_load_dword v24, v[24:25], off
	s_load_dword s83, s[56:57], 0x0
	s_waitcnt lgkmcnt(0)
	v_cvt_f64_f32_e32 v[26:27], s83
	s_waitcnt vmcnt(0)
	v_cvt_f64_f32_e32 v[24:25], v24
	v_fmac_f64_e32 v[8:9], v[24:25], v[26:27]
	s_branch .LBB100_16
.LBB100_19:                             ;   in Loop: Header=BB100_3 Depth=1
	v_ashrrev_i32_e32 v13, 31, v12
	v_mul_lo_u32 v2, v6, s61
	v_mul_lo_u32 v5, v7, s77
	v_mad_u64_u32 v[6:7], s[0:1], v6, s77, v[12:13]
	v_add3_u32 v2, v5, v7, v2
	v_ashrrev_i32_e32 v11, 31, v10
	v_mul_lo_u32 v2, v2, s78
	v_mad_u64_u32 v[10:11], s[0:1], v6, s78, v[10:11]
	v_mul_lo_u32 v5, v6, s62
	v_add3_u32 v2, v2, v11, v5
	v_mul_lo_u32 v2, v2, s75
	v_mul_lo_u32 v5, v10, s63
	v_mad_u64_u32 v[6:7], s[0:1], v10, s75, 0
	v_add3_u32 v7, v7, v5, v2
	v_ashrrev_i32_e32 v5, 31, v4
	v_lshl_add_u64 v[6:7], v[6:7], 2, s[22:23]
	s_andn2_b64 vcc, exec, s[40:41]
	v_lshl_add_u64 v[4:5], v[4:5], 2, v[6:7]
	s_cbranch_vccnz .LBB100_2
; %bb.20:                               ;   in Loop: Header=BB100_3 Depth=1
	global_load_dword v2, v[4:5], off
	s_waitcnt vmcnt(0)
	v_cvt_f64_f32_e32 v[6:7], v2
	v_mul_f64 v[6:7], v[6:7], s[26:27]
	v_fmac_f64_e32 v[6:7], s[24:25], v[8:9]
	v_mov_b64_e32 v[8:9], v[6:7]
	s_branch .LBB100_2
.LBB100_21:
	s_endpgm
	.section	.rodata,"a",@progbits
	.p2align	6, 0x0
	.amdhsa_kernel naive_conv_ab_packed_wrw_ncdhw_float_double_float_0
		.amdhsa_group_segment_fixed_size 0
		.amdhsa_private_segment_fixed_size 0
		.amdhsa_kernarg_size 528
		.amdhsa_user_sgpr_count 2
		.amdhsa_user_sgpr_dispatch_ptr 0
		.amdhsa_user_sgpr_queue_ptr 0
		.amdhsa_user_sgpr_kernarg_segment_ptr 1
		.amdhsa_user_sgpr_dispatch_id 0
		.amdhsa_user_sgpr_kernarg_preload_length 0
		.amdhsa_user_sgpr_kernarg_preload_offset 0
		.amdhsa_user_sgpr_private_segment_size 0
		.amdhsa_uses_dynamic_stack 0
		.amdhsa_enable_private_segment 0
		.amdhsa_system_sgpr_workgroup_id_x 1
		.amdhsa_system_sgpr_workgroup_id_y 0
		.amdhsa_system_sgpr_workgroup_id_z 0
		.amdhsa_system_sgpr_workgroup_info 0
		.amdhsa_system_vgpr_workitem_id 0
		.amdhsa_next_free_vgpr 28
		.amdhsa_next_free_sgpr 86
		.amdhsa_accum_offset 28
		.amdhsa_reserve_vcc 1
		.amdhsa_float_round_mode_32 0
		.amdhsa_float_round_mode_16_64 0
		.amdhsa_float_denorm_mode_32 3
		.amdhsa_float_denorm_mode_16_64 3
		.amdhsa_dx10_clamp 1
		.amdhsa_ieee_mode 1
		.amdhsa_fp16_overflow 0
		.amdhsa_tg_split 0
		.amdhsa_exception_fp_ieee_invalid_op 0
		.amdhsa_exception_fp_denorm_src 0
		.amdhsa_exception_fp_ieee_div_zero 0
		.amdhsa_exception_fp_ieee_overflow 0
		.amdhsa_exception_fp_ieee_underflow 0
		.amdhsa_exception_fp_ieee_inexact 0
		.amdhsa_exception_int_div_zero 0
	.end_amdhsa_kernel
	.text
.Lfunc_end100:
	.size	naive_conv_ab_packed_wrw_ncdhw_float_double_float_0, .Lfunc_end100-naive_conv_ab_packed_wrw_ncdhw_float_double_float_0
                                        ; -- End function
	.section	.AMDGPU.csdata,"",@progbits
; Kernel info:
; codeLenInByte = 2020
; NumSgprs: 92
; NumVgprs: 28
; NumAgprs: 0
; TotalNumVgprs: 28
; ScratchSize: 0
; MemoryBound: 0
; FloatMode: 240
; IeeeMode: 1
; LDSByteSize: 0 bytes/workgroup (compile time only)
; SGPRBlocks: 11
; VGPRBlocks: 3
; NumSGPRsForWavesPerEU: 92
; NumVGPRsForWavesPerEU: 28
; AccumOffset: 28
; Occupancy: 8
; WaveLimiterHint : 0
; COMPUTE_PGM_RSRC2:SCRATCH_EN: 0
; COMPUTE_PGM_RSRC2:USER_SGPR: 2
; COMPUTE_PGM_RSRC2:TRAP_HANDLER: 0
; COMPUTE_PGM_RSRC2:TGID_X_EN: 1
; COMPUTE_PGM_RSRC2:TGID_Y_EN: 0
; COMPUTE_PGM_RSRC2:TGID_Z_EN: 0
; COMPUTE_PGM_RSRC2:TIDIG_COMP_CNT: 0
; COMPUTE_PGM_RSRC3_GFX90A:ACCUM_OFFSET: 6
; COMPUTE_PGM_RSRC3_GFX90A:TG_SPLIT: 0
	.text
	.protected	naive_conv_ab_nonpacked_wrw_ncdhw_float_double_float_0 ; -- Begin function naive_conv_ab_nonpacked_wrw_ncdhw_float_double_float_0
	.globl	naive_conv_ab_nonpacked_wrw_ncdhw_float_double_float_0
	.p2align	8
	.type	naive_conv_ab_nonpacked_wrw_ncdhw_float_double_float_0,@function
naive_conv_ab_nonpacked_wrw_ncdhw_float_double_float_0: ; @naive_conv_ab_nonpacked_wrw_ncdhw_float_double_float_0
; %bb.0:
	s_load_dwordx16 s[4:19], s[0:1], 0xb8
	s_load_dword s33, s[0:1], 0x108
	s_load_dwordx4 s[28:31], s[0:1], 0xf8
	s_waitcnt lgkmcnt(0)
	s_abs_i32 s34, s8
	v_cvt_f32_u32_e32 v1, s34
	s_mul_i32 s70, s33, s31
	s_mul_i32 s3, s70, s30
	;; [unrolled: 1-line block ×3, first 2 shown]
	v_rcp_iflag_f32_e32 v1, v1
	v_cmp_gt_i32_e32 vcc, s80, v0
	v_mul_f32_e32 v1, 0x4f7ffffe, v1
	v_cvt_u32_f32_e32 v1, v1
	s_nop 0
	v_readfirstlane_b32 s9, v1
	s_and_saveexec_b64 s[20:21], vcc
	s_cbranch_execz .LBB101_21
; %bb.1:
	s_sub_i32 s36, 0, s34
	s_mul_i32 s36, s36, s9
	s_mul_hi_u32 s36, s9, s36
	s_abs_i32 s69, s2
	s_add_i32 s9, s9, s36
	s_ashr_i32 s35, s2, 31
	s_ashr_i32 s68, s8, 31
	s_mul_hi_u32 s9, s69, s9
	s_xor_b32 s35, s35, s68
	s_mul_i32 s68, s9, s34
	s_sub_i32 s68, s69, s68
	s_add_i32 s69, s9, 1
	s_sub_i32 s71, s68, s34
	s_cmp_ge_u32 s68, s34
	s_cselect_b32 s9, s69, s9
	s_cselect_b32 s68, s71, s68
	s_add_i32 s69, s9, 1
	s_cmp_ge_u32 s68, s34
	s_load_dwordx16 s[36:51], s[0:1], 0x28
	s_load_dwordx16 s[52:67], s[0:1], 0x68
	s_cselect_b32 s9, s69, s9
	s_xor_b32 s9, s9, s35
	s_sub_i32 s68, s9, s35
	s_load_dwordx8 s[20:27], s[0:1], 0x0
	s_mul_i32 s8, s68, s8
	s_ashr_i32 s69, s68, 31
	s_sub_i32 s2, s2, s8
	s_waitcnt lgkmcnt(0)
	s_mul_i32 s8, s44, s69
	s_mul_hi_u32 s9, s44, s68
	s_add_i32 s8, s9, s8
	s_mul_i32 s9, s45, s68
	s_add_i32 s9, s8, s9
	s_mul_i32 s8, s44, s68
	s_lshl_b64 s[8:9], s[8:9], 2
	s_add_u32 s8, s20, s8
	s_addc_u32 s9, s21, s9
	s_mul_i32 s20, s58, s69
	s_mul_hi_u32 s21, s58, s68
	s_ashr_i32 s44, s2, 31
	s_add_i32 s20, s21, s20
	s_mul_i32 s21, s59, s68
	s_mul_i32 s34, s56, s44
	s_mul_hi_u32 s35, s56, s2
	s_add_i32 s21, s20, s21
	s_mul_i32 s20, s58, s68
	s_add_i32 s34, s35, s34
	s_mul_i32 s35, s57, s2
	s_add_i32 s35, s34, s35
	s_lshl_b64 s[20:21], s[20:21], 2
	s_mul_i32 s34, s56, s2
	s_add_u32 s22, s22, s20
	s_addc_u32 s23, s23, s21
	s_lshl_b64 s[20:21], s[34:35], 2
	s_add_u32 s34, s22, s20
	s_addc_u32 s35, s23, s21
	s_load_dword s71, s[0:1], 0x11c
	s_load_dwordx4 s[20:23], s[0:1], 0xa8
	s_mul_i32 s44, s66, s44
	s_load_dwordx2 s[0:1], s[0:1], 0x20
	s_waitcnt lgkmcnt(0)
	s_mul_i32 s45, s20, s69
	s_mul_hi_u32 s56, s20, s68
	s_add_i32 s45, s56, s45
	s_mul_i32 s21, s21, s68
	s_add_i32 s21, s45, s21
	s_mul_hi_u32 s45, s66, s2
	s_mul_i32 s20, s20, s68
	s_add_i32 s44, s45, s44
	s_mul_i32 s45, s67, s2
	s_add_i32 s45, s44, s45
	s_lshl_b64 s[20:21], s[20:21], 2
	s_add_u32 s20, s0, s20
	s_mul_i32 s44, s66, s2
	s_addc_u32 s21, s1, s21
	s_lshl_b64 s[0:1], s[44:45], 2
	s_add_u32 s20, s20, s0
	s_addc_u32 s21, s21, s1
	s_cmp_lt_i32 s7, 1
	s_cselect_b64 s[44:45], -1, 0
	s_cmp_gt_i32 s10, 0
	s_cselect_b64 s[56:57], -1, 0
	s_cmp_gt_i32 s11, 0
	;; [unrolled: 2-line block ×3, first 2 shown]
	s_cselect_b64 s[66:67], -1, 0
	s_abs_i32 s81, s33
	v_cvt_f32_u32_e32 v1, s81
	s_abs_i32 s82, s31
	v_cvt_f32_u32_e32 v3, s82
	;; [unrolled: 2-line block ×4, first 2 shown]
	s_abs_i32 s85, s3
	v_rcp_iflag_f32_e32 v1, v1
	v_cvt_f32_u32_e32 v9, s85
	v_rcp_iflag_f32_e32 v3, v3
	v_rcp_iflag_f32_e32 v5, v5
	;; [unrolled: 1-line block ×3, first 2 shown]
	v_mul_f32_e32 v1, 0x4f7ffffe, v1
	v_rcp_iflag_f32_e32 v9, v9
	v_cvt_u32_f32_e32 v1, v1
	v_mul_f32_e32 v3, 0x4f7ffffe, v3
	v_cvt_u32_f32_e32 v3, v3
	v_mul_f32_e32 v5, 0x4f7ffffe, v5
	v_cmp_neq_f64_e64 s[0:1], s[24:25], 1.0
	v_cmp_neq_f64_e64 s[68:69], s[26:27], 0
	v_cvt_u32_f32_e32 v5, v5
	v_mul_f32_e32 v7, 0x4f7ffffe, v7
	s_or_b64 s[68:69], s[0:1], s[68:69]
	s_sub_i32 s0, 0, s81
	v_cvt_u32_f32_e32 v7, v7
	v_mul_f32_e32 v9, 0x4f7ffffe, v9
	v_mul_lo_u32 v2, s0, v1
	s_sub_i32 s0, 0, s82
	v_cvt_u32_f32_e32 v9, v9
	v_mul_lo_u32 v4, s0, v3
	s_sub_i32 s0, 0, s83
	v_mul_hi_u32 v2, v1, v2
	v_mul_lo_u32 v6, s0, v5
	s_sub_i32 s0, 0, s84
	v_add_u32_e32 v1, v1, v2
	v_mul_hi_u32 v2, v3, v4
	v_mul_lo_u32 v8, s0, v7
	s_sub_i32 s0, 0, s85
	v_add_u32_e32 v16, v3, v2
	v_mul_hi_u32 v2, v5, v6
	v_mul_lo_u32 v10, s0, v9
	v_add_u32_e32 v17, v5, v2
	v_mul_hi_u32 v2, v7, v8
	v_add_u32_e32 v18, v7, v2
	v_mul_hi_u32 v2, v9, v10
	s_lshl_b64 s[22:23], s[22:23], 2
	s_and_b32 s86, s71, 0xffff
	s_ashr_i32 s87, s70, 31
	s_ashr_i32 s88, s3, 31
	v_add_u32_e32 v19, v9, v2
	s_ashr_i32 s89, s33, 31
	s_sub_i32 s29, 0, s29
	s_mov_b64 s[30:31], 0
	s_lshl_b64 s[64:65], s[64:65], 2
	s_lshl_b64 s[62:63], s[62:63], 2
	;; [unrolled: 1-line block ×3, first 2 shown]
	s_branch .LBB101_3
.LBB101_2:                              ;   in Loop: Header=BB101_3 Depth=1
	v_add_u32_e32 v0, s86, v0
	v_cmp_le_i32_e32 vcc, s80, v0
	v_cvt_f32_f64_e32 v4, v[4:5]
	s_or_b64 s[30:31], vcc, s[30:31]
	global_store_dword v[2:3], v4, off
	s_andn2_b64 exec, exec, s[30:31]
	s_cbranch_execz .LBB101_21
.LBB101_3:                              ; =>This Loop Header: Depth=1
                                        ;     Child Loop BB101_8 Depth 2
                                        ;       Child Loop BB101_11 Depth 3
                                        ;         Child Loop BB101_14 Depth 4
                                        ;           Child Loop BB101_17 Depth 5
	v_sub_u32_e32 v4, 0, v0
	v_max_i32_e32 v6, v0, v4
	v_mul_hi_u32 v4, v6, v1
	v_mul_lo_u32 v5, v4, s81
	v_sub_u32_e32 v5, v6, v5
	v_add_u32_e32 v7, 1, v4
	v_cmp_le_u32_e32 vcc, s81, v5
	v_ashrrev_i32_e32 v2, 31, v0
	v_xor_b32_e32 v3, s89, v2
	v_cndmask_b32_e32 v4, v4, v7, vcc
	v_subrev_u32_e32 v7, s81, v5
	v_cndmask_b32_e32 v5, v5, v7, vcc
	v_add_u32_e32 v7, 1, v4
	v_cmp_le_u32_e32 vcc, s81, v5
	s_mov_b64 s[72:73], -1
                                        ; implicit-def: $sgpr70_sgpr71
	s_nop 0
	v_cndmask_b32_e32 v4, v4, v7, vcc
	v_xor_b32_e32 v4, v4, v3
	v_sub_u32_e32 v4, v4, v3
	v_sub_u32_e32 v3, 0, v4
	v_max_i32_e32 v3, v4, v3
	v_mul_hi_u32 v5, v3, v16
	v_mul_lo_u32 v5, v5, s82
	v_mul_hi_u32 v7, v6, v17
	v_sub_u32_e32 v3, v3, v5
	v_mul_lo_u32 v8, v7, s83
	v_subrev_u32_e32 v5, s82, v3
	v_cmp_le_u32_e32 vcc, s82, v3
	v_sub_u32_e32 v8, v6, v8
	v_add_u32_e32 v9, 1, v7
	v_cndmask_b32_e32 v5, v3, v5, vcc
	v_cmp_le_u32_e32 vcc, s83, v8
	v_xor_b32_e32 v3, s87, v2
	v_xor_b32_e32 v2, s88, v2
	v_cndmask_b32_e32 v7, v7, v9, vcc
	v_subrev_u32_e32 v9, s83, v8
	v_cndmask_b32_e32 v8, v8, v9, vcc
	v_add_u32_e32 v9, 1, v7
	v_cmp_le_u32_e32 vcc, s83, v8
	v_cmp_le_u32_e64 s[0:1], s82, v5
	s_nop 0
	v_cndmask_b32_e32 v7, v7, v9, vcc
	v_xor_b32_e32 v7, v7, v3
	v_sub_u32_e32 v8, v7, v3
	v_sub_u32_e32 v3, 0, v8
	v_max_i32_e32 v3, v8, v3
	v_mul_hi_u32 v7, v3, v18
	v_mul_lo_u32 v7, v7, s84
	v_sub_u32_e32 v3, v3, v7
	v_subrev_u32_e32 v7, s84, v3
	v_cmp_le_u32_e32 vcc, s84, v3
	s_nop 1
	v_cndmask_b32_e32 v9, v3, v7, vcc
	v_mul_hi_u32 v3, v6, v19
	v_mul_lo_u32 v7, v3, s85
	v_sub_u32_e32 v6, v6, v7
	v_add_u32_e32 v7, 1, v3
	v_cmp_le_u32_e32 vcc, s85, v6
	v_cmp_le_u32_e64 s[2:3], s84, v9
	s_nop 0
	v_cndmask_b32_e32 v3, v3, v7, vcc
	v_subrev_u32_e32 v7, s85, v6
	v_cndmask_b32_e32 v6, v6, v7, vcc
	v_add_u32_e32 v7, 1, v3
	v_cmp_le_u32_e32 vcc, s85, v6
	s_nop 1
	v_cndmask_b32_e32 v3, v3, v7, vcc
	v_xor_b32_e32 v3, v3, v2
	v_sub_u32_e32 v2, v3, v2
	s_andn2_b64 vcc, exec, s[44:45]
                                        ; implicit-def: $vgpr6_vgpr7
	s_cbranch_vccnz .LBB101_5
; %bb.4:                                ;   in Loop: Header=BB101_3 Depth=1
	v_ashrrev_i32_e32 v7, 31, v2
	s_mov_b64 s[72:73], 0
	s_mov_b64 s[70:71], 0
.LBB101_5:                              ;   in Loop: Header=BB101_3 Depth=1
	v_subrev_u32_e32 v6, s82, v5
	v_mul_lo_u32 v3, v4, s33
	v_ashrrev_i32_e32 v4, 31, v4
	v_cndmask_b32_e64 v5, v5, v6, s[0:1]
	v_xor_b32_e32 v5, v5, v4
	v_sub_u32_e32 v6, v5, v4
	v_subrev_u32_e32 v5, s84, v9
	v_ashrrev_i32_e32 v4, 31, v8
	v_cndmask_b32_e64 v5, v9, v5, s[2:3]
	v_xor_b32_e32 v5, v5, v4
	v_sub_u32_e32 v3, v0, v3
	v_sub_u32_e32 v20, v5, v4
	s_andn2_b64 vcc, exec, s[72:73]
	v_mov_b64_e32 v[4:5], s[70:71]
	s_cbranch_vccnz .LBB101_19
; %bb.6:                                ;   in Loop: Header=BB101_3 Depth=1
	v_ashrrev_i32_e32 v7, 31, v2
	v_mul_lo_u32 v8, s43, v2
	v_mul_lo_u32 v9, s42, v7
	v_mad_u64_u32 v[4:5], s[0:1], s42, v2, 0
	v_mul_lo_u32 v10, v3, s18
	v_add3_u32 v5, v5, v9, v8
	v_mul_lo_u32 v21, v20, s16
	v_mul_lo_u32 v22, v6, s17
	v_lshl_add_u64 v[8:9], v[4:5], 2, s[8:9]
	v_add_u32_e32 v23, s29, v10
	s_mov_b32 s90, 0
	v_mov_b64_e32 v[4:5], 0
	s_mov_b64 s[2:3], s[20:21]
	s_branch .LBB101_8
.LBB101_7:                              ;   in Loop: Header=BB101_8 Depth=2
	s_add_i32 s90, s90, 1
	s_add_u32 s2, s2, s22
	s_addc_u32 s3, s3, s23
	s_cmp_eq_u32 s90, s7
	s_cbranch_scc1 .LBB101_19
.LBB101_8:                              ;   Parent Loop BB101_3 Depth=1
                                        ; =>  This Loop Header: Depth=2
                                        ;       Child Loop BB101_11 Depth 3
                                        ;         Child Loop BB101_14 Depth 4
                                        ;           Child Loop BB101_17 Depth 5
	s_andn2_b64 vcc, exec, s[56:57]
	s_cbranch_vccnz .LBB101_7
; %bb.9:                                ;   in Loop: Header=BB101_8 Depth=2
	s_mul_i32 s0, s47, s90
	s_mul_hi_u32 s1, s46, s90
	s_add_i32 s1, s1, s0
	s_mul_i32 s0, s46, s90
	v_lshl_add_u64 v[10:11], s[0:1], 2, v[8:9]
	s_mov_b32 s91, 0
	s_mov_b64 s[70:71], s[2:3]
	s_branch .LBB101_11
.LBB101_10:                             ;   in Loop: Header=BB101_11 Depth=3
	s_add_i32 s91, s91, 1
	s_add_u32 s70, s70, s64
	s_addc_u32 s71, s71, s65
	s_cmp_eq_u32 s91, s10
	s_cbranch_scc1 .LBB101_7
.LBB101_11:                             ;   Parent Loop BB101_3 Depth=1
                                        ;     Parent Loop BB101_8 Depth=2
                                        ; =>    This Loop Header: Depth=3
                                        ;         Child Loop BB101_14 Depth 4
                                        ;           Child Loop BB101_17 Depth 5
	s_andn2_b64 vcc, exec, s[58:59]
	s_cbranch_vccnz .LBB101_10
; %bb.12:                               ;   in Loop: Header=BB101_11 Depth=3
	s_mul_i32 s0, s91, s13
	s_sub_i32 s0, s0, s19
	v_add_u32_e32 v15, s0, v21
	v_cmp_gt_i32_e32 vcc, 0, v15
	v_cmp_le_i32_e64 s[0:1], s4, v15
	s_or_b64 s[72:73], vcc, s[0:1]
	v_mad_u64_u32 v[12:13], s[0:1], s40, v15, 0
	v_mov_b32_e32 v14, v13
	v_mad_u64_u32 v[14:15], s[0:1], s41, v15, v[14:15]
	v_mov_b32_e32 v13, v14
	s_mov_b32 s92, 0
	v_lshl_add_u64 v[12:13], v[12:13], 2, v[10:11]
	s_mov_b64 s[74:75], s[70:71]
	s_branch .LBB101_14
.LBB101_13:                             ;   in Loop: Header=BB101_14 Depth=4
	s_add_i32 s92, s92, 1
	s_add_u32 s74, s74, s62
	s_addc_u32 s75, s75, s63
	s_cmp_eq_u32 s92, s11
	s_cbranch_scc1 .LBB101_10
.LBB101_14:                             ;   Parent Loop BB101_3 Depth=1
                                        ;     Parent Loop BB101_8 Depth=2
                                        ;       Parent Loop BB101_11 Depth=3
                                        ; =>      This Loop Header: Depth=4
                                        ;           Child Loop BB101_17 Depth 5
	s_andn2_b64 vcc, exec, s[66:67]
	s_cbranch_vccnz .LBB101_13
; %bb.15:                               ;   in Loop: Header=BB101_14 Depth=4
	s_mul_i32 s0, s92, s14
	s_sub_i32 s0, s0, s28
	v_add_u32_e32 v25, s0, v22
	v_cmp_gt_i32_e32 vcc, 0, v25
	v_cmp_le_i32_e64 s[0:1], s5, v25
	s_or_b64 s[0:1], vcc, s[0:1]
	s_or_b64 s[76:77], s[72:73], s[0:1]
	v_mad_u64_u32 v[14:15], s[0:1], s38, v25, 0
	v_mov_b32_e32 v24, v15
	v_mad_u64_u32 v[24:25], s[0:1], s39, v25, v[24:25]
	v_mov_b32_e32 v15, v24
	v_lshl_add_u64 v[14:15], v[14:15], 2, v[12:13]
	v_mov_b32_e32 v24, v23
	s_mov_b64 s[78:79], s[74:75]
	s_mov_b32 s93, s12
	s_branch .LBB101_17
.LBB101_16:                             ;   in Loop: Header=BB101_17 Depth=5
	s_or_b64 exec, exec, s[0:1]
	s_add_i32 s93, s93, -1
	s_add_u32 s78, s78, s60
	s_addc_u32 s79, s79, s61
	s_cmp_eq_u32 s93, 0
	v_add_u32_e32 v24, s15, v24
	s_cbranch_scc1 .LBB101_13
.LBB101_17:                             ;   Parent Loop BB101_3 Depth=1
                                        ;     Parent Loop BB101_8 Depth=2
                                        ;       Parent Loop BB101_11 Depth=3
                                        ;         Parent Loop BB101_14 Depth=4
                                        ; =>        This Inner Loop Header: Depth=5
	v_cmp_gt_i32_e32 vcc, 0, v24
	v_cmp_le_i32_e64 s[0:1], s6, v24
	s_or_b64 s[0:1], vcc, s[0:1]
	s_or_b64 s[0:1], s[76:77], s[0:1]
	s_xor_b64 s[94:95], s[0:1], -1
	s_and_saveexec_b64 s[0:1], s[94:95]
	s_cbranch_execz .LBB101_16
; %bb.18:                               ;   in Loop: Header=BB101_17 Depth=5
	v_mad_u64_u32 v[26:27], s[94:95], s36, v24, 0
	v_mov_b32_e32 v28, v27
	v_mad_u64_u32 v[28:29], s[94:95], s37, v24, v[28:29]
	v_mov_b32_e32 v27, v28
	v_lshl_add_u64 v[26:27], v[26:27], 2, v[14:15]
	global_load_dword v25, v[26:27], off
	s_load_dword s94, s[78:79], 0x0
	s_waitcnt lgkmcnt(0)
	v_cvt_f64_f32_e32 v[28:29], s94
	s_waitcnt vmcnt(0)
	v_cvt_f64_f32_e32 v[26:27], v25
	v_fmac_f64_e32 v[4:5], v[26:27], v[28:29]
	s_branch .LBB101_16
.LBB101_19:                             ;   in Loop: Header=BB101_3 Depth=1
	v_mul_lo_u32 v7, v7, s54
	v_mul_lo_u32 v10, v2, s55
	v_mad_u64_u32 v[8:9], s[0:1], v2, s54, 0
	v_ashrrev_i32_e32 v2, 31, v20
	v_add3_u32 v9, v9, v10, v7
	v_mul_lo_u32 v7, s53, v20
	v_mul_lo_u32 v2, s52, v2
	v_mad_u64_u32 v[10:11], s[0:1], s52, v20, 0
	v_add3_u32 v11, v11, v2, v7
	v_ashrrev_i32_e32 v2, 31, v6
	v_mul_lo_u32 v12, s51, v6
	v_mul_lo_u32 v2, s50, v2
	v_mad_u64_u32 v[6:7], s[0:1], s50, v6, 0
	v_add3_u32 v7, v7, v2, v12
	v_ashrrev_i32_e32 v2, 31, v3
	v_lshl_add_u64 v[8:9], v[8:9], 2, s[34:35]
	v_mul_lo_u32 v12, s49, v3
	v_mul_lo_u32 v13, s48, v2
	v_mad_u64_u32 v[2:3], s[0:1], s48, v3, 0
	v_lshl_add_u64 v[8:9], v[10:11], 2, v[8:9]
	v_add3_u32 v3, v3, v13, v12
	v_lshl_add_u64 v[6:7], v[6:7], 2, v[8:9]
	s_andn2_b64 vcc, exec, s[68:69]
	v_lshl_add_u64 v[2:3], v[2:3], 2, v[6:7]
	s_cbranch_vccnz .LBB101_2
; %bb.20:                               ;   in Loop: Header=BB101_3 Depth=1
	global_load_dword v6, v[2:3], off
	s_waitcnt vmcnt(0)
	v_cvt_f64_f32_e32 v[6:7], v6
	v_mul_f64 v[6:7], v[6:7], s[26:27]
	v_fmac_f64_e32 v[6:7], s[24:25], v[4:5]
	v_mov_b64_e32 v[4:5], v[6:7]
	s_branch .LBB101_2
.LBB101_21:
	s_endpgm
	.section	.rodata,"a",@progbits
	.p2align	6, 0x0
	.amdhsa_kernel naive_conv_ab_nonpacked_wrw_ncdhw_float_double_float_0
		.amdhsa_group_segment_fixed_size 0
		.amdhsa_private_segment_fixed_size 0
		.amdhsa_kernarg_size 528
		.amdhsa_user_sgpr_count 2
		.amdhsa_user_sgpr_dispatch_ptr 0
		.amdhsa_user_sgpr_queue_ptr 0
		.amdhsa_user_sgpr_kernarg_segment_ptr 1
		.amdhsa_user_sgpr_dispatch_id 0
		.amdhsa_user_sgpr_kernarg_preload_length 0
		.amdhsa_user_sgpr_kernarg_preload_offset 0
		.amdhsa_user_sgpr_private_segment_size 0
		.amdhsa_uses_dynamic_stack 0
		.amdhsa_enable_private_segment 0
		.amdhsa_system_sgpr_workgroup_id_x 1
		.amdhsa_system_sgpr_workgroup_id_y 0
		.amdhsa_system_sgpr_workgroup_id_z 0
		.amdhsa_system_sgpr_workgroup_info 0
		.amdhsa_system_vgpr_workitem_id 0
		.amdhsa_next_free_vgpr 30
		.amdhsa_next_free_sgpr 96
		.amdhsa_accum_offset 32
		.amdhsa_reserve_vcc 1
		.amdhsa_float_round_mode_32 0
		.amdhsa_float_round_mode_16_64 0
		.amdhsa_float_denorm_mode_32 3
		.amdhsa_float_denorm_mode_16_64 3
		.amdhsa_dx10_clamp 1
		.amdhsa_ieee_mode 1
		.amdhsa_fp16_overflow 0
		.amdhsa_tg_split 0
		.amdhsa_exception_fp_ieee_invalid_op 0
		.amdhsa_exception_fp_denorm_src 0
		.amdhsa_exception_fp_ieee_div_zero 0
		.amdhsa_exception_fp_ieee_overflow 0
		.amdhsa_exception_fp_ieee_underflow 0
		.amdhsa_exception_fp_ieee_inexact 0
		.amdhsa_exception_int_div_zero 0
	.end_amdhsa_kernel
	.text
.Lfunc_end101:
	.size	naive_conv_ab_nonpacked_wrw_ncdhw_float_double_float_0, .Lfunc_end101-naive_conv_ab_nonpacked_wrw_ncdhw_float_double_float_0
                                        ; -- End function
	.section	.AMDGPU.csdata,"",@progbits
; Kernel info:
; codeLenInByte = 1920
; NumSgprs: 102
; NumVgprs: 30
; NumAgprs: 0
; TotalNumVgprs: 30
; ScratchSize: 0
; MemoryBound: 0
; FloatMode: 240
; IeeeMode: 1
; LDSByteSize: 0 bytes/workgroup (compile time only)
; SGPRBlocks: 12
; VGPRBlocks: 3
; NumSGPRsForWavesPerEU: 102
; NumVGPRsForWavesPerEU: 30
; AccumOffset: 32
; Occupancy: 7
; WaveLimiterHint : 0
; COMPUTE_PGM_RSRC2:SCRATCH_EN: 0
; COMPUTE_PGM_RSRC2:USER_SGPR: 2
; COMPUTE_PGM_RSRC2:TRAP_HANDLER: 0
; COMPUTE_PGM_RSRC2:TGID_X_EN: 1
; COMPUTE_PGM_RSRC2:TGID_Y_EN: 0
; COMPUTE_PGM_RSRC2:TGID_Z_EN: 0
; COMPUTE_PGM_RSRC2:TIDIG_COMP_CNT: 0
; COMPUTE_PGM_RSRC3_GFX90A:ACCUM_OFFSET: 7
; COMPUTE_PGM_RSRC3_GFX90A:TG_SPLIT: 0
	.text
	.protected	naive_conv_ab_packed_wrw_ncdhw_float_double_float_1 ; -- Begin function naive_conv_ab_packed_wrw_ncdhw_float_double_float_1
	.globl	naive_conv_ab_packed_wrw_ncdhw_float_double_float_1
	.p2align	8
	.type	naive_conv_ab_packed_wrw_ncdhw_float_double_float_1,@function
naive_conv_ab_packed_wrw_ncdhw_float_double_float_1: ; @naive_conv_ab_packed_wrw_ncdhw_float_double_float_1
; %bb.0:
	s_load_dwordx16 s[4:19], s[0:1], 0xb8
	s_load_dwordx2 s[44:45], s[0:1], 0x108
	s_load_dwordx4 s[28:31], s[0:1], 0xf8
	s_waitcnt lgkmcnt(0)
	s_abs_i32 s3, s8
	v_cvt_f32_u32_e32 v1, s3
	s_mul_i32 s43, s44, s31
	s_mul_i32 s42, s43, s30
	;; [unrolled: 1-line block ×3, first 2 shown]
	v_rcp_iflag_f32_e32 v1, v1
	v_cmp_gt_i32_e32 vcc, s33, v0
	v_mul_f32_e32 v1, 0x4f7ffffe, v1
	v_cvt_u32_f32_e32 v1, v1
	s_nop 0
	v_readfirstlane_b32 s34, v1
	s_and_saveexec_b64 s[20:21], vcc
	s_cbranch_execz .LBB102_21
; %bb.1:
	s_sub_i32 s38, 0, s3
	s_mul_i32 s38, s38, s34
	s_mul_hi_u32 s38, s34, s38
	s_abs_i32 s37, s2
	s_add_i32 s34, s34, s38
	s_ashr_i32 s35, s2, 31
	s_ashr_i32 s36, s8, 31
	s_mul_hi_u32 s34, s37, s34
	s_xor_b32 s35, s35, s36
	s_mul_i32 s36, s34, s3
	s_sub_i32 s36, s37, s36
	s_add_i32 s37, s34, 1
	s_sub_i32 s38, s36, s3
	s_cmp_ge_u32 s36, s3
	s_cselect_b32 s34, s37, s34
	s_cselect_b32 s36, s38, s36
	s_add_i32 s37, s34, 1
	s_cmp_ge_u32 s36, s3
	s_cselect_b32 s3, s37, s34
	s_ashr_i32 s60, s6, 31
	s_mul_i32 s38, s5, s4
	s_xor_b32 s3, s3, s35
	s_mul_hi_i32 s37, s5, s4
	s_mul_i32 s39, s38, s60
	s_mul_hi_u32 s40, s38, s6
	s_sub_i32 s34, s3, s35
	s_ashr_i32 s3, s9, 31
	s_add_i32 s39, s40, s39
	s_mul_i32 s37, s37, s6
	s_mul_i32 s38, s38, s6
	s_add_i32 s37, s39, s37
	s_mul_i32 s3, s38, s3
	s_mul_hi_u32 s39, s38, s9
	s_mul_i32 s35, s34, s8
	s_add_i32 s3, s39, s3
	s_mul_i32 s37, s37, s9
	s_load_dwordx8 s[20:27], s[0:1], 0x0
	s_sub_i32 s36, s2, s35
	s_ashr_i32 s2, s34, 31
	s_add_i32 s3, s3, s37
	s_mul_i32 s37, s38, s9
	s_mul_i32 s2, s37, s2
	s_mul_hi_u32 s38, s37, s34
	s_mul_i32 s3, s3, s34
	s_add_i32 s2, s38, s2
	s_add_i32 s3, s2, s3
	s_mul_i32 s2, s37, s34
	s_ashr_i32 s58, s4, 31
	s_ashr_i32 s59, s5, 31
	s_lshl_b64 s[2:3], s[2:3], 2
	s_waitcnt lgkmcnt(0)
	s_add_u32 s20, s20, s2
	s_addc_u32 s21, s21, s3
	s_ashr_i32 s61, s30, 31
	s_ashr_i32 s62, s31, 31
	;; [unrolled: 1-line block ×4, first 2 shown]
	s_mul_hi_i32 s2, s34, s8
	s_add_u32 s48, s35, s36
	s_addc_u32 s49, s2, s3
	s_mul_i32 s3, s30, s9
	s_mul_hi_i32 s2, s30, s9
	s_mul_i32 s34, s3, s62
	s_mul_hi_u32 s35, s3, s31
	s_add_i32 s34, s35, s34
	s_mul_i32 s2, s2, s31
	s_mul_i32 s3, s3, s31
	s_add_i32 s2, s34, s2
	s_mul_i32 s34, s3, s63
	s_mul_hi_u32 s35, s3, s44
	s_add_i32 s34, s35, s34
	s_mul_i32 s2, s2, s44
	s_add_i32 s2, s34, s2
	s_mul_i32 s34, s3, s44
	s_mul_i32 s3, s34, s49
	s_mul_hi_u32 s35, s34, s48
	s_add_i32 s3, s35, s3
	s_mul_i32 s2, s2, s48
	s_add_i32 s3, s3, s2
	s_mul_i32 s2, s34, s48
	s_lshl_b64 s[2:3], s[2:3], 2
	s_add_u32 s22, s22, s2
	s_addc_u32 s23, s23, s3
	s_ashr_i32 s2, s10, 31
	s_ashr_i32 s3, s12, 31
	s_cmp_lt_i32 s7, 1
	s_mul_i32 s64, s45, s9
	s_mul_i32 s45, s45, s8
	s_cselect_b64 s[8:9], -1, 0
	s_cmp_gt_i32 s10, 0
	s_cselect_b64 s[34:35], -1, 0
	s_cmp_gt_i32 s11, 0
	;; [unrolled: 2-line block ×3, first 2 shown]
	s_cselect_b64 s[38:39], -1, 0
	s_abs_i32 s67, s44
	v_cvt_f32_u32_e32 v1, s67
	s_abs_i32 s68, s31
	s_load_dwordx2 s[46:47], s[0:1], 0x20
	s_load_dword s50, s[0:1], 0x11c
	s_abs_i32 s70, s43
	v_rcp_iflag_f32_e32 v1, v1
	v_cvt_f32_u32_e32 v2, s68
	s_abs_i32 s71, s30
	v_cvt_f32_u32_e32 v4, s70
	v_mul_f32_e32 v1, 0x4f7ffffe, v1
	v_cvt_u32_f32_e32 v1, v1
	v_cvt_f32_u32_e32 v5, s71
	s_abs_i32 s73, s42
	v_rcp_iflag_f32_e32 v2, v2
	v_cvt_f32_u32_e32 v9, s73
	s_waitcnt lgkmcnt(0)
	s_and_b32 s66, s50, 0xffff
	s_sub_i32 s50, 0, s67
	v_rcp_iflag_f32_e32 v4, v4
	v_cmp_neq_f64_e64 s[0:1], s[24:25], 1.0
	v_cmp_neq_f64_e64 s[40:41], s[26:27], 0
	v_mul_lo_u32 v3, s50, v1
	v_rcp_iflag_f32_e32 v5, v5
	s_or_b64 s[40:41], s[0:1], s[40:41]
	s_mul_i32 s0, s12, s11
	v_mul_hi_u32 v3, v1, v3
	s_mul_i32 s55, s0, s10
	v_mul_f32_e32 v2, 0x4f7ffffe, v2
	v_add_u32_e32 v1, v1, v3
	v_rcp_iflag_f32_e32 v3, v9
	s_ashr_i32 s69, s43, 31
	s_mul_i32 s1, s55, s49
	s_mul_hi_u32 s43, s55, s48
	v_cvt_u32_f32_e32 v2, v2
	v_mul_f32_e32 v4, 0x4f7ffffe, v4
	s_add_i32 s43, s43, s1
	s_mul_hi_i32 s1, s12, s11
	s_mul_i32 s2, s0, s2
	s_mul_hi_u32 s49, s0, s10
	v_cvt_u32_f32_e32 v4, v4
	v_mul_f32_e32 v5, 0x4f7ffffe, v5
	s_add_i32 s2, s49, s2
	s_mul_i32 s49, s1, s10
	v_cvt_u32_f32_e32 v5, v5
	s_sub_i32 s52, 0, s68
	s_add_i32 s56, s2, s49
	v_mul_f32_e32 v3, 0x4f7ffffe, v3
	s_sub_i32 s53, 0, s70
	s_mul_i32 s2, s56, s48
	v_mul_lo_u32 v6, s52, v2
	v_cvt_u32_f32_e32 v3, v3
	s_sub_i32 s54, 0, s71
	s_add_i32 s49, s43, s2
	s_mul_i32 s48, s55, s48
	v_mul_lo_u32 v7, s53, v4
	v_mul_hi_u32 v6, v2, v6
	s_ashr_i32 s65, s64, 31
	s_ashr_i32 s51, s45, 31
	s_ashr_i32 s72, s42, 31
	s_lshl_b64 s[42:43], s[48:49], 2
	s_sub_i32 s48, 0, s73
	v_mul_lo_u32 v8, s54, v5
	v_add_u32_e32 v20, v2, v6
	v_mul_hi_u32 v2, v4, v7
	s_add_u32 s42, s46, s42
	s_mov_b32 s74, s4
	s_mul_hi_u32 s2, s55, s45
	s_mul_i32 s4, s55, s51
	v_add_u32_e32 v21, v4, v2
	v_mul_hi_u32 v2, v5, v8
	s_addc_u32 s43, s47, s43
	s_add_i32 s4, s2, s4
	s_mul_i32 s56, s56, s45
	v_add_u32_e32 v22, v5, v2
	v_mul_lo_u32 v2, s48, v3
	s_mov_b32 s77, s30
	s_mov_b32 s78, s31
	;; [unrolled: 1-line block ×3, first 2 shown]
	s_add_i32 s31, s4, s56
	s_mul_i32 s30, s55, s45
	v_mul_hi_u32 v2, v3, v2
	s_mov_b32 s75, s44
	s_mov_b32 s76, s5
	s_mov_b64 s[4:5], 0
	v_add_u32_e32 v23, v3, v2
	s_lshl_b64 s[30:31], s[30:31], 2
	s_lshl_b64 s[44:45], s[0:1], 2
	;; [unrolled: 1-line block ×3, first 2 shown]
	s_sub_i32 s29, 0, s29
	v_mov_b32_e32 v3, 0
	s_branch .LBB102_3
.LBB102_2:                              ;   in Loop: Header=BB102_3 Depth=1
	v_add_u32_e32 v0, s66, v0
	v_cmp_le_i32_e32 vcc, s33, v0
	v_cvt_f32_f64_e32 v2, v[8:9]
	s_or_b64 s[4:5], vcc, s[4:5]
	global_store_dword v[4:5], v2, off
	s_andn2_b64 exec, exec, s[4:5]
	s_cbranch_execz .LBB102_21
.LBB102_3:                              ; =>This Loop Header: Depth=1
                                        ;     Child Loop BB102_8 Depth 2
                                        ;       Child Loop BB102_11 Depth 3
                                        ;         Child Loop BB102_14 Depth 4
                                        ;           Child Loop BB102_17 Depth 5
	v_sub_u32_e32 v5, 0, v0
	v_max_i32_e32 v6, v0, v5
	v_mul_hi_u32 v5, v6, v1
	v_mul_lo_u32 v7, v5, s67
	v_sub_u32_e32 v7, v6, v7
	v_add_u32_e32 v8, 1, v5
	v_cmp_le_u32_e32 vcc, s67, v7
	v_ashrrev_i32_e32 v4, 31, v0
	v_xor_b32_e32 v2, s63, v4
	v_cndmask_b32_e32 v5, v5, v8, vcc
	v_subrev_u32_e32 v8, s67, v7
	v_cndmask_b32_e32 v7, v7, v8, vcc
	v_add_u32_e32 v8, 1, v5
	v_cmp_le_u32_e32 vcc, s67, v7
	s_mov_b64 s[50:51], -1
                                        ; implicit-def: $sgpr48_sgpr49
	s_nop 0
	v_cndmask_b32_e32 v5, v5, v8, vcc
	v_xor_b32_e32 v5, v5, v2
	v_sub_u32_e32 v2, v5, v2
	v_sub_u32_e32 v5, 0, v2
	v_max_i32_e32 v5, v2, v5
	v_mul_hi_u32 v7, v5, v20
	v_mul_lo_u32 v7, v7, s68
	v_mul_hi_u32 v8, v6, v21
	v_sub_u32_e32 v5, v5, v7
	v_mul_lo_u32 v9, v8, s70
	v_subrev_u32_e32 v7, s68, v5
	v_cmp_le_u32_e32 vcc, s68, v5
	v_sub_u32_e32 v9, v6, v9
	v_add_u32_e32 v10, 1, v8
	v_cndmask_b32_e32 v5, v5, v7, vcc
	v_cmp_le_u32_e32 vcc, s70, v9
	v_xor_b32_e32 v7, s69, v4
	v_xor_b32_e32 v4, s72, v4
	v_cndmask_b32_e32 v8, v8, v10, vcc
	v_subrev_u32_e32 v10, s70, v9
	v_cndmask_b32_e32 v9, v9, v10, vcc
	v_add_u32_e32 v10, 1, v8
	v_cmp_le_u32_e32 vcc, s70, v9
	v_cmp_le_u32_e64 s[0:1], s68, v5
	s_nop 0
	v_cndmask_b32_e32 v8, v8, v10, vcc
	v_xor_b32_e32 v8, v8, v7
	v_sub_u32_e32 v8, v8, v7
	v_sub_u32_e32 v7, 0, v8
	v_max_i32_e32 v7, v8, v7
	v_mul_hi_u32 v9, v7, v22
	v_mul_lo_u32 v9, v9, s71
	v_sub_u32_e32 v7, v7, v9
	v_subrev_u32_e32 v9, s71, v7
	v_cmp_le_u32_e32 vcc, s71, v7
	s_nop 1
	v_cndmask_b32_e32 v9, v7, v9, vcc
	v_mul_hi_u32 v7, v6, v23
	v_mul_lo_u32 v10, v7, s73
	v_sub_u32_e32 v6, v6, v10
	v_add_u32_e32 v10, 1, v7
	v_cmp_le_u32_e32 vcc, s73, v6
	v_cmp_le_u32_e64 s[2:3], s71, v9
	s_nop 0
	v_cndmask_b32_e32 v7, v7, v10, vcc
	v_subrev_u32_e32 v10, s73, v6
	v_cndmask_b32_e32 v6, v6, v10, vcc
	v_add_u32_e32 v10, 1, v7
	v_cmp_le_u32_e32 vcc, s73, v6
	s_nop 1
	v_cndmask_b32_e32 v6, v7, v10, vcc
	v_xor_b32_e32 v6, v6, v4
	v_sub_u32_e32 v6, v6, v4
	s_andn2_b64 vcc, exec, s[8:9]
	s_cbranch_vccnz .LBB102_5
; %bb.4:                                ;   in Loop: Header=BB102_3 Depth=1
	v_ashrrev_i32_e32 v7, 31, v6
	s_mov_b64 s[50:51], 0
	s_mov_b64 s[48:49], 0
.LBB102_5:                              ;   in Loop: Header=BB102_3 Depth=1
	v_subrev_u32_e32 v10, s68, v5
	v_mul_lo_u32 v4, v2, s75
	v_ashrrev_i32_e32 v2, 31, v2
	v_cndmask_b32_e64 v5, v5, v10, s[0:1]
	v_xor_b32_e32 v5, v5, v2
	v_sub_u32_e32 v10, v5, v2
	v_subrev_u32_e32 v5, s71, v9
	v_ashrrev_i32_e32 v2, 31, v8
	v_cndmask_b32_e64 v5, v9, v5, s[2:3]
	v_xor_b32_e32 v5, v5, v2
	v_sub_u32_e32 v4, v0, v4
	v_sub_u32_e32 v12, v5, v2
	s_andn2_b64 vcc, exec, s[50:51]
	v_mov_b64_e32 v[8:9], s[48:49]
	s_cbranch_vccnz .LBB102_19
; %bb.6:                                ;   in Loop: Header=BB102_3 Depth=1
	v_mul_lo_u32 v2, v4, s18
	v_mul_lo_u32 v5, v12, s16
	;; [unrolled: 1-line block ×3, first 2 shown]
	v_ashrrev_i32_e32 v7, 31, v6
	v_add_u32_e32 v13, s29, v2
	s_mov_b32 s79, 0
	v_mov_b64_e32 v[8:9], 0
	s_mov_b64 s[2:3], s[42:43]
	s_branch .LBB102_8
.LBB102_7:                              ;   in Loop: Header=BB102_8 Depth=2
	s_add_i32 s79, s79, 1
	s_add_u32 s2, s2, s30
	s_addc_u32 s3, s3, s31
	s_cmp_eq_u32 s79, s7
	s_cbranch_scc1 .LBB102_19
.LBB102_8:                              ;   Parent Loop BB102_3 Depth=1
                                        ; =>  This Loop Header: Depth=2
                                        ;       Child Loop BB102_11 Depth 3
                                        ;         Child Loop BB102_14 Depth 4
                                        ;           Child Loop BB102_17 Depth 5
	s_andn2_b64 vcc, exec, s[34:35]
	s_cbranch_vccnz .LBB102_7
; %bb.9:                                ;   in Loop: Header=BB102_8 Depth=2
	v_mov_b32_e32 v2, s64
	v_mad_u64_u32 v[14:15], s[0:1], s79, v2, v[6:7]
	s_mul_i32 s0, s79, s65
	s_nop 0
	v_add_u32_e32 v2, s0, v15
	v_mul_lo_u32 v16, v14, s58
	v_mul_lo_u32 v2, v2, s74
	v_mad_u64_u32 v[14:15], s[0:1], v14, s74, 0
	v_add3_u32 v15, v15, v16, v2
	s_mov_b32 s80, 0
	s_mov_b64 s[48:49], s[2:3]
	s_branch .LBB102_11
.LBB102_10:                             ;   in Loop: Header=BB102_11 Depth=3
	s_add_i32 s80, s80, 1
	s_add_u32 s48, s48, s44
	s_addc_u32 s49, s49, s45
	s_cmp_eq_u32 s80, s10
	s_cbranch_scc1 .LBB102_7
.LBB102_11:                             ;   Parent Loop BB102_3 Depth=1
                                        ;     Parent Loop BB102_8 Depth=2
                                        ; =>    This Loop Header: Depth=3
                                        ;         Child Loop BB102_14 Depth 4
                                        ;           Child Loop BB102_17 Depth 5
	s_andn2_b64 vcc, exec, s[36:37]
	s_cbranch_vccnz .LBB102_10
; %bb.12:                               ;   in Loop: Header=BB102_11 Depth=3
	s_mul_i32 s0, s80, s13
	s_sub_i32 s0, s0, s19
	v_add_u32_e32 v2, s0, v5
	v_cmp_gt_i32_e32 vcc, 0, v2
	v_cmp_le_i32_e64 s[0:1], s74, v2
	v_lshl_add_u64 v[16:17], v[14:15], 0, v[2:3]
	s_or_b64 s[50:51], vcc, s[0:1]
	v_mul_lo_u32 v2, v17, s76
	v_mul_lo_u32 v18, v16, s59
	v_mad_u64_u32 v[16:17], s[0:1], v16, s76, 0
	s_mov_b32 s81, 0
	v_add3_u32 v17, v17, v18, v2
	s_mov_b64 s[52:53], s[48:49]
	s_branch .LBB102_14
.LBB102_13:                             ;   in Loop: Header=BB102_14 Depth=4
	s_add_i32 s81, s81, 1
	s_add_u32 s52, s52, s46
	s_addc_u32 s53, s53, s47
	s_cmp_eq_u32 s81, s11
	s_cbranch_scc1 .LBB102_10
.LBB102_14:                             ;   Parent Loop BB102_3 Depth=1
                                        ;     Parent Loop BB102_8 Depth=2
                                        ;       Parent Loop BB102_11 Depth=3
                                        ; =>      This Loop Header: Depth=4
                                        ;           Child Loop BB102_17 Depth 5
	s_andn2_b64 vcc, exec, s[38:39]
	s_cbranch_vccnz .LBB102_13
; %bb.15:                               ;   in Loop: Header=BB102_14 Depth=4
	s_mul_i32 s0, s81, s14
	s_sub_i32 s0, s0, s28
	v_add_u32_e32 v2, s0, v11
	v_cmp_gt_i32_e32 vcc, 0, v2
	v_cmp_le_i32_e64 s[0:1], s76, v2
	s_or_b64 s[0:1], vcc, s[0:1]
	v_lshl_add_u64 v[18:19], v[16:17], 0, v[2:3]
	s_or_b64 s[54:55], s[50:51], s[0:1]
	v_mul_lo_u32 v2, v19, s6
	v_mul_lo_u32 v24, v18, s60
	v_mad_u64_u32 v[18:19], s[0:1], v18, s6, 0
	v_add3_u32 v19, v19, v24, v2
	v_lshl_add_u64 v[18:19], v[18:19], 2, s[20:21]
	v_mov_b32_e32 v2, v13
	s_mov_b64 s[56:57], s[52:53]
	s_mov_b32 s82, s12
	s_branch .LBB102_17
.LBB102_16:                             ;   in Loop: Header=BB102_17 Depth=5
	s_or_b64 exec, exec, s[0:1]
	s_add_i32 s82, s82, -1
	s_add_u32 s56, s56, 4
	s_addc_u32 s57, s57, 0
	s_cmp_eq_u32 s82, 0
	v_add_u32_e32 v2, s15, v2
	s_cbranch_scc1 .LBB102_13
.LBB102_17:                             ;   Parent Loop BB102_3 Depth=1
                                        ;     Parent Loop BB102_8 Depth=2
                                        ;       Parent Loop BB102_11 Depth=3
                                        ;         Parent Loop BB102_14 Depth=4
                                        ; =>        This Inner Loop Header: Depth=5
	v_cmp_gt_i32_e32 vcc, 0, v2
	v_cmp_le_i32_e64 s[0:1], s6, v2
	s_or_b64 s[0:1], vcc, s[0:1]
	s_or_b64 s[0:1], s[54:55], s[0:1]
	s_xor_b64 s[84:85], s[0:1], -1
	s_and_saveexec_b64 s[0:1], s[84:85]
	s_cbranch_execz .LBB102_16
; %bb.18:                               ;   in Loop: Header=BB102_17 Depth=5
	v_lshl_add_u64 v[24:25], v[2:3], 2, v[18:19]
	global_load_dword v24, v[24:25], off
	s_load_dword s83, s[56:57], 0x0
	s_waitcnt lgkmcnt(0)
	s_and_b32 s83, s83, 0xffffe000
	s_waitcnt vmcnt(0)
	v_and_b32_e32 v26, 0xffffe000, v24
	v_cvt_f64_f32_e32 v[24:25], s83
	v_cvt_f64_f32_e32 v[26:27], v26
	v_fmac_f64_e32 v[8:9], v[26:27], v[24:25]
	s_branch .LBB102_16
.LBB102_19:                             ;   in Loop: Header=BB102_3 Depth=1
	v_ashrrev_i32_e32 v13, 31, v12
	v_mul_lo_u32 v2, v6, s61
	v_mul_lo_u32 v5, v7, s77
	v_mad_u64_u32 v[6:7], s[0:1], v6, s77, v[12:13]
	v_add3_u32 v2, v5, v7, v2
	v_ashrrev_i32_e32 v11, 31, v10
	v_mul_lo_u32 v2, v2, s78
	v_mad_u64_u32 v[10:11], s[0:1], v6, s78, v[10:11]
	v_mul_lo_u32 v5, v6, s62
	v_add3_u32 v2, v2, v11, v5
	v_mul_lo_u32 v2, v2, s75
	v_mul_lo_u32 v5, v10, s63
	v_mad_u64_u32 v[6:7], s[0:1], v10, s75, 0
	v_add3_u32 v7, v7, v5, v2
	v_ashrrev_i32_e32 v5, 31, v4
	v_lshl_add_u64 v[6:7], v[6:7], 2, s[22:23]
	s_andn2_b64 vcc, exec, s[40:41]
	v_lshl_add_u64 v[4:5], v[4:5], 2, v[6:7]
	s_cbranch_vccnz .LBB102_2
; %bb.20:                               ;   in Loop: Header=BB102_3 Depth=1
	global_load_dword v2, v[4:5], off
	s_waitcnt vmcnt(0)
	v_cvt_f64_f32_e32 v[6:7], v2
	v_mul_f64 v[6:7], v[6:7], s[26:27]
	v_fmac_f64_e32 v[6:7], s[24:25], v[8:9]
	v_mov_b64_e32 v[8:9], v[6:7]
	s_branch .LBB102_2
.LBB102_21:
	s_endpgm
	.section	.rodata,"a",@progbits
	.p2align	6, 0x0
	.amdhsa_kernel naive_conv_ab_packed_wrw_ncdhw_float_double_float_1
		.amdhsa_group_segment_fixed_size 0
		.amdhsa_private_segment_fixed_size 0
		.amdhsa_kernarg_size 528
		.amdhsa_user_sgpr_count 2
		.amdhsa_user_sgpr_dispatch_ptr 0
		.amdhsa_user_sgpr_queue_ptr 0
		.amdhsa_user_sgpr_kernarg_segment_ptr 1
		.amdhsa_user_sgpr_dispatch_id 0
		.amdhsa_user_sgpr_kernarg_preload_length 0
		.amdhsa_user_sgpr_kernarg_preload_offset 0
		.amdhsa_user_sgpr_private_segment_size 0
		.amdhsa_uses_dynamic_stack 0
		.amdhsa_enable_private_segment 0
		.amdhsa_system_sgpr_workgroup_id_x 1
		.amdhsa_system_sgpr_workgroup_id_y 0
		.amdhsa_system_sgpr_workgroup_id_z 0
		.amdhsa_system_sgpr_workgroup_info 0
		.amdhsa_system_vgpr_workitem_id 0
		.amdhsa_next_free_vgpr 28
		.amdhsa_next_free_sgpr 86
		.amdhsa_accum_offset 28
		.amdhsa_reserve_vcc 1
		.amdhsa_float_round_mode_32 0
		.amdhsa_float_round_mode_16_64 0
		.amdhsa_float_denorm_mode_32 3
		.amdhsa_float_denorm_mode_16_64 3
		.amdhsa_dx10_clamp 1
		.amdhsa_ieee_mode 1
		.amdhsa_fp16_overflow 0
		.amdhsa_tg_split 0
		.amdhsa_exception_fp_ieee_invalid_op 0
		.amdhsa_exception_fp_denorm_src 0
		.amdhsa_exception_fp_ieee_div_zero 0
		.amdhsa_exception_fp_ieee_overflow 0
		.amdhsa_exception_fp_ieee_underflow 0
		.amdhsa_exception_fp_ieee_inexact 0
		.amdhsa_exception_int_div_zero 0
	.end_amdhsa_kernel
	.text
.Lfunc_end102:
	.size	naive_conv_ab_packed_wrw_ncdhw_float_double_float_1, .Lfunc_end102-naive_conv_ab_packed_wrw_ncdhw_float_double_float_1
                                        ; -- End function
	.section	.AMDGPU.csdata,"",@progbits
; Kernel info:
; codeLenInByte = 2036
; NumSgprs: 92
; NumVgprs: 28
; NumAgprs: 0
; TotalNumVgprs: 28
; ScratchSize: 0
; MemoryBound: 0
; FloatMode: 240
; IeeeMode: 1
; LDSByteSize: 0 bytes/workgroup (compile time only)
; SGPRBlocks: 11
; VGPRBlocks: 3
; NumSGPRsForWavesPerEU: 92
; NumVGPRsForWavesPerEU: 28
; AccumOffset: 28
; Occupancy: 8
; WaveLimiterHint : 0
; COMPUTE_PGM_RSRC2:SCRATCH_EN: 0
; COMPUTE_PGM_RSRC2:USER_SGPR: 2
; COMPUTE_PGM_RSRC2:TRAP_HANDLER: 0
; COMPUTE_PGM_RSRC2:TGID_X_EN: 1
; COMPUTE_PGM_RSRC2:TGID_Y_EN: 0
; COMPUTE_PGM_RSRC2:TGID_Z_EN: 0
; COMPUTE_PGM_RSRC2:TIDIG_COMP_CNT: 0
; COMPUTE_PGM_RSRC3_GFX90A:ACCUM_OFFSET: 6
; COMPUTE_PGM_RSRC3_GFX90A:TG_SPLIT: 0
	.text
	.protected	naive_conv_ab_nonpacked_wrw_ncdhw_float_double_float_1 ; -- Begin function naive_conv_ab_nonpacked_wrw_ncdhw_float_double_float_1
	.globl	naive_conv_ab_nonpacked_wrw_ncdhw_float_double_float_1
	.p2align	8
	.type	naive_conv_ab_nonpacked_wrw_ncdhw_float_double_float_1,@function
naive_conv_ab_nonpacked_wrw_ncdhw_float_double_float_1: ; @naive_conv_ab_nonpacked_wrw_ncdhw_float_double_float_1
; %bb.0:
	s_load_dwordx16 s[4:19], s[0:1], 0xb8
	s_load_dword s33, s[0:1], 0x108
	s_load_dwordx4 s[28:31], s[0:1], 0xf8
	s_waitcnt lgkmcnt(0)
	s_abs_i32 s34, s8
	v_cvt_f32_u32_e32 v1, s34
	s_mul_i32 s70, s33, s31
	s_mul_i32 s3, s70, s30
	;; [unrolled: 1-line block ×3, first 2 shown]
	v_rcp_iflag_f32_e32 v1, v1
	v_cmp_gt_i32_e32 vcc, s80, v0
	v_mul_f32_e32 v1, 0x4f7ffffe, v1
	v_cvt_u32_f32_e32 v1, v1
	s_nop 0
	v_readfirstlane_b32 s9, v1
	s_and_saveexec_b64 s[20:21], vcc
	s_cbranch_execz .LBB103_21
; %bb.1:
	s_sub_i32 s36, 0, s34
	s_mul_i32 s36, s36, s9
	s_mul_hi_u32 s36, s9, s36
	s_abs_i32 s69, s2
	s_add_i32 s9, s9, s36
	s_ashr_i32 s35, s2, 31
	s_ashr_i32 s68, s8, 31
	s_mul_hi_u32 s9, s69, s9
	s_xor_b32 s35, s35, s68
	s_mul_i32 s68, s9, s34
	s_sub_i32 s68, s69, s68
	s_add_i32 s69, s9, 1
	s_sub_i32 s71, s68, s34
	s_cmp_ge_u32 s68, s34
	s_cselect_b32 s9, s69, s9
	s_cselect_b32 s68, s71, s68
	s_add_i32 s69, s9, 1
	s_cmp_ge_u32 s68, s34
	s_load_dwordx16 s[36:51], s[0:1], 0x28
	s_load_dwordx16 s[52:67], s[0:1], 0x68
	s_cselect_b32 s9, s69, s9
	s_xor_b32 s9, s9, s35
	s_sub_i32 s68, s9, s35
	s_load_dwordx8 s[20:27], s[0:1], 0x0
	s_mul_i32 s8, s68, s8
	s_ashr_i32 s69, s68, 31
	s_sub_i32 s2, s2, s8
	s_waitcnt lgkmcnt(0)
	s_mul_i32 s8, s44, s69
	s_mul_hi_u32 s9, s44, s68
	s_add_i32 s8, s9, s8
	s_mul_i32 s9, s45, s68
	s_add_i32 s9, s8, s9
	s_mul_i32 s8, s44, s68
	s_lshl_b64 s[8:9], s[8:9], 2
	s_add_u32 s8, s20, s8
	s_addc_u32 s9, s21, s9
	s_mul_i32 s20, s58, s69
	s_mul_hi_u32 s21, s58, s68
	s_ashr_i32 s44, s2, 31
	s_add_i32 s20, s21, s20
	s_mul_i32 s21, s59, s68
	s_mul_i32 s34, s56, s44
	s_mul_hi_u32 s35, s56, s2
	s_add_i32 s21, s20, s21
	s_mul_i32 s20, s58, s68
	s_add_i32 s34, s35, s34
	s_mul_i32 s35, s57, s2
	s_add_i32 s35, s34, s35
	s_lshl_b64 s[20:21], s[20:21], 2
	s_mul_i32 s34, s56, s2
	s_add_u32 s22, s22, s20
	s_addc_u32 s23, s23, s21
	s_lshl_b64 s[20:21], s[34:35], 2
	s_add_u32 s34, s22, s20
	s_addc_u32 s35, s23, s21
	s_load_dword s71, s[0:1], 0x11c
	s_load_dwordx4 s[20:23], s[0:1], 0xa8
	s_mul_i32 s44, s66, s44
	s_load_dwordx2 s[0:1], s[0:1], 0x20
	s_waitcnt lgkmcnt(0)
	s_mul_i32 s45, s20, s69
	s_mul_hi_u32 s56, s20, s68
	s_add_i32 s45, s56, s45
	s_mul_i32 s21, s21, s68
	s_add_i32 s21, s45, s21
	s_mul_hi_u32 s45, s66, s2
	s_mul_i32 s20, s20, s68
	s_add_i32 s44, s45, s44
	s_mul_i32 s45, s67, s2
	s_add_i32 s45, s44, s45
	s_lshl_b64 s[20:21], s[20:21], 2
	s_add_u32 s20, s0, s20
	s_mul_i32 s44, s66, s2
	s_addc_u32 s21, s1, s21
	s_lshl_b64 s[0:1], s[44:45], 2
	s_add_u32 s20, s20, s0
	s_addc_u32 s21, s21, s1
	s_cmp_lt_i32 s7, 1
	s_cselect_b64 s[44:45], -1, 0
	s_cmp_gt_i32 s10, 0
	s_cselect_b64 s[56:57], -1, 0
	s_cmp_gt_i32 s11, 0
	;; [unrolled: 2-line block ×3, first 2 shown]
	s_cselect_b64 s[66:67], -1, 0
	s_abs_i32 s81, s33
	v_cvt_f32_u32_e32 v1, s81
	s_abs_i32 s82, s31
	v_cvt_f32_u32_e32 v3, s82
	;; [unrolled: 2-line block ×4, first 2 shown]
	s_abs_i32 s85, s3
	v_rcp_iflag_f32_e32 v1, v1
	v_cvt_f32_u32_e32 v9, s85
	v_rcp_iflag_f32_e32 v3, v3
	v_rcp_iflag_f32_e32 v5, v5
	;; [unrolled: 1-line block ×3, first 2 shown]
	v_mul_f32_e32 v1, 0x4f7ffffe, v1
	v_rcp_iflag_f32_e32 v9, v9
	v_cvt_u32_f32_e32 v1, v1
	v_mul_f32_e32 v3, 0x4f7ffffe, v3
	v_cvt_u32_f32_e32 v3, v3
	v_mul_f32_e32 v5, 0x4f7ffffe, v5
	v_cmp_neq_f64_e64 s[0:1], s[24:25], 1.0
	v_cmp_neq_f64_e64 s[68:69], s[26:27], 0
	v_cvt_u32_f32_e32 v5, v5
	v_mul_f32_e32 v7, 0x4f7ffffe, v7
	s_or_b64 s[68:69], s[0:1], s[68:69]
	s_sub_i32 s0, 0, s81
	v_cvt_u32_f32_e32 v7, v7
	v_mul_f32_e32 v9, 0x4f7ffffe, v9
	v_mul_lo_u32 v2, s0, v1
	s_sub_i32 s0, 0, s82
	v_cvt_u32_f32_e32 v9, v9
	v_mul_lo_u32 v4, s0, v3
	s_sub_i32 s0, 0, s83
	v_mul_hi_u32 v2, v1, v2
	v_mul_lo_u32 v6, s0, v5
	s_sub_i32 s0, 0, s84
	v_add_u32_e32 v1, v1, v2
	v_mul_hi_u32 v2, v3, v4
	v_mul_lo_u32 v8, s0, v7
	s_sub_i32 s0, 0, s85
	v_add_u32_e32 v16, v3, v2
	v_mul_hi_u32 v2, v5, v6
	v_mul_lo_u32 v10, s0, v9
	v_add_u32_e32 v17, v5, v2
	v_mul_hi_u32 v2, v7, v8
	v_add_u32_e32 v18, v7, v2
	v_mul_hi_u32 v2, v9, v10
	s_lshl_b64 s[22:23], s[22:23], 2
	s_and_b32 s86, s71, 0xffff
	s_ashr_i32 s87, s70, 31
	s_ashr_i32 s88, s3, 31
	v_add_u32_e32 v19, v9, v2
	s_ashr_i32 s89, s33, 31
	s_sub_i32 s29, 0, s29
	s_mov_b64 s[30:31], 0
	s_lshl_b64 s[64:65], s[64:65], 2
	s_lshl_b64 s[62:63], s[62:63], 2
	s_lshl_b64 s[60:61], s[60:61], 2
	s_branch .LBB103_3
.LBB103_2:                              ;   in Loop: Header=BB103_3 Depth=1
	v_add_u32_e32 v0, s86, v0
	v_cmp_le_i32_e32 vcc, s80, v0
	v_cvt_f32_f64_e32 v4, v[4:5]
	s_or_b64 s[30:31], vcc, s[30:31]
	global_store_dword v[2:3], v4, off
	s_andn2_b64 exec, exec, s[30:31]
	s_cbranch_execz .LBB103_21
.LBB103_3:                              ; =>This Loop Header: Depth=1
                                        ;     Child Loop BB103_8 Depth 2
                                        ;       Child Loop BB103_11 Depth 3
                                        ;         Child Loop BB103_14 Depth 4
                                        ;           Child Loop BB103_17 Depth 5
	v_sub_u32_e32 v4, 0, v0
	v_max_i32_e32 v6, v0, v4
	v_mul_hi_u32 v4, v6, v1
	v_mul_lo_u32 v5, v4, s81
	v_sub_u32_e32 v5, v6, v5
	v_add_u32_e32 v7, 1, v4
	v_cmp_le_u32_e32 vcc, s81, v5
	v_ashrrev_i32_e32 v2, 31, v0
	v_xor_b32_e32 v3, s89, v2
	v_cndmask_b32_e32 v4, v4, v7, vcc
	v_subrev_u32_e32 v7, s81, v5
	v_cndmask_b32_e32 v5, v5, v7, vcc
	v_add_u32_e32 v7, 1, v4
	v_cmp_le_u32_e32 vcc, s81, v5
	s_mov_b64 s[72:73], -1
                                        ; implicit-def: $sgpr70_sgpr71
	s_nop 0
	v_cndmask_b32_e32 v4, v4, v7, vcc
	v_xor_b32_e32 v4, v4, v3
	v_sub_u32_e32 v4, v4, v3
	v_sub_u32_e32 v3, 0, v4
	v_max_i32_e32 v3, v4, v3
	v_mul_hi_u32 v5, v3, v16
	v_mul_lo_u32 v5, v5, s82
	v_mul_hi_u32 v7, v6, v17
	v_sub_u32_e32 v3, v3, v5
	v_mul_lo_u32 v8, v7, s83
	v_subrev_u32_e32 v5, s82, v3
	v_cmp_le_u32_e32 vcc, s82, v3
	v_sub_u32_e32 v8, v6, v8
	v_add_u32_e32 v9, 1, v7
	v_cndmask_b32_e32 v5, v3, v5, vcc
	v_cmp_le_u32_e32 vcc, s83, v8
	v_xor_b32_e32 v3, s87, v2
	v_xor_b32_e32 v2, s88, v2
	v_cndmask_b32_e32 v7, v7, v9, vcc
	v_subrev_u32_e32 v9, s83, v8
	v_cndmask_b32_e32 v8, v8, v9, vcc
	v_add_u32_e32 v9, 1, v7
	v_cmp_le_u32_e32 vcc, s83, v8
	v_cmp_le_u32_e64 s[0:1], s82, v5
	s_nop 0
	v_cndmask_b32_e32 v7, v7, v9, vcc
	v_xor_b32_e32 v7, v7, v3
	v_sub_u32_e32 v8, v7, v3
	v_sub_u32_e32 v3, 0, v8
	v_max_i32_e32 v3, v8, v3
	v_mul_hi_u32 v7, v3, v18
	v_mul_lo_u32 v7, v7, s84
	v_sub_u32_e32 v3, v3, v7
	v_subrev_u32_e32 v7, s84, v3
	v_cmp_le_u32_e32 vcc, s84, v3
	s_nop 1
	v_cndmask_b32_e32 v9, v3, v7, vcc
	v_mul_hi_u32 v3, v6, v19
	v_mul_lo_u32 v7, v3, s85
	v_sub_u32_e32 v6, v6, v7
	v_add_u32_e32 v7, 1, v3
	v_cmp_le_u32_e32 vcc, s85, v6
	v_cmp_le_u32_e64 s[2:3], s84, v9
	s_nop 0
	v_cndmask_b32_e32 v3, v3, v7, vcc
	v_subrev_u32_e32 v7, s85, v6
	v_cndmask_b32_e32 v6, v6, v7, vcc
	v_add_u32_e32 v7, 1, v3
	v_cmp_le_u32_e32 vcc, s85, v6
	s_nop 1
	v_cndmask_b32_e32 v3, v3, v7, vcc
	v_xor_b32_e32 v3, v3, v2
	v_sub_u32_e32 v2, v3, v2
	s_andn2_b64 vcc, exec, s[44:45]
                                        ; implicit-def: $vgpr6_vgpr7
	s_cbranch_vccnz .LBB103_5
; %bb.4:                                ;   in Loop: Header=BB103_3 Depth=1
	v_ashrrev_i32_e32 v7, 31, v2
	s_mov_b64 s[72:73], 0
	s_mov_b64 s[70:71], 0
.LBB103_5:                              ;   in Loop: Header=BB103_3 Depth=1
	v_subrev_u32_e32 v6, s82, v5
	v_mul_lo_u32 v3, v4, s33
	v_ashrrev_i32_e32 v4, 31, v4
	v_cndmask_b32_e64 v5, v5, v6, s[0:1]
	v_xor_b32_e32 v5, v5, v4
	v_sub_u32_e32 v6, v5, v4
	v_subrev_u32_e32 v5, s84, v9
	v_ashrrev_i32_e32 v4, 31, v8
	v_cndmask_b32_e64 v5, v9, v5, s[2:3]
	v_xor_b32_e32 v5, v5, v4
	v_sub_u32_e32 v3, v0, v3
	v_sub_u32_e32 v20, v5, v4
	s_andn2_b64 vcc, exec, s[72:73]
	v_mov_b64_e32 v[4:5], s[70:71]
	s_cbranch_vccnz .LBB103_19
; %bb.6:                                ;   in Loop: Header=BB103_3 Depth=1
	v_ashrrev_i32_e32 v7, 31, v2
	v_mul_lo_u32 v8, s43, v2
	v_mul_lo_u32 v9, s42, v7
	v_mad_u64_u32 v[4:5], s[0:1], s42, v2, 0
	v_mul_lo_u32 v10, v3, s18
	v_add3_u32 v5, v5, v9, v8
	v_mul_lo_u32 v21, v20, s16
	v_mul_lo_u32 v22, v6, s17
	v_lshl_add_u64 v[8:9], v[4:5], 2, s[8:9]
	v_add_u32_e32 v23, s29, v10
	s_mov_b32 s90, 0
	v_mov_b64_e32 v[4:5], 0
	s_mov_b64 s[2:3], s[20:21]
	s_branch .LBB103_8
.LBB103_7:                              ;   in Loop: Header=BB103_8 Depth=2
	s_add_i32 s90, s90, 1
	s_add_u32 s2, s2, s22
	s_addc_u32 s3, s3, s23
	s_cmp_eq_u32 s90, s7
	s_cbranch_scc1 .LBB103_19
.LBB103_8:                              ;   Parent Loop BB103_3 Depth=1
                                        ; =>  This Loop Header: Depth=2
                                        ;       Child Loop BB103_11 Depth 3
                                        ;         Child Loop BB103_14 Depth 4
                                        ;           Child Loop BB103_17 Depth 5
	s_andn2_b64 vcc, exec, s[56:57]
	s_cbranch_vccnz .LBB103_7
; %bb.9:                                ;   in Loop: Header=BB103_8 Depth=2
	s_mul_i32 s0, s47, s90
	s_mul_hi_u32 s1, s46, s90
	s_add_i32 s1, s1, s0
	s_mul_i32 s0, s46, s90
	v_lshl_add_u64 v[10:11], s[0:1], 2, v[8:9]
	s_mov_b32 s91, 0
	s_mov_b64 s[70:71], s[2:3]
	s_branch .LBB103_11
.LBB103_10:                             ;   in Loop: Header=BB103_11 Depth=3
	s_add_i32 s91, s91, 1
	s_add_u32 s70, s70, s64
	s_addc_u32 s71, s71, s65
	s_cmp_eq_u32 s91, s10
	s_cbranch_scc1 .LBB103_7
.LBB103_11:                             ;   Parent Loop BB103_3 Depth=1
                                        ;     Parent Loop BB103_8 Depth=2
                                        ; =>    This Loop Header: Depth=3
                                        ;         Child Loop BB103_14 Depth 4
                                        ;           Child Loop BB103_17 Depth 5
	s_andn2_b64 vcc, exec, s[58:59]
	s_cbranch_vccnz .LBB103_10
; %bb.12:                               ;   in Loop: Header=BB103_11 Depth=3
	s_mul_i32 s0, s91, s13
	s_sub_i32 s0, s0, s19
	v_add_u32_e32 v15, s0, v21
	v_cmp_gt_i32_e32 vcc, 0, v15
	v_cmp_le_i32_e64 s[0:1], s4, v15
	s_or_b64 s[72:73], vcc, s[0:1]
	v_mad_u64_u32 v[12:13], s[0:1], s40, v15, 0
	v_mov_b32_e32 v14, v13
	v_mad_u64_u32 v[14:15], s[0:1], s41, v15, v[14:15]
	v_mov_b32_e32 v13, v14
	s_mov_b32 s92, 0
	v_lshl_add_u64 v[12:13], v[12:13], 2, v[10:11]
	s_mov_b64 s[74:75], s[70:71]
	s_branch .LBB103_14
.LBB103_13:                             ;   in Loop: Header=BB103_14 Depth=4
	s_add_i32 s92, s92, 1
	s_add_u32 s74, s74, s62
	s_addc_u32 s75, s75, s63
	s_cmp_eq_u32 s92, s11
	s_cbranch_scc1 .LBB103_10
.LBB103_14:                             ;   Parent Loop BB103_3 Depth=1
                                        ;     Parent Loop BB103_8 Depth=2
                                        ;       Parent Loop BB103_11 Depth=3
                                        ; =>      This Loop Header: Depth=4
                                        ;           Child Loop BB103_17 Depth 5
	s_andn2_b64 vcc, exec, s[66:67]
	s_cbranch_vccnz .LBB103_13
; %bb.15:                               ;   in Loop: Header=BB103_14 Depth=4
	s_mul_i32 s0, s92, s14
	s_sub_i32 s0, s0, s28
	v_add_u32_e32 v25, s0, v22
	v_cmp_gt_i32_e32 vcc, 0, v25
	v_cmp_le_i32_e64 s[0:1], s5, v25
	s_or_b64 s[0:1], vcc, s[0:1]
	s_or_b64 s[76:77], s[72:73], s[0:1]
	v_mad_u64_u32 v[14:15], s[0:1], s38, v25, 0
	v_mov_b32_e32 v24, v15
	v_mad_u64_u32 v[24:25], s[0:1], s39, v25, v[24:25]
	v_mov_b32_e32 v15, v24
	v_lshl_add_u64 v[14:15], v[14:15], 2, v[12:13]
	v_mov_b32_e32 v24, v23
	s_mov_b64 s[78:79], s[74:75]
	s_mov_b32 s93, s12
	s_branch .LBB103_17
.LBB103_16:                             ;   in Loop: Header=BB103_17 Depth=5
	s_or_b64 exec, exec, s[0:1]
	s_add_i32 s93, s93, -1
	s_add_u32 s78, s78, s60
	s_addc_u32 s79, s79, s61
	s_cmp_eq_u32 s93, 0
	v_add_u32_e32 v24, s15, v24
	s_cbranch_scc1 .LBB103_13
.LBB103_17:                             ;   Parent Loop BB103_3 Depth=1
                                        ;     Parent Loop BB103_8 Depth=2
                                        ;       Parent Loop BB103_11 Depth=3
                                        ;         Parent Loop BB103_14 Depth=4
                                        ; =>        This Inner Loop Header: Depth=5
	v_cmp_gt_i32_e32 vcc, 0, v24
	v_cmp_le_i32_e64 s[0:1], s6, v24
	s_or_b64 s[0:1], vcc, s[0:1]
	s_or_b64 s[0:1], s[76:77], s[0:1]
	s_xor_b64 s[94:95], s[0:1], -1
	s_and_saveexec_b64 s[0:1], s[94:95]
	s_cbranch_execz .LBB103_16
; %bb.18:                               ;   in Loop: Header=BB103_17 Depth=5
	v_mad_u64_u32 v[26:27], s[94:95], s36, v24, 0
	v_mov_b32_e32 v28, v27
	v_mad_u64_u32 v[28:29], s[94:95], s37, v24, v[28:29]
	v_mov_b32_e32 v27, v28
	v_lshl_add_u64 v[26:27], v[26:27], 2, v[14:15]
	global_load_dword v25, v[26:27], off
	s_load_dword s94, s[78:79], 0x0
	s_waitcnt lgkmcnt(0)
	s_and_b32 s94, s94, 0xffffe000
	v_cvt_f64_f32_e32 v[28:29], s94
	s_waitcnt vmcnt(0)
	v_and_b32_e32 v25, 0xffffe000, v25
	v_cvt_f64_f32_e32 v[26:27], v25
	v_fmac_f64_e32 v[4:5], v[26:27], v[28:29]
	s_branch .LBB103_16
.LBB103_19:                             ;   in Loop: Header=BB103_3 Depth=1
	v_mul_lo_u32 v7, v7, s54
	v_mul_lo_u32 v10, v2, s55
	v_mad_u64_u32 v[8:9], s[0:1], v2, s54, 0
	v_ashrrev_i32_e32 v2, 31, v20
	v_add3_u32 v9, v9, v10, v7
	v_mul_lo_u32 v7, s53, v20
	v_mul_lo_u32 v2, s52, v2
	v_mad_u64_u32 v[10:11], s[0:1], s52, v20, 0
	v_add3_u32 v11, v11, v2, v7
	v_ashrrev_i32_e32 v2, 31, v6
	v_mul_lo_u32 v12, s51, v6
	v_mul_lo_u32 v2, s50, v2
	v_mad_u64_u32 v[6:7], s[0:1], s50, v6, 0
	v_add3_u32 v7, v7, v2, v12
	v_ashrrev_i32_e32 v2, 31, v3
	v_lshl_add_u64 v[8:9], v[8:9], 2, s[34:35]
	v_mul_lo_u32 v12, s49, v3
	v_mul_lo_u32 v13, s48, v2
	v_mad_u64_u32 v[2:3], s[0:1], s48, v3, 0
	v_lshl_add_u64 v[8:9], v[10:11], 2, v[8:9]
	v_add3_u32 v3, v3, v13, v12
	v_lshl_add_u64 v[6:7], v[6:7], 2, v[8:9]
	s_andn2_b64 vcc, exec, s[68:69]
	v_lshl_add_u64 v[2:3], v[2:3], 2, v[6:7]
	s_cbranch_vccnz .LBB103_2
; %bb.20:                               ;   in Loop: Header=BB103_3 Depth=1
	global_load_dword v6, v[2:3], off
	s_waitcnt vmcnt(0)
	v_cvt_f64_f32_e32 v[6:7], v6
	v_mul_f64 v[6:7], v[6:7], s[26:27]
	v_fmac_f64_e32 v[6:7], s[24:25], v[4:5]
	v_mov_b64_e32 v[4:5], v[6:7]
	s_branch .LBB103_2
.LBB103_21:
	s_endpgm
	.section	.rodata,"a",@progbits
	.p2align	6, 0x0
	.amdhsa_kernel naive_conv_ab_nonpacked_wrw_ncdhw_float_double_float_1
		.amdhsa_group_segment_fixed_size 0
		.amdhsa_private_segment_fixed_size 0
		.amdhsa_kernarg_size 528
		.amdhsa_user_sgpr_count 2
		.amdhsa_user_sgpr_dispatch_ptr 0
		.amdhsa_user_sgpr_queue_ptr 0
		.amdhsa_user_sgpr_kernarg_segment_ptr 1
		.amdhsa_user_sgpr_dispatch_id 0
		.amdhsa_user_sgpr_kernarg_preload_length 0
		.amdhsa_user_sgpr_kernarg_preload_offset 0
		.amdhsa_user_sgpr_private_segment_size 0
		.amdhsa_uses_dynamic_stack 0
		.amdhsa_enable_private_segment 0
		.amdhsa_system_sgpr_workgroup_id_x 1
		.amdhsa_system_sgpr_workgroup_id_y 0
		.amdhsa_system_sgpr_workgroup_id_z 0
		.amdhsa_system_sgpr_workgroup_info 0
		.amdhsa_system_vgpr_workitem_id 0
		.amdhsa_next_free_vgpr 30
		.amdhsa_next_free_sgpr 96
		.amdhsa_accum_offset 32
		.amdhsa_reserve_vcc 1
		.amdhsa_float_round_mode_32 0
		.amdhsa_float_round_mode_16_64 0
		.amdhsa_float_denorm_mode_32 3
		.amdhsa_float_denorm_mode_16_64 3
		.amdhsa_dx10_clamp 1
		.amdhsa_ieee_mode 1
		.amdhsa_fp16_overflow 0
		.amdhsa_tg_split 0
		.amdhsa_exception_fp_ieee_invalid_op 0
		.amdhsa_exception_fp_denorm_src 0
		.amdhsa_exception_fp_ieee_div_zero 0
		.amdhsa_exception_fp_ieee_overflow 0
		.amdhsa_exception_fp_ieee_underflow 0
		.amdhsa_exception_fp_ieee_inexact 0
		.amdhsa_exception_int_div_zero 0
	.end_amdhsa_kernel
	.text
.Lfunc_end103:
	.size	naive_conv_ab_nonpacked_wrw_ncdhw_float_double_float_1, .Lfunc_end103-naive_conv_ab_nonpacked_wrw_ncdhw_float_double_float_1
                                        ; -- End function
	.section	.AMDGPU.csdata,"",@progbits
; Kernel info:
; codeLenInByte = 1936
; NumSgprs: 102
; NumVgprs: 30
; NumAgprs: 0
; TotalNumVgprs: 30
; ScratchSize: 0
; MemoryBound: 0
; FloatMode: 240
; IeeeMode: 1
; LDSByteSize: 0 bytes/workgroup (compile time only)
; SGPRBlocks: 12
; VGPRBlocks: 3
; NumSGPRsForWavesPerEU: 102
; NumVGPRsForWavesPerEU: 30
; AccumOffset: 32
; Occupancy: 7
; WaveLimiterHint : 0
; COMPUTE_PGM_RSRC2:SCRATCH_EN: 0
; COMPUTE_PGM_RSRC2:USER_SGPR: 2
; COMPUTE_PGM_RSRC2:TRAP_HANDLER: 0
; COMPUTE_PGM_RSRC2:TGID_X_EN: 1
; COMPUTE_PGM_RSRC2:TGID_Y_EN: 0
; COMPUTE_PGM_RSRC2:TGID_Z_EN: 0
; COMPUTE_PGM_RSRC2:TIDIG_COMP_CNT: 0
; COMPUTE_PGM_RSRC3_GFX90A:ACCUM_OFFSET: 7
; COMPUTE_PGM_RSRC3_GFX90A:TG_SPLIT: 0
	.text
	.protected	naive_conv_ab_packed_wrw_ncdhw_half_double_half_0 ; -- Begin function naive_conv_ab_packed_wrw_ncdhw_half_double_half_0
	.globl	naive_conv_ab_packed_wrw_ncdhw_half_double_half_0
	.p2align	8
	.type	naive_conv_ab_packed_wrw_ncdhw_half_double_half_0,@function
naive_conv_ab_packed_wrw_ncdhw_half_double_half_0: ; @naive_conv_ab_packed_wrw_ncdhw_half_double_half_0
; %bb.0:
	s_load_dwordx16 s[4:19], s[0:1], 0xb8
	s_load_dwordx2 s[44:45], s[0:1], 0x108
	s_load_dwordx4 s[28:31], s[0:1], 0xf8
	s_waitcnt lgkmcnt(0)
	s_abs_i32 s3, s8
	v_cvt_f32_u32_e32 v1, s3
	s_mul_i32 s43, s44, s31
	s_mul_i32 s42, s43, s30
	;; [unrolled: 1-line block ×3, first 2 shown]
	v_rcp_iflag_f32_e32 v1, v1
	v_cmp_gt_i32_e32 vcc, s33, v0
	v_mul_f32_e32 v1, 0x4f7ffffe, v1
	v_cvt_u32_f32_e32 v1, v1
	s_nop 0
	v_readfirstlane_b32 s34, v1
	s_and_saveexec_b64 s[20:21], vcc
	s_cbranch_execz .LBB104_23
; %bb.1:
	s_sub_i32 s38, 0, s3
	s_mul_i32 s38, s38, s34
	s_mul_hi_u32 s38, s34, s38
	s_abs_i32 s37, s2
	s_add_i32 s34, s34, s38
	s_ashr_i32 s35, s2, 31
	s_ashr_i32 s36, s8, 31
	s_mul_hi_u32 s34, s37, s34
	s_xor_b32 s35, s35, s36
	s_mul_i32 s36, s34, s3
	s_sub_i32 s36, s37, s36
	s_add_i32 s37, s34, 1
	s_sub_i32 s38, s36, s3
	s_cmp_ge_u32 s36, s3
	s_cselect_b32 s34, s37, s34
	s_cselect_b32 s36, s38, s36
	s_add_i32 s37, s34, 1
	s_cmp_ge_u32 s36, s3
	s_cselect_b32 s3, s37, s34
	s_ashr_i32 s60, s6, 31
	s_mul_i32 s38, s5, s4
	s_xor_b32 s3, s3, s35
	s_mul_hi_i32 s37, s5, s4
	s_mul_i32 s39, s38, s60
	s_mul_hi_u32 s40, s38, s6
	s_sub_i32 s34, s3, s35
	s_ashr_i32 s3, s9, 31
	s_add_i32 s39, s40, s39
	s_mul_i32 s37, s37, s6
	s_mul_i32 s38, s38, s6
	s_add_i32 s37, s39, s37
	s_mul_i32 s3, s38, s3
	s_mul_hi_u32 s39, s38, s9
	s_mul_i32 s35, s34, s8
	s_add_i32 s3, s39, s3
	s_mul_i32 s37, s37, s9
	s_load_dwordx8 s[20:27], s[0:1], 0x0
	s_sub_i32 s36, s2, s35
	s_ashr_i32 s2, s34, 31
	s_add_i32 s3, s3, s37
	s_mul_i32 s37, s38, s9
	s_mul_i32 s2, s37, s2
	s_mul_hi_u32 s38, s37, s34
	s_mul_i32 s3, s3, s34
	s_add_i32 s2, s38, s2
	s_add_i32 s3, s2, s3
	s_mul_i32 s2, s37, s34
	s_ashr_i32 s58, s4, 31
	s_ashr_i32 s59, s5, 31
	s_lshl_b64 s[2:3], s[2:3], 1
	s_waitcnt lgkmcnt(0)
	s_add_u32 s20, s20, s2
	s_addc_u32 s21, s21, s3
	s_ashr_i32 s61, s30, 31
	s_ashr_i32 s62, s31, 31
	;; [unrolled: 1-line block ×4, first 2 shown]
	s_mul_hi_i32 s2, s34, s8
	s_add_u32 s48, s35, s36
	s_addc_u32 s49, s2, s3
	s_mul_i32 s3, s30, s9
	s_mul_hi_i32 s2, s30, s9
	s_mul_i32 s34, s3, s62
	s_mul_hi_u32 s35, s3, s31
	s_add_i32 s34, s35, s34
	s_mul_i32 s2, s2, s31
	s_mul_i32 s3, s3, s31
	s_add_i32 s2, s34, s2
	s_mul_i32 s34, s3, s63
	s_mul_hi_u32 s35, s3, s44
	s_add_i32 s34, s35, s34
	s_mul_i32 s2, s2, s44
	s_add_i32 s2, s34, s2
	s_mul_i32 s34, s3, s44
	s_mul_i32 s3, s34, s49
	s_mul_hi_u32 s35, s34, s48
	s_add_i32 s3, s35, s3
	s_mul_i32 s2, s2, s48
	s_add_i32 s3, s3, s2
	s_mul_i32 s2, s34, s48
	s_lshl_b64 s[2:3], s[2:3], 1
	s_add_u32 s22, s22, s2
	s_addc_u32 s23, s23, s3
	s_ashr_i32 s2, s10, 31
	s_ashr_i32 s3, s12, 31
	s_cmp_lt_i32 s7, 1
	s_mul_i32 s64, s45, s9
	s_mul_i32 s45, s45, s8
	s_cselect_b64 s[8:9], -1, 0
	s_cmp_gt_i32 s10, 0
	s_cselect_b64 s[34:35], -1, 0
	s_cmp_gt_i32 s11, 0
	;; [unrolled: 2-line block ×3, first 2 shown]
	s_cselect_b64 s[38:39], -1, 0
	s_abs_i32 s67, s44
	v_cvt_f32_u32_e32 v1, s67
	s_abs_i32 s68, s31
	s_load_dwordx2 s[46:47], s[0:1], 0x20
	s_load_dword s50, s[0:1], 0x11c
	s_abs_i32 s70, s43
	v_rcp_iflag_f32_e32 v1, v1
	v_cvt_f32_u32_e32 v2, s68
	s_abs_i32 s71, s30
	v_cvt_f32_u32_e32 v4, s70
	v_mul_f32_e32 v1, 0x4f7ffffe, v1
	v_cvt_u32_f32_e32 v1, v1
	v_cvt_f32_u32_e32 v5, s71
	s_abs_i32 s73, s42
	v_rcp_iflag_f32_e32 v2, v2
	v_cvt_f32_u32_e32 v9, s73
	s_waitcnt lgkmcnt(0)
	s_and_b32 s66, s50, 0xffff
	s_sub_i32 s50, 0, s67
	v_rcp_iflag_f32_e32 v4, v4
	v_cmp_neq_f64_e64 s[0:1], s[24:25], 1.0
	v_cmp_neq_f64_e64 s[40:41], s[26:27], 0
	v_mul_lo_u32 v3, s50, v1
	v_rcp_iflag_f32_e32 v5, v5
	s_or_b64 s[40:41], s[0:1], s[40:41]
	s_mul_i32 s0, s12, s11
	v_mul_hi_u32 v3, v1, v3
	s_mul_i32 s55, s0, s10
	v_mul_f32_e32 v2, 0x4f7ffffe, v2
	v_add_u32_e32 v1, v1, v3
	v_rcp_iflag_f32_e32 v3, v9
	s_ashr_i32 s69, s43, 31
	s_mul_i32 s1, s55, s49
	s_mul_hi_u32 s43, s55, s48
	v_cvt_u32_f32_e32 v2, v2
	v_mul_f32_e32 v4, 0x4f7ffffe, v4
	s_add_i32 s43, s43, s1
	s_mul_hi_i32 s1, s12, s11
	s_mul_i32 s2, s0, s2
	s_mul_hi_u32 s49, s0, s10
	v_cvt_u32_f32_e32 v4, v4
	v_mul_f32_e32 v5, 0x4f7ffffe, v5
	s_add_i32 s2, s49, s2
	s_mul_i32 s49, s1, s10
	v_cvt_u32_f32_e32 v5, v5
	s_sub_i32 s52, 0, s68
	s_add_i32 s56, s2, s49
	v_mul_f32_e32 v3, 0x4f7ffffe, v3
	s_sub_i32 s53, 0, s70
	s_mul_i32 s2, s56, s48
	v_mul_lo_u32 v6, s52, v2
	v_cvt_u32_f32_e32 v3, v3
	s_sub_i32 s54, 0, s71
	s_add_i32 s49, s43, s2
	s_mul_i32 s48, s55, s48
	v_mul_lo_u32 v7, s53, v4
	v_mul_hi_u32 v6, v2, v6
	s_ashr_i32 s65, s64, 31
	s_ashr_i32 s51, s45, 31
	;; [unrolled: 1-line block ×3, first 2 shown]
	s_lshl_b64 s[42:43], s[48:49], 1
	s_sub_i32 s48, 0, s73
	v_mul_lo_u32 v8, s54, v5
	v_add_u32_e32 v20, v2, v6
	v_mul_hi_u32 v2, v4, v7
	s_add_u32 s42, s46, s42
	s_mov_b32 s74, s4
	s_mul_hi_u32 s2, s55, s45
	s_mul_i32 s4, s55, s51
	v_add_u32_e32 v21, v4, v2
	v_mul_hi_u32 v2, v5, v8
	s_addc_u32 s43, s47, s43
	s_add_i32 s4, s2, s4
	s_mul_i32 s56, s56, s45
	v_add_u32_e32 v22, v5, v2
	v_mul_lo_u32 v2, s48, v3
	s_mov_b32 s77, s30
	s_mov_b32 s78, s31
	;; [unrolled: 1-line block ×3, first 2 shown]
	s_add_i32 s31, s4, s56
	s_mul_i32 s30, s55, s45
	v_mul_hi_u32 v2, v3, v2
	s_mov_b32 s75, s44
	s_mov_b32 s76, s5
	s_mov_b64 s[4:5], 0
	v_add_u32_e32 v23, v3, v2
	s_lshl_b64 s[30:31], s[30:31], 1
	s_lshl_b64 s[44:45], s[0:1], 1
	s_lshl_b64 s[46:47], s[2:3], 1
	s_sub_i32 s29, 0, s29
	v_mov_b32_e32 v3, 0
	s_branch .LBB104_3
.LBB104_2:                              ;   in Loop: Header=BB104_3 Depth=1
	v_add_u32_e32 v0, s66, v0
	v_cmp_le_i32_e32 vcc, s33, v0
	s_or_b64 s[4:5], vcc, s[4:5]
	s_andn2_b64 exec, exec, s[4:5]
	s_cbranch_execz .LBB104_23
.LBB104_3:                              ; =>This Loop Header: Depth=1
                                        ;     Child Loop BB104_8 Depth 2
                                        ;       Child Loop BB104_11 Depth 3
                                        ;         Child Loop BB104_14 Depth 4
                                        ;           Child Loop BB104_17 Depth 5
	v_sub_u32_e32 v5, 0, v0
	v_max_i32_e32 v5, v0, v5
	v_mul_hi_u32 v6, v5, v1
	v_mul_lo_u32 v7, v6, s67
	v_sub_u32_e32 v7, v5, v7
	v_add_u32_e32 v8, 1, v6
	v_cmp_le_u32_e32 vcc, s67, v7
	v_ashrrev_i32_e32 v4, 31, v0
	v_xor_b32_e32 v2, s63, v4
	v_cndmask_b32_e32 v6, v6, v8, vcc
	v_subrev_u32_e32 v8, s67, v7
	v_cndmask_b32_e32 v7, v7, v8, vcc
	v_add_u32_e32 v8, 1, v6
	v_cmp_le_u32_e32 vcc, s67, v7
	s_mov_b64 s[50:51], -1
                                        ; implicit-def: $sgpr48_sgpr49
	s_nop 0
	v_cndmask_b32_e32 v6, v6, v8, vcc
	v_xor_b32_e32 v6, v6, v2
	v_sub_u32_e32 v2, v6, v2
	v_sub_u32_e32 v6, 0, v2
	v_max_i32_e32 v6, v2, v6
	v_mul_hi_u32 v7, v6, v20
	v_mul_lo_u32 v7, v7, s68
	v_mul_hi_u32 v8, v5, v21
	v_sub_u32_e32 v6, v6, v7
	v_mul_lo_u32 v9, v8, s70
	v_subrev_u32_e32 v7, s68, v6
	v_cmp_le_u32_e32 vcc, s68, v6
	v_sub_u32_e32 v9, v5, v9
	v_add_u32_e32 v10, 1, v8
	v_cndmask_b32_e32 v6, v6, v7, vcc
	v_cmp_le_u32_e32 vcc, s70, v9
	v_xor_b32_e32 v7, s69, v4
	v_xor_b32_e32 v4, s72, v4
	v_cndmask_b32_e32 v8, v8, v10, vcc
	v_subrev_u32_e32 v10, s70, v9
	v_cndmask_b32_e32 v9, v9, v10, vcc
	v_add_u32_e32 v10, 1, v8
	v_cmp_le_u32_e32 vcc, s70, v9
	v_cmp_le_u32_e64 s[0:1], s68, v6
	s_nop 0
	v_cndmask_b32_e32 v8, v8, v10, vcc
	v_xor_b32_e32 v8, v8, v7
	v_sub_u32_e32 v7, v8, v7
	v_sub_u32_e32 v8, 0, v7
	v_max_i32_e32 v8, v7, v8
	v_mul_hi_u32 v9, v8, v22
	v_mul_lo_u32 v9, v9, s71
	v_sub_u32_e32 v8, v8, v9
	v_subrev_u32_e32 v9, s71, v8
	v_cmp_le_u32_e32 vcc, s71, v8
	s_nop 1
	v_cndmask_b32_e32 v9, v8, v9, vcc
	v_mul_hi_u32 v8, v5, v23
	v_mul_lo_u32 v10, v8, s73
	v_sub_u32_e32 v5, v5, v10
	v_add_u32_e32 v10, 1, v8
	v_cmp_le_u32_e32 vcc, s73, v5
	v_cmp_le_u32_e64 s[2:3], s71, v9
	s_nop 0
	v_cndmask_b32_e32 v8, v8, v10, vcc
	v_subrev_u32_e32 v10, s73, v5
	v_cndmask_b32_e32 v5, v5, v10, vcc
	v_add_u32_e32 v10, 1, v8
	v_cmp_le_u32_e32 vcc, s73, v5
	s_nop 1
	v_cndmask_b32_e32 v5, v8, v10, vcc
	v_xor_b32_e32 v5, v5, v4
	v_sub_u32_e32 v4, v5, v4
	s_andn2_b64 vcc, exec, s[8:9]
	s_cbranch_vccnz .LBB104_5
; %bb.4:                                ;   in Loop: Header=BB104_3 Depth=1
	v_ashrrev_i32_e32 v5, 31, v4
	s_mov_b64 s[50:51], 0
	s_mov_b64 s[48:49], 0
.LBB104_5:                              ;   in Loop: Header=BB104_3 Depth=1
	v_subrev_u32_e32 v10, s68, v6
	v_mul_lo_u32 v8, v2, s75
	v_ashrrev_i32_e32 v2, 31, v2
	v_cndmask_b32_e64 v6, v6, v10, s[0:1]
	v_xor_b32_e32 v6, v6, v2
	v_sub_u32_e32 v10, v6, v2
	v_subrev_u32_e32 v6, s71, v9
	v_ashrrev_i32_e32 v2, 31, v7
	v_cndmask_b32_e64 v6, v9, v6, s[2:3]
	v_xor_b32_e32 v6, v6, v2
	v_sub_u32_e32 v8, v0, v8
	v_sub_u32_e32 v12, v6, v2
	s_andn2_b64 vcc, exec, s[50:51]
	v_mov_b64_e32 v[6:7], s[48:49]
	s_cbranch_vccnz .LBB104_19
; %bb.6:                                ;   in Loop: Header=BB104_3 Depth=1
	v_mul_lo_u32 v2, v8, s18
	v_mul_lo_u32 v9, v12, s16
	;; [unrolled: 1-line block ×3, first 2 shown]
	v_ashrrev_i32_e32 v5, 31, v4
	v_add_u32_e32 v13, s29, v2
	s_mov_b32 s79, 0
	v_mov_b64_e32 v[6:7], 0
	s_mov_b64 s[2:3], s[42:43]
	s_branch .LBB104_8
.LBB104_7:                              ;   in Loop: Header=BB104_8 Depth=2
	s_add_i32 s79, s79, 1
	s_add_u32 s2, s2, s30
	s_addc_u32 s3, s3, s31
	s_cmp_eq_u32 s79, s7
	s_cbranch_scc1 .LBB104_19
.LBB104_8:                              ;   Parent Loop BB104_3 Depth=1
                                        ; =>  This Loop Header: Depth=2
                                        ;       Child Loop BB104_11 Depth 3
                                        ;         Child Loop BB104_14 Depth 4
                                        ;           Child Loop BB104_17 Depth 5
	s_andn2_b64 vcc, exec, s[34:35]
	s_cbranch_vccnz .LBB104_7
; %bb.9:                                ;   in Loop: Header=BB104_8 Depth=2
	v_mov_b32_e32 v2, s64
	v_mad_u64_u32 v[14:15], s[0:1], s79, v2, v[4:5]
	s_mul_i32 s0, s79, s65
	s_nop 0
	v_add_u32_e32 v2, s0, v15
	v_mul_lo_u32 v16, v14, s58
	v_mul_lo_u32 v2, v2, s74
	v_mad_u64_u32 v[14:15], s[0:1], v14, s74, 0
	v_add3_u32 v15, v15, v16, v2
	s_mov_b32 s80, 0
	s_mov_b64 s[48:49], s[2:3]
	s_branch .LBB104_11
.LBB104_10:                             ;   in Loop: Header=BB104_11 Depth=3
	s_add_i32 s80, s80, 1
	s_add_u32 s48, s48, s44
	s_addc_u32 s49, s49, s45
	s_cmp_eq_u32 s80, s10
	s_cbranch_scc1 .LBB104_7
.LBB104_11:                             ;   Parent Loop BB104_3 Depth=1
                                        ;     Parent Loop BB104_8 Depth=2
                                        ; =>    This Loop Header: Depth=3
                                        ;         Child Loop BB104_14 Depth 4
                                        ;           Child Loop BB104_17 Depth 5
	s_andn2_b64 vcc, exec, s[36:37]
	s_cbranch_vccnz .LBB104_10
; %bb.12:                               ;   in Loop: Header=BB104_11 Depth=3
	s_mul_i32 s0, s80, s13
	s_sub_i32 s0, s0, s19
	v_add_u32_e32 v2, s0, v9
	v_cmp_gt_i32_e32 vcc, 0, v2
	v_cmp_le_i32_e64 s[0:1], s74, v2
	v_lshl_add_u64 v[16:17], v[14:15], 0, v[2:3]
	s_or_b64 s[50:51], vcc, s[0:1]
	v_mul_lo_u32 v2, v17, s76
	v_mul_lo_u32 v18, v16, s59
	v_mad_u64_u32 v[16:17], s[0:1], v16, s76, 0
	s_mov_b32 s81, 0
	v_add3_u32 v17, v17, v18, v2
	s_mov_b64 s[52:53], s[48:49]
	s_branch .LBB104_14
.LBB104_13:                             ;   in Loop: Header=BB104_14 Depth=4
	s_add_i32 s81, s81, 1
	s_add_u32 s52, s52, s46
	s_addc_u32 s53, s53, s47
	s_cmp_eq_u32 s81, s11
	s_cbranch_scc1 .LBB104_10
.LBB104_14:                             ;   Parent Loop BB104_3 Depth=1
                                        ;     Parent Loop BB104_8 Depth=2
                                        ;       Parent Loop BB104_11 Depth=3
                                        ; =>      This Loop Header: Depth=4
                                        ;           Child Loop BB104_17 Depth 5
	s_andn2_b64 vcc, exec, s[38:39]
	s_cbranch_vccnz .LBB104_13
; %bb.15:                               ;   in Loop: Header=BB104_14 Depth=4
	s_mul_i32 s0, s81, s14
	s_sub_i32 s0, s0, s28
	v_add_u32_e32 v2, s0, v11
	v_cmp_gt_i32_e32 vcc, 0, v2
	v_cmp_le_i32_e64 s[0:1], s76, v2
	s_or_b64 s[0:1], vcc, s[0:1]
	v_lshl_add_u64 v[18:19], v[16:17], 0, v[2:3]
	s_or_b64 s[54:55], s[50:51], s[0:1]
	v_mul_lo_u32 v2, v19, s6
	v_mul_lo_u32 v24, v18, s60
	v_mad_u64_u32 v[18:19], s[0:1], v18, s6, 0
	v_add3_u32 v19, v19, v24, v2
	v_lshl_add_u64 v[18:19], v[18:19], 1, s[20:21]
	v_mov_b32_e32 v2, v13
	s_mov_b64 s[56:57], s[52:53]
	s_mov_b32 s82, s12
	s_branch .LBB104_17
.LBB104_16:                             ;   in Loop: Header=BB104_17 Depth=5
	s_or_b64 exec, exec, s[0:1]
	s_add_i32 s82, s82, -1
	s_add_u32 s56, s56, 2
	s_addc_u32 s57, s57, 0
	s_cmp_eq_u32 s82, 0
	v_add_u32_e32 v2, s15, v2
	s_cbranch_scc1 .LBB104_13
.LBB104_17:                             ;   Parent Loop BB104_3 Depth=1
                                        ;     Parent Loop BB104_8 Depth=2
                                        ;       Parent Loop BB104_11 Depth=3
                                        ;         Parent Loop BB104_14 Depth=4
                                        ; =>        This Inner Loop Header: Depth=5
	v_cmp_gt_i32_e32 vcc, 0, v2
	v_cmp_le_i32_e64 s[0:1], s6, v2
	s_or_b64 s[0:1], vcc, s[0:1]
	s_or_b64 s[0:1], s[54:55], s[0:1]
	s_xor_b64 s[84:85], s[0:1], -1
	s_and_saveexec_b64 s[0:1], s[84:85]
	s_cbranch_execz .LBB104_16
; %bb.18:                               ;   in Loop: Header=BB104_17 Depth=5
	v_lshl_add_u64 v[24:25], v[2:3], 1, v[18:19]
	global_load_ushort v24, v[24:25], off
	s_nop 0
	global_load_ushort v25, v3, s[56:57]
	s_waitcnt vmcnt(1)
	v_cvt_f32_f16_e32 v24, v24
	s_waitcnt vmcnt(0)
	v_cvt_f32_f16_e32 v26, v25
	v_cvt_f64_f32_e32 v[24:25], v24
	v_cvt_f64_f32_e32 v[26:27], v26
	v_fmac_f64_e32 v[6:7], v[24:25], v[26:27]
	s_branch .LBB104_16
.LBB104_19:                             ;   in Loop: Header=BB104_3 Depth=1
	v_ashrrev_i32_e32 v13, 31, v12
	v_mul_lo_u32 v2, v4, s61
	v_mul_lo_u32 v9, v5, s77
	v_mad_u64_u32 v[4:5], s[0:1], v4, s77, v[12:13]
	v_add3_u32 v2, v9, v5, v2
	v_ashrrev_i32_e32 v11, 31, v10
	v_mul_lo_u32 v2, v2, s78
	v_mad_u64_u32 v[10:11], s[0:1], v4, s78, v[10:11]
	v_mul_lo_u32 v4, v4, s62
	v_add3_u32 v2, v2, v11, v4
	v_ashrrev_i32_e32 v9, 31, v8
	v_mul_lo_u32 v2, v2, s75
	v_mul_lo_u32 v11, v10, s63
	v_mad_u64_u32 v[4:5], s[0:1], v10, s75, v[8:9]
	v_add3_u32 v5, v2, v5, v11
	s_mov_b64 s[0:1], -1
	s_and_b64 vcc, exec, s[40:41]
	s_cbranch_vccz .LBB104_21
; %bb.20:                               ;   in Loop: Header=BB104_3 Depth=1
	v_lshl_add_u64 v[8:9], v[4:5], 1, s[22:23]
	global_load_ushort v2, v[8:9], off
	s_mov_b64 s[0:1], 0
	s_waitcnt vmcnt(0)
	v_cvt_f32_f16_e32 v2, v2
	v_cvt_f64_f32_e32 v[10:11], v2
	v_mul_f64 v[10:11], v[10:11], s[26:27]
	v_fmac_f64_e32 v[10:11], s[24:25], v[6:7]
	v_cvt_f32_f64_e32 v2, v[10:11]
	v_cvt_f16_f32_e32 v2, v2
	global_store_short v[8:9], v2, off
.LBB104_21:                             ;   in Loop: Header=BB104_3 Depth=1
	s_andn2_b64 vcc, exec, s[0:1]
	s_cbranch_vccnz .LBB104_2
; %bb.22:                               ;   in Loop: Header=BB104_3 Depth=1
	v_cvt_f32_f64_e32 v2, v[6:7]
	v_cvt_f16_f32_e32 v2, v2
	v_lshl_add_u64 v[4:5], v[4:5], 1, s[22:23]
	global_store_short v[4:5], v2, off
	s_branch .LBB104_2
.LBB104_23:
	s_endpgm
	.section	.rodata,"a",@progbits
	.p2align	6, 0x0
	.amdhsa_kernel naive_conv_ab_packed_wrw_ncdhw_half_double_half_0
		.amdhsa_group_segment_fixed_size 0
		.amdhsa_private_segment_fixed_size 0
		.amdhsa_kernarg_size 528
		.amdhsa_user_sgpr_count 2
		.amdhsa_user_sgpr_dispatch_ptr 0
		.amdhsa_user_sgpr_queue_ptr 0
		.amdhsa_user_sgpr_kernarg_segment_ptr 1
		.amdhsa_user_sgpr_dispatch_id 0
		.amdhsa_user_sgpr_kernarg_preload_length 0
		.amdhsa_user_sgpr_kernarg_preload_offset 0
		.amdhsa_user_sgpr_private_segment_size 0
		.amdhsa_uses_dynamic_stack 0
		.amdhsa_enable_private_segment 0
		.amdhsa_system_sgpr_workgroup_id_x 1
		.amdhsa_system_sgpr_workgroup_id_y 0
		.amdhsa_system_sgpr_workgroup_id_z 0
		.amdhsa_system_sgpr_workgroup_info 0
		.amdhsa_system_vgpr_workitem_id 0
		.amdhsa_next_free_vgpr 28
		.amdhsa_next_free_sgpr 86
		.amdhsa_accum_offset 28
		.amdhsa_reserve_vcc 1
		.amdhsa_float_round_mode_32 0
		.amdhsa_float_round_mode_16_64 0
		.amdhsa_float_denorm_mode_32 3
		.amdhsa_float_denorm_mode_16_64 3
		.amdhsa_dx10_clamp 1
		.amdhsa_ieee_mode 1
		.amdhsa_fp16_overflow 0
		.amdhsa_tg_split 0
		.amdhsa_exception_fp_ieee_invalid_op 0
		.amdhsa_exception_fp_denorm_src 0
		.amdhsa_exception_fp_ieee_div_zero 0
		.amdhsa_exception_fp_ieee_overflow 0
		.amdhsa_exception_fp_ieee_underflow 0
		.amdhsa_exception_fp_ieee_inexact 0
		.amdhsa_exception_int_div_zero 0
	.end_amdhsa_kernel
	.text
.Lfunc_end104:
	.size	naive_conv_ab_packed_wrw_ncdhw_half_double_half_0, .Lfunc_end104-naive_conv_ab_packed_wrw_ncdhw_half_double_half_0
                                        ; -- End function
	.section	.AMDGPU.csdata,"",@progbits
; Kernel info:
; codeLenInByte = 2068
; NumSgprs: 92
; NumVgprs: 28
; NumAgprs: 0
; TotalNumVgprs: 28
; ScratchSize: 0
; MemoryBound: 0
; FloatMode: 240
; IeeeMode: 1
; LDSByteSize: 0 bytes/workgroup (compile time only)
; SGPRBlocks: 11
; VGPRBlocks: 3
; NumSGPRsForWavesPerEU: 92
; NumVGPRsForWavesPerEU: 28
; AccumOffset: 28
; Occupancy: 8
; WaveLimiterHint : 0
; COMPUTE_PGM_RSRC2:SCRATCH_EN: 0
; COMPUTE_PGM_RSRC2:USER_SGPR: 2
; COMPUTE_PGM_RSRC2:TRAP_HANDLER: 0
; COMPUTE_PGM_RSRC2:TGID_X_EN: 1
; COMPUTE_PGM_RSRC2:TGID_Y_EN: 0
; COMPUTE_PGM_RSRC2:TGID_Z_EN: 0
; COMPUTE_PGM_RSRC2:TIDIG_COMP_CNT: 0
; COMPUTE_PGM_RSRC3_GFX90A:ACCUM_OFFSET: 6
; COMPUTE_PGM_RSRC3_GFX90A:TG_SPLIT: 0
	.text
	.protected	naive_conv_ab_nonpacked_wrw_ncdhw_half_double_half_0 ; -- Begin function naive_conv_ab_nonpacked_wrw_ncdhw_half_double_half_0
	.globl	naive_conv_ab_nonpacked_wrw_ncdhw_half_double_half_0
	.p2align	8
	.type	naive_conv_ab_nonpacked_wrw_ncdhw_half_double_half_0,@function
naive_conv_ab_nonpacked_wrw_ncdhw_half_double_half_0: ; @naive_conv_ab_nonpacked_wrw_ncdhw_half_double_half_0
; %bb.0:
	s_load_dwordx16 s[4:19], s[0:1], 0xb8
	s_load_dword s33, s[0:1], 0x108
	s_load_dwordx4 s[28:31], s[0:1], 0xf8
	s_waitcnt lgkmcnt(0)
	s_abs_i32 s34, s8
	v_cvt_f32_u32_e32 v1, s34
	s_mul_i32 s70, s33, s31
	s_mul_i32 s3, s70, s30
	;; [unrolled: 1-line block ×3, first 2 shown]
	v_rcp_iflag_f32_e32 v1, v1
	v_cmp_gt_i32_e32 vcc, s80, v0
	v_mul_f32_e32 v1, 0x4f7ffffe, v1
	v_cvt_u32_f32_e32 v1, v1
	s_nop 0
	v_readfirstlane_b32 s9, v1
	s_and_saveexec_b64 s[20:21], vcc
	s_cbranch_execz .LBB105_23
; %bb.1:
	s_sub_i32 s36, 0, s34
	s_mul_i32 s36, s36, s9
	s_mul_hi_u32 s36, s9, s36
	s_abs_i32 s69, s2
	s_add_i32 s9, s9, s36
	s_ashr_i32 s35, s2, 31
	s_ashr_i32 s68, s8, 31
	s_mul_hi_u32 s9, s69, s9
	s_xor_b32 s35, s35, s68
	s_mul_i32 s68, s9, s34
	s_sub_i32 s68, s69, s68
	s_add_i32 s69, s9, 1
	s_sub_i32 s71, s68, s34
	s_cmp_ge_u32 s68, s34
	s_cselect_b32 s9, s69, s9
	s_cselect_b32 s68, s71, s68
	s_add_i32 s69, s9, 1
	s_cmp_ge_u32 s68, s34
	s_load_dwordx16 s[36:51], s[0:1], 0x28
	s_load_dwordx16 s[52:67], s[0:1], 0x68
	s_cselect_b32 s9, s69, s9
	s_xor_b32 s9, s9, s35
	s_sub_i32 s68, s9, s35
	s_load_dwordx8 s[20:27], s[0:1], 0x0
	s_mul_i32 s8, s68, s8
	s_ashr_i32 s69, s68, 31
	s_sub_i32 s2, s2, s8
	s_waitcnt lgkmcnt(0)
	s_mul_i32 s8, s44, s69
	s_mul_hi_u32 s9, s44, s68
	s_add_i32 s8, s9, s8
	s_mul_i32 s9, s45, s68
	s_add_i32 s9, s8, s9
	s_mul_i32 s8, s44, s68
	s_lshl_b64 s[8:9], s[8:9], 1
	s_add_u32 s8, s20, s8
	s_addc_u32 s9, s21, s9
	s_mul_i32 s20, s58, s69
	s_mul_hi_u32 s21, s58, s68
	s_ashr_i32 s44, s2, 31
	s_add_i32 s20, s21, s20
	s_mul_i32 s21, s59, s68
	s_mul_i32 s34, s56, s44
	s_mul_hi_u32 s35, s56, s2
	s_add_i32 s21, s20, s21
	s_mul_i32 s20, s58, s68
	s_add_i32 s34, s35, s34
	s_mul_i32 s35, s57, s2
	s_add_i32 s35, s34, s35
	s_lshl_b64 s[20:21], s[20:21], 1
	s_mul_i32 s34, s56, s2
	s_add_u32 s22, s22, s20
	s_addc_u32 s23, s23, s21
	s_lshl_b64 s[20:21], s[34:35], 1
	s_add_u32 s34, s22, s20
	s_addc_u32 s35, s23, s21
	s_load_dword s71, s[0:1], 0x11c
	s_load_dwordx4 s[20:23], s[0:1], 0xa8
	s_mul_i32 s44, s66, s44
	s_load_dwordx2 s[0:1], s[0:1], 0x20
	v_mov_b32_e32 v19, 0
	s_waitcnt lgkmcnt(0)
	s_mul_i32 s45, s20, s69
	s_mul_hi_u32 s56, s20, s68
	s_add_i32 s45, s56, s45
	s_mul_i32 s21, s21, s68
	s_add_i32 s21, s45, s21
	s_mul_hi_u32 s45, s66, s2
	s_mul_i32 s20, s20, s68
	s_add_i32 s44, s45, s44
	s_mul_i32 s45, s67, s2
	s_add_i32 s45, s44, s45
	s_lshl_b64 s[20:21], s[20:21], 1
	s_add_u32 s20, s0, s20
	s_mul_i32 s44, s66, s2
	s_addc_u32 s21, s1, s21
	s_lshl_b64 s[0:1], s[44:45], 1
	s_add_u32 s20, s20, s0
	s_addc_u32 s21, s21, s1
	s_cmp_lt_i32 s7, 1
	s_cselect_b64 s[44:45], -1, 0
	s_cmp_gt_i32 s10, 0
	s_cselect_b64 s[56:57], -1, 0
	s_cmp_gt_i32 s11, 0
	;; [unrolled: 2-line block ×3, first 2 shown]
	s_cselect_b64 s[66:67], -1, 0
	s_abs_i32 s81, s33
	v_cvt_f32_u32_e32 v1, s81
	s_abs_i32 s82, s31
	v_cvt_f32_u32_e32 v3, s82
	;; [unrolled: 2-line block ×4, first 2 shown]
	s_abs_i32 s85, s3
	v_rcp_iflag_f32_e32 v1, v1
	v_cvt_f32_u32_e32 v9, s85
	v_rcp_iflag_f32_e32 v3, v3
	v_rcp_iflag_f32_e32 v5, v5
	;; [unrolled: 1-line block ×3, first 2 shown]
	v_mul_f32_e32 v1, 0x4f7ffffe, v1
	v_rcp_iflag_f32_e32 v9, v9
	v_cvt_u32_f32_e32 v1, v1
	v_mul_f32_e32 v3, 0x4f7ffffe, v3
	v_cvt_u32_f32_e32 v3, v3
	v_mul_f32_e32 v5, 0x4f7ffffe, v5
	v_cmp_neq_f64_e64 s[0:1], s[24:25], 1.0
	v_cmp_neq_f64_e64 s[68:69], s[26:27], 0
	v_cvt_u32_f32_e32 v5, v5
	v_mul_f32_e32 v7, 0x4f7ffffe, v7
	s_or_b64 s[68:69], s[0:1], s[68:69]
	s_sub_i32 s0, 0, s81
	v_cvt_u32_f32_e32 v7, v7
	v_mul_f32_e32 v9, 0x4f7ffffe, v9
	v_mul_lo_u32 v2, s0, v1
	s_sub_i32 s0, 0, s82
	v_cvt_u32_f32_e32 v9, v9
	v_mul_lo_u32 v4, s0, v3
	s_sub_i32 s0, 0, s83
	v_mul_hi_u32 v2, v1, v2
	v_mul_lo_u32 v6, s0, v5
	s_sub_i32 s0, 0, s84
	v_add_u32_e32 v1, v1, v2
	v_mul_hi_u32 v2, v3, v4
	v_mul_lo_u32 v8, s0, v7
	s_sub_i32 s0, 0, s85
	v_add_u32_e32 v3, v3, v2
	v_mul_hi_u32 v2, v5, v6
	v_mul_lo_u32 v10, s0, v9
	v_add_u32_e32 v16, v5, v2
	v_mul_hi_u32 v2, v7, v8
	v_add_u32_e32 v17, v7, v2
	v_mul_hi_u32 v2, v9, v10
	s_lshl_b64 s[22:23], s[22:23], 1
	s_and_b32 s86, s71, 0xffff
	s_ashr_i32 s87, s70, 31
	s_ashr_i32 s88, s3, 31
	v_add_u32_e32 v18, v9, v2
	s_ashr_i32 s89, s33, 31
	s_sub_i32 s29, 0, s29
	s_mov_b64 s[30:31], 0
	s_lshl_b64 s[64:65], s[64:65], 1
	s_lshl_b64 s[62:63], s[62:63], 1
	;; [unrolled: 1-line block ×3, first 2 shown]
	s_branch .LBB105_3
.LBB105_2:                              ;   in Loop: Header=BB105_3 Depth=1
	v_add_u32_e32 v0, s86, v0
	v_cmp_le_i32_e32 vcc, s80, v0
	s_or_b64 s[30:31], vcc, s[30:31]
	s_andn2_b64 exec, exec, s[30:31]
	s_cbranch_execz .LBB105_23
.LBB105_3:                              ; =>This Loop Header: Depth=1
                                        ;     Child Loop BB105_8 Depth 2
                                        ;       Child Loop BB105_11 Depth 3
                                        ;         Child Loop BB105_14 Depth 4
                                        ;           Child Loop BB105_17 Depth 5
	v_sub_u32_e32 v5, 0, v0
	v_max_i32_e32 v5, v0, v5
	v_mul_hi_u32 v6, v5, v1
	v_mul_lo_u32 v7, v6, s81
	v_sub_u32_e32 v7, v5, v7
	v_add_u32_e32 v8, 1, v6
	v_cmp_le_u32_e32 vcc, s81, v7
	v_ashrrev_i32_e32 v2, 31, v0
	v_xor_b32_e32 v4, s89, v2
	v_cndmask_b32_e32 v6, v6, v8, vcc
	v_subrev_u32_e32 v8, s81, v7
	v_cndmask_b32_e32 v7, v7, v8, vcc
	v_add_u32_e32 v8, 1, v6
	v_cmp_le_u32_e32 vcc, s81, v7
	s_mov_b64 s[72:73], -1
                                        ; implicit-def: $sgpr70_sgpr71
	s_nop 0
	v_cndmask_b32_e32 v6, v6, v8, vcc
	v_xor_b32_e32 v6, v6, v4
	v_sub_u32_e32 v6, v6, v4
	v_sub_u32_e32 v4, 0, v6
	v_max_i32_e32 v4, v6, v4
	v_mul_hi_u32 v7, v4, v3
	v_mul_lo_u32 v7, v7, s82
	v_mul_hi_u32 v8, v5, v16
	v_sub_u32_e32 v4, v4, v7
	v_mul_lo_u32 v9, v8, s83
	v_subrev_u32_e32 v7, s82, v4
	v_cmp_le_u32_e32 vcc, s82, v4
	v_sub_u32_e32 v9, v5, v9
	v_add_u32_e32 v10, 1, v8
	v_cndmask_b32_e32 v7, v4, v7, vcc
	v_cmp_le_u32_e32 vcc, s83, v9
	v_xor_b32_e32 v4, s87, v2
	v_xor_b32_e32 v2, s88, v2
	v_cndmask_b32_e32 v8, v8, v10, vcc
	v_subrev_u32_e32 v10, s83, v9
	v_cndmask_b32_e32 v9, v9, v10, vcc
	v_add_u32_e32 v10, 1, v8
	v_cmp_le_u32_e32 vcc, s83, v9
	v_cmp_le_u32_e64 s[0:1], s82, v7
	s_nop 0
	v_cndmask_b32_e32 v8, v8, v10, vcc
	v_xor_b32_e32 v8, v8, v4
	v_sub_u32_e32 v8, v8, v4
	v_sub_u32_e32 v4, 0, v8
	v_max_i32_e32 v4, v8, v4
	v_mul_hi_u32 v9, v4, v17
	v_mul_lo_u32 v9, v9, s84
	v_sub_u32_e32 v4, v4, v9
	v_subrev_u32_e32 v9, s84, v4
	v_cmp_le_u32_e32 vcc, s84, v4
	s_nop 1
	v_cndmask_b32_e32 v9, v4, v9, vcc
	v_mul_hi_u32 v4, v5, v18
	v_mul_lo_u32 v10, v4, s85
	v_sub_u32_e32 v5, v5, v10
	v_add_u32_e32 v10, 1, v4
	v_cmp_le_u32_e32 vcc, s85, v5
	v_cmp_le_u32_e64 s[2:3], s84, v9
	s_nop 0
	v_cndmask_b32_e32 v4, v4, v10, vcc
	v_subrev_u32_e32 v10, s85, v5
	v_cndmask_b32_e32 v5, v5, v10, vcc
	v_add_u32_e32 v10, 1, v4
	v_cmp_le_u32_e32 vcc, s85, v5
	s_nop 1
	v_cndmask_b32_e32 v4, v4, v10, vcc
	v_xor_b32_e32 v4, v4, v2
	v_sub_u32_e32 v2, v4, v2
	s_andn2_b64 vcc, exec, s[44:45]
                                        ; implicit-def: $vgpr4_vgpr5
	s_cbranch_vccnz .LBB105_5
; %bb.4:                                ;   in Loop: Header=BB105_3 Depth=1
	v_ashrrev_i32_e32 v5, 31, v2
	s_mov_b64 s[72:73], 0
	s_mov_b64 s[70:71], 0
.LBB105_5:                              ;   in Loop: Header=BB105_3 Depth=1
	v_mul_lo_u32 v4, v6, s33
	v_sub_u32_e32 v20, v0, v4
	v_ashrrev_i32_e32 v4, 31, v6
	v_subrev_u32_e32 v6, s82, v7
	v_cndmask_b32_e64 v6, v7, v6, s[0:1]
	v_xor_b32_e32 v6, v6, v4
	v_sub_u32_e32 v21, v6, v4
	v_subrev_u32_e32 v6, s84, v9
	v_ashrrev_i32_e32 v4, 31, v8
	v_cndmask_b32_e64 v6, v9, v6, s[2:3]
	v_xor_b32_e32 v6, v6, v4
	v_sub_u32_e32 v4, v6, v4
	s_andn2_b64 vcc, exec, s[72:73]
	v_mov_b64_e32 v[6:7], s[70:71]
	s_cbranch_vccnz .LBB105_19
; %bb.6:                                ;   in Loop: Header=BB105_3 Depth=1
	v_ashrrev_i32_e32 v5, 31, v2
	v_mul_lo_u32 v8, s43, v2
	v_mul_lo_u32 v9, s42, v5
	v_mad_u64_u32 v[6:7], s[0:1], s42, v2, 0
	v_mul_lo_u32 v10, v20, s18
	v_add3_u32 v7, v7, v9, v8
	v_mul_lo_u32 v22, v4, s16
	v_mul_lo_u32 v23, v21, s17
	v_lshl_add_u64 v[8:9], v[6:7], 1, s[8:9]
	v_add_u32_e32 v24, s29, v10
	s_mov_b32 s90, 0
	v_mov_b64_e32 v[6:7], 0
	s_mov_b64 s[2:3], s[20:21]
	s_branch .LBB105_8
.LBB105_7:                              ;   in Loop: Header=BB105_8 Depth=2
	s_add_i32 s90, s90, 1
	s_add_u32 s2, s2, s22
	s_addc_u32 s3, s3, s23
	s_cmp_eq_u32 s90, s7
	s_cbranch_scc1 .LBB105_19
.LBB105_8:                              ;   Parent Loop BB105_3 Depth=1
                                        ; =>  This Loop Header: Depth=2
                                        ;       Child Loop BB105_11 Depth 3
                                        ;         Child Loop BB105_14 Depth 4
                                        ;           Child Loop BB105_17 Depth 5
	s_andn2_b64 vcc, exec, s[56:57]
	s_cbranch_vccnz .LBB105_7
; %bb.9:                                ;   in Loop: Header=BB105_8 Depth=2
	s_mul_i32 s0, s47, s90
	s_mul_hi_u32 s1, s46, s90
	s_add_i32 s1, s1, s0
	s_mul_i32 s0, s46, s90
	v_lshl_add_u64 v[10:11], s[0:1], 1, v[8:9]
	s_mov_b32 s91, 0
	s_mov_b64 s[70:71], s[2:3]
	s_branch .LBB105_11
.LBB105_10:                             ;   in Loop: Header=BB105_11 Depth=3
	s_add_i32 s91, s91, 1
	s_add_u32 s70, s70, s64
	s_addc_u32 s71, s71, s65
	s_cmp_eq_u32 s91, s10
	s_cbranch_scc1 .LBB105_7
.LBB105_11:                             ;   Parent Loop BB105_3 Depth=1
                                        ;     Parent Loop BB105_8 Depth=2
                                        ; =>    This Loop Header: Depth=3
                                        ;         Child Loop BB105_14 Depth 4
                                        ;           Child Loop BB105_17 Depth 5
	s_andn2_b64 vcc, exec, s[58:59]
	s_cbranch_vccnz .LBB105_10
; %bb.12:                               ;   in Loop: Header=BB105_11 Depth=3
	s_mul_i32 s0, s91, s13
	s_sub_i32 s0, s0, s19
	v_add_u32_e32 v15, s0, v22
	v_cmp_gt_i32_e32 vcc, 0, v15
	v_cmp_le_i32_e64 s[0:1], s4, v15
	s_or_b64 s[72:73], vcc, s[0:1]
	v_mad_u64_u32 v[12:13], s[0:1], s40, v15, 0
	v_mov_b32_e32 v14, v13
	v_mad_u64_u32 v[14:15], s[0:1], s41, v15, v[14:15]
	v_mov_b32_e32 v13, v14
	s_mov_b32 s92, 0
	v_lshl_add_u64 v[12:13], v[12:13], 1, v[10:11]
	s_mov_b64 s[74:75], s[70:71]
	s_branch .LBB105_14
.LBB105_13:                             ;   in Loop: Header=BB105_14 Depth=4
	s_add_i32 s92, s92, 1
	s_add_u32 s74, s74, s62
	s_addc_u32 s75, s75, s63
	s_cmp_eq_u32 s92, s11
	s_cbranch_scc1 .LBB105_10
.LBB105_14:                             ;   Parent Loop BB105_3 Depth=1
                                        ;     Parent Loop BB105_8 Depth=2
                                        ;       Parent Loop BB105_11 Depth=3
                                        ; =>      This Loop Header: Depth=4
                                        ;           Child Loop BB105_17 Depth 5
	s_andn2_b64 vcc, exec, s[66:67]
	s_cbranch_vccnz .LBB105_13
; %bb.15:                               ;   in Loop: Header=BB105_14 Depth=4
	s_mul_i32 s0, s92, s14
	s_sub_i32 s0, s0, s28
	v_add_u32_e32 v25, s0, v23
	v_cmp_gt_i32_e32 vcc, 0, v25
	v_cmp_le_i32_e64 s[0:1], s5, v25
	s_or_b64 s[0:1], vcc, s[0:1]
	s_or_b64 s[76:77], s[72:73], s[0:1]
	v_mad_u64_u32 v[14:15], s[0:1], s38, v25, 0
	v_mov_b32_e32 v26, v15
	v_mad_u64_u32 v[26:27], s[0:1], s39, v25, v[26:27]
	v_mov_b32_e32 v15, v26
	v_lshl_add_u64 v[14:15], v[14:15], 1, v[12:13]
	v_mov_b32_e32 v25, v24
	s_mov_b64 s[78:79], s[74:75]
	s_mov_b32 s93, s12
	s_branch .LBB105_17
.LBB105_16:                             ;   in Loop: Header=BB105_17 Depth=5
	s_or_b64 exec, exec, s[0:1]
	s_add_i32 s93, s93, -1
	s_add_u32 s78, s78, s60
	s_addc_u32 s79, s79, s61
	s_cmp_eq_u32 s93, 0
	v_add_u32_e32 v25, s15, v25
	s_cbranch_scc1 .LBB105_13
.LBB105_17:                             ;   Parent Loop BB105_3 Depth=1
                                        ;     Parent Loop BB105_8 Depth=2
                                        ;       Parent Loop BB105_11 Depth=3
                                        ;         Parent Loop BB105_14 Depth=4
                                        ; =>        This Inner Loop Header: Depth=5
	v_cmp_gt_i32_e32 vcc, 0, v25
	v_cmp_le_i32_e64 s[0:1], s6, v25
	s_or_b64 s[0:1], vcc, s[0:1]
	s_or_b64 s[0:1], s[76:77], s[0:1]
	s_xor_b64 s[94:95], s[0:1], -1
	s_and_saveexec_b64 s[0:1], s[94:95]
	s_cbranch_execz .LBB105_16
; %bb.18:                               ;   in Loop: Header=BB105_17 Depth=5
	v_mad_u64_u32 v[26:27], s[94:95], s36, v25, 0
	v_mov_b32_e32 v28, v27
	v_mad_u64_u32 v[28:29], s[94:95], s37, v25, v[28:29]
	v_mov_b32_e32 v27, v28
	v_lshl_add_u64 v[26:27], v[26:27], 1, v[14:15]
	global_load_ushort v26, v[26:27], off
	s_nop 0
	global_load_ushort v27, v19, s[78:79]
	s_waitcnt vmcnt(1)
	v_cvt_f32_f16_e32 v26, v26
	s_waitcnt vmcnt(0)
	v_cvt_f32_f16_e32 v28, v27
	v_cvt_f64_f32_e32 v[26:27], v26
	v_cvt_f64_f32_e32 v[28:29], v28
	v_fmac_f64_e32 v[6:7], v[26:27], v[28:29]
	s_branch .LBB105_16
.LBB105_19:                             ;   in Loop: Header=BB105_3 Depth=1
	v_ashrrev_i32_e32 v8, 31, v20
	v_mul_lo_u32 v12, s49, v20
	v_mul_lo_u32 v13, s48, v8
	v_mad_u64_u32 v[8:9], s[0:1], s48, v20, 0
	v_ashrrev_i32_e32 v11, 31, v21
	v_add3_u32 v9, v9, v13, v12
	v_mad_u64_u32 v[8:9], s[0:1], s50, v21, v[8:9]
	v_mul_lo_u32 v12, s51, v21
	v_mul_lo_u32 v11, s50, v11
	v_ashrrev_i32_e32 v10, 31, v4
	v_add3_u32 v9, v12, v9, v11
	v_mad_u64_u32 v[8:9], s[0:1], s52, v4, v[8:9]
	v_mul_lo_u32 v4, s53, v4
	v_mul_lo_u32 v10, s52, v10
	v_add3_u32 v9, v4, v9, v10
	v_mad_u64_u32 v[8:9], s[0:1], v2, s54, v[8:9]
	v_mul_lo_u32 v2, v2, s55
	v_mul_lo_u32 v4, v5, s54
	v_add3_u32 v9, v4, v9, v2
	s_mov_b64 s[0:1], -1
	s_and_b64 vcc, exec, s[68:69]
	s_cbranch_vccz .LBB105_21
; %bb.20:                               ;   in Loop: Header=BB105_3 Depth=1
	v_lshl_add_u64 v[4:5], v[8:9], 1, s[34:35]
	global_load_ushort v2, v[4:5], off
	s_mov_b64 s[0:1], 0
	s_waitcnt vmcnt(0)
	v_cvt_f32_f16_e32 v2, v2
	v_cvt_f64_f32_e32 v[10:11], v2
	v_mul_f64 v[10:11], v[10:11], s[26:27]
	v_fmac_f64_e32 v[10:11], s[24:25], v[6:7]
	v_cvt_f32_f64_e32 v2, v[10:11]
	v_cvt_f16_f32_e32 v2, v2
	global_store_short v[4:5], v2, off
.LBB105_21:                             ;   in Loop: Header=BB105_3 Depth=1
	s_andn2_b64 vcc, exec, s[0:1]
	s_cbranch_vccnz .LBB105_2
; %bb.22:                               ;   in Loop: Header=BB105_3 Depth=1
	v_cvt_f32_f64_e32 v2, v[6:7]
	v_cvt_f16_f32_e32 v2, v2
	v_lshl_add_u64 v[4:5], v[8:9], 1, s[34:35]
	global_store_short v[4:5], v2, off
	s_branch .LBB105_2
.LBB105_23:
	s_endpgm
	.section	.rodata,"a",@progbits
	.p2align	6, 0x0
	.amdhsa_kernel naive_conv_ab_nonpacked_wrw_ncdhw_half_double_half_0
		.amdhsa_group_segment_fixed_size 0
		.amdhsa_private_segment_fixed_size 0
		.amdhsa_kernarg_size 528
		.amdhsa_user_sgpr_count 2
		.amdhsa_user_sgpr_dispatch_ptr 0
		.amdhsa_user_sgpr_queue_ptr 0
		.amdhsa_user_sgpr_kernarg_segment_ptr 1
		.amdhsa_user_sgpr_dispatch_id 0
		.amdhsa_user_sgpr_kernarg_preload_length 0
		.amdhsa_user_sgpr_kernarg_preload_offset 0
		.amdhsa_user_sgpr_private_segment_size 0
		.amdhsa_uses_dynamic_stack 0
		.amdhsa_enable_private_segment 0
		.amdhsa_system_sgpr_workgroup_id_x 1
		.amdhsa_system_sgpr_workgroup_id_y 0
		.amdhsa_system_sgpr_workgroup_id_z 0
		.amdhsa_system_sgpr_workgroup_info 0
		.amdhsa_system_vgpr_workitem_id 0
		.amdhsa_next_free_vgpr 30
		.amdhsa_next_free_sgpr 96
		.amdhsa_accum_offset 32
		.amdhsa_reserve_vcc 1
		.amdhsa_float_round_mode_32 0
		.amdhsa_float_round_mode_16_64 0
		.amdhsa_float_denorm_mode_32 3
		.amdhsa_float_denorm_mode_16_64 3
		.amdhsa_dx10_clamp 1
		.amdhsa_ieee_mode 1
		.amdhsa_fp16_overflow 0
		.amdhsa_tg_split 0
		.amdhsa_exception_fp_ieee_invalid_op 0
		.amdhsa_exception_fp_denorm_src 0
		.amdhsa_exception_fp_ieee_div_zero 0
		.amdhsa_exception_fp_ieee_overflow 0
		.amdhsa_exception_fp_ieee_underflow 0
		.amdhsa_exception_fp_ieee_inexact 0
		.amdhsa_exception_int_div_zero 0
	.end_amdhsa_kernel
	.text
.Lfunc_end105:
	.size	naive_conv_ab_nonpacked_wrw_ncdhw_half_double_half_0, .Lfunc_end105-naive_conv_ab_nonpacked_wrw_ncdhw_half_double_half_0
                                        ; -- End function
	.section	.AMDGPU.csdata,"",@progbits
; Kernel info:
; codeLenInByte = 1956
; NumSgprs: 102
; NumVgprs: 30
; NumAgprs: 0
; TotalNumVgprs: 30
; ScratchSize: 0
; MemoryBound: 0
; FloatMode: 240
; IeeeMode: 1
; LDSByteSize: 0 bytes/workgroup (compile time only)
; SGPRBlocks: 12
; VGPRBlocks: 3
; NumSGPRsForWavesPerEU: 102
; NumVGPRsForWavesPerEU: 30
; AccumOffset: 32
; Occupancy: 7
; WaveLimiterHint : 0
; COMPUTE_PGM_RSRC2:SCRATCH_EN: 0
; COMPUTE_PGM_RSRC2:USER_SGPR: 2
; COMPUTE_PGM_RSRC2:TRAP_HANDLER: 0
; COMPUTE_PGM_RSRC2:TGID_X_EN: 1
; COMPUTE_PGM_RSRC2:TGID_Y_EN: 0
; COMPUTE_PGM_RSRC2:TGID_Z_EN: 0
; COMPUTE_PGM_RSRC2:TIDIG_COMP_CNT: 0
; COMPUTE_PGM_RSRC3_GFX90A:ACCUM_OFFSET: 7
; COMPUTE_PGM_RSRC3_GFX90A:TG_SPLIT: 0
	.text
	.protected	naive_conv_ab_packed_wrw_ncdhw_ushort_double_ushort_0 ; -- Begin function naive_conv_ab_packed_wrw_ncdhw_ushort_double_ushort_0
	.globl	naive_conv_ab_packed_wrw_ncdhw_ushort_double_ushort_0
	.p2align	8
	.type	naive_conv_ab_packed_wrw_ncdhw_ushort_double_ushort_0,@function
naive_conv_ab_packed_wrw_ncdhw_ushort_double_ushort_0: ; @naive_conv_ab_packed_wrw_ncdhw_ushort_double_ushort_0
; %bb.0:
	s_load_dwordx16 s[4:19], s[0:1], 0xb8
	s_load_dwordx2 s[44:45], s[0:1], 0x108
	s_load_dwordx4 s[28:31], s[0:1], 0xf8
	s_waitcnt lgkmcnt(0)
	s_abs_i32 s3, s8
	v_cvt_f32_u32_e32 v1, s3
	s_mul_i32 s43, s44, s31
	s_mul_i32 s42, s43, s30
	;; [unrolled: 1-line block ×3, first 2 shown]
	v_rcp_iflag_f32_e32 v1, v1
	v_cmp_gt_i32_e32 vcc, s33, v0
	v_mul_f32_e32 v1, 0x4f7ffffe, v1
	v_cvt_u32_f32_e32 v1, v1
	s_nop 0
	v_readfirstlane_b32 s34, v1
	s_and_saveexec_b64 s[20:21], vcc
	s_cbranch_execz .LBB106_23
; %bb.1:
	s_sub_i32 s38, 0, s3
	s_mul_i32 s38, s38, s34
	s_mul_hi_u32 s38, s34, s38
	s_abs_i32 s37, s2
	s_add_i32 s34, s34, s38
	s_ashr_i32 s35, s2, 31
	s_ashr_i32 s36, s8, 31
	s_mul_hi_u32 s34, s37, s34
	s_xor_b32 s35, s35, s36
	s_mul_i32 s36, s34, s3
	s_sub_i32 s36, s37, s36
	s_add_i32 s37, s34, 1
	s_sub_i32 s38, s36, s3
	s_cmp_ge_u32 s36, s3
	s_cselect_b32 s34, s37, s34
	s_cselect_b32 s36, s38, s36
	s_add_i32 s37, s34, 1
	s_cmp_ge_u32 s36, s3
	s_cselect_b32 s3, s37, s34
	s_ashr_i32 s60, s6, 31
	s_mul_i32 s38, s5, s4
	s_xor_b32 s3, s3, s35
	s_mul_hi_i32 s37, s5, s4
	s_mul_i32 s39, s38, s60
	s_mul_hi_u32 s40, s38, s6
	s_sub_i32 s34, s3, s35
	s_ashr_i32 s3, s9, 31
	s_add_i32 s39, s40, s39
	s_mul_i32 s37, s37, s6
	s_mul_i32 s38, s38, s6
	s_add_i32 s37, s39, s37
	s_mul_i32 s3, s38, s3
	s_mul_hi_u32 s39, s38, s9
	s_mul_i32 s35, s34, s8
	s_add_i32 s3, s39, s3
	s_mul_i32 s37, s37, s9
	s_load_dwordx8 s[20:27], s[0:1], 0x0
	s_sub_i32 s36, s2, s35
	s_ashr_i32 s2, s34, 31
	s_add_i32 s3, s3, s37
	s_mul_i32 s37, s38, s9
	s_mul_i32 s2, s37, s2
	s_mul_hi_u32 s38, s37, s34
	s_mul_i32 s3, s3, s34
	s_add_i32 s2, s38, s2
	s_add_i32 s3, s2, s3
	s_mul_i32 s2, s37, s34
	s_ashr_i32 s58, s4, 31
	s_ashr_i32 s59, s5, 31
	s_lshl_b64 s[2:3], s[2:3], 1
	s_waitcnt lgkmcnt(0)
	s_add_u32 s20, s20, s2
	s_addc_u32 s21, s21, s3
	s_ashr_i32 s61, s30, 31
	s_ashr_i32 s62, s31, 31
	;; [unrolled: 1-line block ×4, first 2 shown]
	s_mul_hi_i32 s2, s34, s8
	s_add_u32 s48, s35, s36
	s_addc_u32 s49, s2, s3
	s_mul_i32 s3, s30, s9
	s_mul_hi_i32 s2, s30, s9
	s_mul_i32 s34, s3, s62
	s_mul_hi_u32 s35, s3, s31
	s_add_i32 s34, s35, s34
	s_mul_i32 s2, s2, s31
	s_mul_i32 s3, s3, s31
	s_add_i32 s2, s34, s2
	s_mul_i32 s34, s3, s63
	s_mul_hi_u32 s35, s3, s44
	s_add_i32 s34, s35, s34
	s_mul_i32 s2, s2, s44
	s_add_i32 s2, s34, s2
	s_mul_i32 s34, s3, s44
	s_mul_i32 s3, s34, s49
	s_mul_hi_u32 s35, s34, s48
	s_add_i32 s3, s35, s3
	s_mul_i32 s2, s2, s48
	s_add_i32 s3, s3, s2
	s_mul_i32 s2, s34, s48
	s_lshl_b64 s[2:3], s[2:3], 1
	s_add_u32 s22, s22, s2
	s_addc_u32 s23, s23, s3
	s_ashr_i32 s2, s10, 31
	s_ashr_i32 s3, s12, 31
	s_cmp_lt_i32 s7, 1
	s_mul_i32 s64, s45, s9
	s_mul_i32 s45, s45, s8
	s_cselect_b64 s[8:9], -1, 0
	s_cmp_gt_i32 s10, 0
	s_cselect_b64 s[34:35], -1, 0
	s_cmp_gt_i32 s11, 0
	;; [unrolled: 2-line block ×3, first 2 shown]
	s_cselect_b64 s[38:39], -1, 0
	s_abs_i32 s67, s44
	v_cvt_f32_u32_e32 v1, s67
	s_abs_i32 s68, s31
	s_load_dwordx2 s[46:47], s[0:1], 0x20
	s_load_dword s50, s[0:1], 0x11c
	s_abs_i32 s70, s43
	v_rcp_iflag_f32_e32 v1, v1
	v_cvt_f32_u32_e32 v2, s68
	s_abs_i32 s71, s30
	v_cvt_f32_u32_e32 v4, s70
	v_mul_f32_e32 v1, 0x4f7ffffe, v1
	v_cvt_u32_f32_e32 v1, v1
	v_cvt_f32_u32_e32 v5, s71
	s_abs_i32 s73, s42
	v_rcp_iflag_f32_e32 v2, v2
	v_cvt_f32_u32_e32 v9, s73
	s_waitcnt lgkmcnt(0)
	s_and_b32 s66, s50, 0xffff
	s_sub_i32 s50, 0, s67
	v_rcp_iflag_f32_e32 v4, v4
	v_cmp_neq_f64_e64 s[0:1], s[24:25], 1.0
	v_cmp_neq_f64_e64 s[40:41], s[26:27], 0
	v_mul_lo_u32 v3, s50, v1
	v_rcp_iflag_f32_e32 v5, v5
	s_or_b64 s[40:41], s[0:1], s[40:41]
	s_mul_i32 s0, s12, s11
	v_mul_hi_u32 v3, v1, v3
	s_mul_i32 s55, s0, s10
	v_mul_f32_e32 v2, 0x4f7ffffe, v2
	v_add_u32_e32 v1, v1, v3
	v_rcp_iflag_f32_e32 v3, v9
	s_ashr_i32 s69, s43, 31
	s_mul_i32 s1, s55, s49
	s_mul_hi_u32 s43, s55, s48
	v_cvt_u32_f32_e32 v2, v2
	v_mul_f32_e32 v4, 0x4f7ffffe, v4
	s_add_i32 s43, s43, s1
	s_mul_hi_i32 s1, s12, s11
	s_mul_i32 s2, s0, s2
	s_mul_hi_u32 s49, s0, s10
	v_cvt_u32_f32_e32 v4, v4
	v_mul_f32_e32 v5, 0x4f7ffffe, v5
	s_add_i32 s2, s49, s2
	s_mul_i32 s49, s1, s10
	v_cvt_u32_f32_e32 v5, v5
	s_sub_i32 s52, 0, s68
	s_add_i32 s56, s2, s49
	v_mul_f32_e32 v3, 0x4f7ffffe, v3
	s_sub_i32 s53, 0, s70
	s_mul_i32 s2, s56, s48
	v_mul_lo_u32 v6, s52, v2
	v_cvt_u32_f32_e32 v3, v3
	s_sub_i32 s54, 0, s71
	s_add_i32 s49, s43, s2
	s_mul_i32 s48, s55, s48
	v_mul_lo_u32 v7, s53, v4
	v_mul_hi_u32 v6, v2, v6
	s_ashr_i32 s65, s64, 31
	s_ashr_i32 s51, s45, 31
	;; [unrolled: 1-line block ×3, first 2 shown]
	s_lshl_b64 s[42:43], s[48:49], 1
	s_sub_i32 s48, 0, s73
	v_mul_lo_u32 v8, s54, v5
	v_add_u32_e32 v20, v2, v6
	v_mul_hi_u32 v2, v4, v7
	s_add_u32 s42, s46, s42
	s_mov_b32 s74, s4
	s_mul_hi_u32 s2, s55, s45
	s_mul_i32 s4, s55, s51
	v_add_u32_e32 v21, v4, v2
	v_mul_hi_u32 v2, v5, v8
	s_addc_u32 s43, s47, s43
	s_add_i32 s4, s2, s4
	s_mul_i32 s56, s56, s45
	v_add_u32_e32 v22, v5, v2
	v_mul_lo_u32 v2, s48, v3
	s_mov_b32 s77, s30
	s_mov_b32 s78, s31
	;; [unrolled: 1-line block ×3, first 2 shown]
	s_add_i32 s31, s4, s56
	s_mul_i32 s30, s55, s45
	v_mul_hi_u32 v2, v3, v2
	s_mov_b32 s75, s44
	s_mov_b32 s76, s5
	s_mov_b64 s[4:5], 0
	v_add_u32_e32 v23, v3, v2
	s_lshl_b64 s[30:31], s[30:31], 1
	s_lshl_b64 s[44:45], s[0:1], 1
	s_lshl_b64 s[46:47], s[2:3], 1
	s_sub_i32 s29, 0, s29
	v_mov_b32_e32 v3, 0
	s_mov_b32 s79, 0x7f800000
	s_branch .LBB106_3
.LBB106_2:                              ;   in Loop: Header=BB106_3 Depth=1
	v_add_u32_e32 v0, s66, v0
	v_cmp_le_i32_e32 vcc, s33, v0
	s_or_b64 s[4:5], vcc, s[4:5]
	s_andn2_b64 exec, exec, s[4:5]
	s_cbranch_execz .LBB106_23
.LBB106_3:                              ; =>This Loop Header: Depth=1
                                        ;     Child Loop BB106_8 Depth 2
                                        ;       Child Loop BB106_11 Depth 3
                                        ;         Child Loop BB106_14 Depth 4
                                        ;           Child Loop BB106_17 Depth 5
	v_sub_u32_e32 v4, 0, v0
	v_max_i32_e32 v7, v0, v4
	v_mul_hi_u32 v4, v7, v1
	v_mul_lo_u32 v5, v4, s67
	v_sub_u32_e32 v5, v7, v5
	v_add_u32_e32 v8, 1, v4
	v_cmp_le_u32_e32 vcc, s67, v5
	v_ashrrev_i32_e32 v6, 31, v0
	v_xor_b32_e32 v2, s63, v6
	v_cndmask_b32_e32 v4, v4, v8, vcc
	v_subrev_u32_e32 v8, s67, v5
	v_cndmask_b32_e32 v5, v5, v8, vcc
	v_add_u32_e32 v8, 1, v4
	v_cmp_le_u32_e32 vcc, s67, v5
	s_mov_b64 s[50:51], -1
                                        ; implicit-def: $sgpr48_sgpr49
	s_nop 0
	v_cndmask_b32_e32 v4, v4, v8, vcc
	v_xor_b32_e32 v4, v4, v2
	v_sub_u32_e32 v2, v4, v2
	v_sub_u32_e32 v4, 0, v2
	v_max_i32_e32 v4, v2, v4
	v_mul_hi_u32 v5, v4, v20
	v_mul_lo_u32 v5, v5, s68
	v_mul_hi_u32 v8, v7, v21
	v_sub_u32_e32 v4, v4, v5
	v_mul_lo_u32 v9, v8, s70
	v_subrev_u32_e32 v5, s68, v4
	v_cmp_le_u32_e32 vcc, s68, v4
	v_sub_u32_e32 v9, v7, v9
	v_add_u32_e32 v10, 1, v8
	v_cndmask_b32_e32 v4, v4, v5, vcc
	v_cmp_le_u32_e32 vcc, s70, v9
	v_xor_b32_e32 v5, s69, v6
	v_xor_b32_e32 v6, s72, v6
	v_cndmask_b32_e32 v8, v8, v10, vcc
	v_subrev_u32_e32 v10, s70, v9
	v_cndmask_b32_e32 v9, v9, v10, vcc
	v_add_u32_e32 v10, 1, v8
	v_cmp_le_u32_e32 vcc, s70, v9
	v_cmp_le_u32_e64 s[0:1], s68, v4
	s_nop 0
	v_cndmask_b32_e32 v8, v8, v10, vcc
	v_xor_b32_e32 v8, v8, v5
	v_sub_u32_e32 v5, v8, v5
	v_sub_u32_e32 v8, 0, v5
	v_max_i32_e32 v8, v5, v8
	v_mul_hi_u32 v9, v8, v22
	v_mul_lo_u32 v9, v9, s71
	v_sub_u32_e32 v8, v8, v9
	v_subrev_u32_e32 v9, s71, v8
	v_cmp_le_u32_e32 vcc, s71, v8
	s_nop 1
	v_cndmask_b32_e32 v9, v8, v9, vcc
	v_mul_hi_u32 v8, v7, v23
	v_mul_lo_u32 v10, v8, s73
	v_sub_u32_e32 v7, v7, v10
	v_add_u32_e32 v10, 1, v8
	v_cmp_le_u32_e32 vcc, s73, v7
	v_cmp_le_u32_e64 s[2:3], s71, v9
	s_nop 0
	v_cndmask_b32_e32 v8, v8, v10, vcc
	v_subrev_u32_e32 v10, s73, v7
	v_cndmask_b32_e32 v7, v7, v10, vcc
	v_add_u32_e32 v10, 1, v8
	v_cmp_le_u32_e32 vcc, s73, v7
	s_nop 1
	v_cndmask_b32_e32 v7, v8, v10, vcc
	v_xor_b32_e32 v7, v7, v6
	v_sub_u32_e32 v6, v7, v6
	s_andn2_b64 vcc, exec, s[8:9]
	s_cbranch_vccnz .LBB106_5
; %bb.4:                                ;   in Loop: Header=BB106_3 Depth=1
	v_ashrrev_i32_e32 v7, 31, v6
	s_mov_b64 s[50:51], 0
	s_mov_b64 s[48:49], 0
.LBB106_5:                              ;   in Loop: Header=BB106_3 Depth=1
	v_subrev_u32_e32 v10, s68, v4
	v_mul_lo_u32 v8, v2, s75
	v_ashrrev_i32_e32 v2, 31, v2
	v_cndmask_b32_e64 v4, v4, v10, s[0:1]
	v_xor_b32_e32 v4, v4, v2
	v_sub_u32_e32 v10, v4, v2
	v_subrev_u32_e32 v4, s71, v9
	v_ashrrev_i32_e32 v2, 31, v5
	v_cndmask_b32_e64 v4, v9, v4, s[2:3]
	v_xor_b32_e32 v4, v4, v2
	v_sub_u32_e32 v8, v0, v8
	v_sub_u32_e32 v12, v4, v2
	s_andn2_b64 vcc, exec, s[50:51]
	v_mov_b64_e32 v[4:5], s[48:49]
	s_cbranch_vccnz .LBB106_19
; %bb.6:                                ;   in Loop: Header=BB106_3 Depth=1
	v_mul_lo_u32 v2, v8, s18
	v_mul_lo_u32 v9, v12, s16
	;; [unrolled: 1-line block ×3, first 2 shown]
	v_ashrrev_i32_e32 v7, 31, v6
	v_add_u32_e32 v13, s29, v2
	s_mov_b32 s80, 0
	v_mov_b64_e32 v[4:5], 0
	s_mov_b64 s[2:3], s[42:43]
	s_branch .LBB106_8
.LBB106_7:                              ;   in Loop: Header=BB106_8 Depth=2
	s_add_i32 s80, s80, 1
	s_add_u32 s2, s2, s30
	s_addc_u32 s3, s3, s31
	s_cmp_eq_u32 s80, s7
	s_cbranch_scc1 .LBB106_19
.LBB106_8:                              ;   Parent Loop BB106_3 Depth=1
                                        ; =>  This Loop Header: Depth=2
                                        ;       Child Loop BB106_11 Depth 3
                                        ;         Child Loop BB106_14 Depth 4
                                        ;           Child Loop BB106_17 Depth 5
	s_andn2_b64 vcc, exec, s[34:35]
	s_cbranch_vccnz .LBB106_7
; %bb.9:                                ;   in Loop: Header=BB106_8 Depth=2
	v_mov_b32_e32 v2, s64
	v_mad_u64_u32 v[14:15], s[0:1], s80, v2, v[6:7]
	s_mul_i32 s0, s80, s65
	s_nop 0
	v_add_u32_e32 v2, s0, v15
	v_mul_lo_u32 v16, v14, s58
	v_mul_lo_u32 v2, v2, s74
	v_mad_u64_u32 v[14:15], s[0:1], v14, s74, 0
	v_add3_u32 v15, v15, v16, v2
	s_mov_b32 s81, 0
	s_mov_b64 s[48:49], s[2:3]
	s_branch .LBB106_11
.LBB106_10:                             ;   in Loop: Header=BB106_11 Depth=3
	s_add_i32 s81, s81, 1
	s_add_u32 s48, s48, s44
	s_addc_u32 s49, s49, s45
	s_cmp_eq_u32 s81, s10
	s_cbranch_scc1 .LBB106_7
.LBB106_11:                             ;   Parent Loop BB106_3 Depth=1
                                        ;     Parent Loop BB106_8 Depth=2
                                        ; =>    This Loop Header: Depth=3
                                        ;         Child Loop BB106_14 Depth 4
                                        ;           Child Loop BB106_17 Depth 5
	s_andn2_b64 vcc, exec, s[36:37]
	s_cbranch_vccnz .LBB106_10
; %bb.12:                               ;   in Loop: Header=BB106_11 Depth=3
	s_mul_i32 s0, s81, s13
	s_sub_i32 s0, s0, s19
	v_add_u32_e32 v2, s0, v9
	v_cmp_gt_i32_e32 vcc, 0, v2
	v_cmp_le_i32_e64 s[0:1], s74, v2
	v_lshl_add_u64 v[16:17], v[14:15], 0, v[2:3]
	s_or_b64 s[50:51], vcc, s[0:1]
	v_mul_lo_u32 v2, v17, s76
	v_mul_lo_u32 v18, v16, s59
	v_mad_u64_u32 v[16:17], s[0:1], v16, s76, 0
	s_mov_b32 s82, 0
	v_add3_u32 v17, v17, v18, v2
	s_mov_b64 s[52:53], s[48:49]
	s_branch .LBB106_14
.LBB106_13:                             ;   in Loop: Header=BB106_14 Depth=4
	s_add_i32 s82, s82, 1
	s_add_u32 s52, s52, s46
	s_addc_u32 s53, s53, s47
	s_cmp_eq_u32 s82, s11
	s_cbranch_scc1 .LBB106_10
.LBB106_14:                             ;   Parent Loop BB106_3 Depth=1
                                        ;     Parent Loop BB106_8 Depth=2
                                        ;       Parent Loop BB106_11 Depth=3
                                        ; =>      This Loop Header: Depth=4
                                        ;           Child Loop BB106_17 Depth 5
	s_andn2_b64 vcc, exec, s[38:39]
	s_cbranch_vccnz .LBB106_13
; %bb.15:                               ;   in Loop: Header=BB106_14 Depth=4
	s_mul_i32 s0, s82, s14
	s_sub_i32 s0, s0, s28
	v_add_u32_e32 v2, s0, v11
	v_cmp_gt_i32_e32 vcc, 0, v2
	v_cmp_le_i32_e64 s[0:1], s76, v2
	s_or_b64 s[0:1], vcc, s[0:1]
	v_lshl_add_u64 v[18:19], v[16:17], 0, v[2:3]
	s_or_b64 s[54:55], s[50:51], s[0:1]
	v_mul_lo_u32 v2, v19, s6
	v_mul_lo_u32 v24, v18, s60
	v_mad_u64_u32 v[18:19], s[0:1], v18, s6, 0
	v_add3_u32 v19, v19, v24, v2
	v_lshl_add_u64 v[18:19], v[18:19], 1, s[20:21]
	v_mov_b32_e32 v2, v13
	s_mov_b64 s[56:57], s[52:53]
	s_mov_b32 s83, s12
	s_branch .LBB106_17
.LBB106_16:                             ;   in Loop: Header=BB106_17 Depth=5
	s_or_b64 exec, exec, s[0:1]
	s_add_i32 s83, s83, -1
	s_add_u32 s56, s56, 2
	s_addc_u32 s57, s57, 0
	s_cmp_eq_u32 s83, 0
	v_add_u32_e32 v2, s15, v2
	s_cbranch_scc1 .LBB106_13
.LBB106_17:                             ;   Parent Loop BB106_3 Depth=1
                                        ;     Parent Loop BB106_8 Depth=2
                                        ;       Parent Loop BB106_11 Depth=3
                                        ;         Parent Loop BB106_14 Depth=4
                                        ; =>        This Inner Loop Header: Depth=5
	v_cmp_gt_i32_e32 vcc, 0, v2
	v_cmp_le_i32_e64 s[0:1], s6, v2
	s_or_b64 s[0:1], vcc, s[0:1]
	s_or_b64 s[0:1], s[54:55], s[0:1]
	s_xor_b64 s[84:85], s[0:1], -1
	s_and_saveexec_b64 s[0:1], s[84:85]
	s_cbranch_execz .LBB106_16
; %bb.18:                               ;   in Loop: Header=BB106_17 Depth=5
	v_lshl_add_u64 v[24:25], v[2:3], 1, v[18:19]
	global_load_ushort v26, v3, s[56:57]
	s_nop 0
	global_load_ushort v24, v[24:25], off
	s_waitcnt vmcnt(1)
	v_lshlrev_b32_e32 v26, 16, v26
	s_waitcnt vmcnt(0)
	v_lshlrev_b32_e32 v24, 16, v24
	v_cvt_f64_f32_e32 v[24:25], v24
	v_cvt_f64_f32_e32 v[26:27], v26
	v_fmac_f64_e32 v[4:5], v[24:25], v[26:27]
	s_branch .LBB106_16
.LBB106_19:                             ;   in Loop: Header=BB106_3 Depth=1
	v_ashrrev_i32_e32 v13, 31, v12
	v_mul_lo_u32 v2, v6, s61
	v_mul_lo_u32 v9, v7, s77
	v_mad_u64_u32 v[6:7], s[0:1], v6, s77, v[12:13]
	v_add3_u32 v2, v9, v7, v2
	v_ashrrev_i32_e32 v11, 31, v10
	v_mul_lo_u32 v2, v2, s78
	v_mad_u64_u32 v[10:11], s[0:1], v6, s78, v[10:11]
	v_mul_lo_u32 v6, v6, s62
	v_add3_u32 v2, v2, v11, v6
	v_ashrrev_i32_e32 v9, 31, v8
	v_mul_lo_u32 v2, v2, s75
	v_mul_lo_u32 v11, v10, s63
	v_mad_u64_u32 v[6:7], s[0:1], v10, s75, v[8:9]
	v_add3_u32 v7, v2, v7, v11
	s_mov_b64 s[0:1], -1
	s_and_b64 vcc, exec, s[40:41]
	s_cbranch_vccz .LBB106_21
; %bb.20:                               ;   in Loop: Header=BB106_3 Depth=1
	v_lshl_add_u64 v[8:9], v[6:7], 1, s[22:23]
	global_load_ushort v2, v[8:9], off
	s_waitcnt vmcnt(0)
	v_lshlrev_b32_e32 v2, 16, v2
	v_cvt_f64_f32_e32 v[10:11], v2
	v_mul_f64 v[10:11], v[10:11], s[26:27]
	v_fmac_f64_e32 v[10:11], s[24:25], v[4:5]
	v_cvt_f32_f64_e32 v2, v[10:11]
	v_and_b32_e32 v10, 0x7f800000, v2
	v_cmp_ne_u32_sdwa s[0:1], v2, v3 src0_sel:WORD_0 src1_sel:DWORD
	v_cmp_eq_u32_e32 vcc, s79, v10
	s_and_b64 s[0:1], vcc, s[0:1]
	v_cndmask_b32_e64 v10, 0, 1, s[0:1]
	v_or_b32_sdwa v2, v2, v10 dst_sel:DWORD dst_unused:UNUSED_PAD src0_sel:WORD_1 src1_sel:DWORD
	global_store_short v[8:9], v2, off
	s_mov_b64 s[0:1], 0
.LBB106_21:                             ;   in Loop: Header=BB106_3 Depth=1
	s_andn2_b64 vcc, exec, s[0:1]
	s_cbranch_vccnz .LBB106_2
; %bb.22:                               ;   in Loop: Header=BB106_3 Depth=1
	v_cvt_f32_f64_e32 v2, v[4:5]
	v_and_b32_e32 v4, 0x7f800000, v2
	v_cmp_eq_u32_e32 vcc, s79, v4
	v_cmp_ne_u32_sdwa s[0:1], v2, v3 src0_sel:WORD_0 src1_sel:DWORD
	s_and_b64 s[0:1], vcc, s[0:1]
	s_nop 0
	v_cndmask_b32_e64 v4, 0, 1, s[0:1]
	v_or_b32_sdwa v2, v2, v4 dst_sel:DWORD dst_unused:UNUSED_PAD src0_sel:WORD_1 src1_sel:DWORD
	v_lshl_add_u64 v[4:5], v[6:7], 1, s[22:23]
	global_store_short v[4:5], v2, off
	s_branch .LBB106_2
.LBB106_23:
	s_endpgm
	.section	.rodata,"a",@progbits
	.p2align	6, 0x0
	.amdhsa_kernel naive_conv_ab_packed_wrw_ncdhw_ushort_double_ushort_0
		.amdhsa_group_segment_fixed_size 0
		.amdhsa_private_segment_fixed_size 0
		.amdhsa_kernarg_size 528
		.amdhsa_user_sgpr_count 2
		.amdhsa_user_sgpr_dispatch_ptr 0
		.amdhsa_user_sgpr_queue_ptr 0
		.amdhsa_user_sgpr_kernarg_segment_ptr 1
		.amdhsa_user_sgpr_dispatch_id 0
		.amdhsa_user_sgpr_kernarg_preload_length 0
		.amdhsa_user_sgpr_kernarg_preload_offset 0
		.amdhsa_user_sgpr_private_segment_size 0
		.amdhsa_uses_dynamic_stack 0
		.amdhsa_enable_private_segment 0
		.amdhsa_system_sgpr_workgroup_id_x 1
		.amdhsa_system_sgpr_workgroup_id_y 0
		.amdhsa_system_sgpr_workgroup_id_z 0
		.amdhsa_system_sgpr_workgroup_info 0
		.amdhsa_system_vgpr_workitem_id 0
		.amdhsa_next_free_vgpr 28
		.amdhsa_next_free_sgpr 86
		.amdhsa_accum_offset 28
		.amdhsa_reserve_vcc 1
		.amdhsa_float_round_mode_32 0
		.amdhsa_float_round_mode_16_64 0
		.amdhsa_float_denorm_mode_32 3
		.amdhsa_float_denorm_mode_16_64 3
		.amdhsa_dx10_clamp 1
		.amdhsa_ieee_mode 1
		.amdhsa_fp16_overflow 0
		.amdhsa_tg_split 0
		.amdhsa_exception_fp_ieee_invalid_op 0
		.amdhsa_exception_fp_denorm_src 0
		.amdhsa_exception_fp_ieee_div_zero 0
		.amdhsa_exception_fp_ieee_overflow 0
		.amdhsa_exception_fp_ieee_underflow 0
		.amdhsa_exception_fp_ieee_inexact 0
		.amdhsa_exception_int_div_zero 0
	.end_amdhsa_kernel
	.text
.Lfunc_end106:
	.size	naive_conv_ab_packed_wrw_ncdhw_ushort_double_ushort_0, .Lfunc_end106-naive_conv_ab_packed_wrw_ncdhw_ushort_double_ushort_0
                                        ; -- End function
	.section	.AMDGPU.csdata,"",@progbits
; Kernel info:
; codeLenInByte = 2152
; NumSgprs: 92
; NumVgprs: 28
; NumAgprs: 0
; TotalNumVgprs: 28
; ScratchSize: 0
; MemoryBound: 0
; FloatMode: 240
; IeeeMode: 1
; LDSByteSize: 0 bytes/workgroup (compile time only)
; SGPRBlocks: 11
; VGPRBlocks: 3
; NumSGPRsForWavesPerEU: 92
; NumVGPRsForWavesPerEU: 28
; AccumOffset: 28
; Occupancy: 8
; WaveLimiterHint : 0
; COMPUTE_PGM_RSRC2:SCRATCH_EN: 0
; COMPUTE_PGM_RSRC2:USER_SGPR: 2
; COMPUTE_PGM_RSRC2:TRAP_HANDLER: 0
; COMPUTE_PGM_RSRC2:TGID_X_EN: 1
; COMPUTE_PGM_RSRC2:TGID_Y_EN: 0
; COMPUTE_PGM_RSRC2:TGID_Z_EN: 0
; COMPUTE_PGM_RSRC2:TIDIG_COMP_CNT: 0
; COMPUTE_PGM_RSRC3_GFX90A:ACCUM_OFFSET: 6
; COMPUTE_PGM_RSRC3_GFX90A:TG_SPLIT: 0
	.text
	.protected	naive_conv_ab_nonpacked_wrw_ncdhw_ushort_double_ushort_0 ; -- Begin function naive_conv_ab_nonpacked_wrw_ncdhw_ushort_double_ushort_0
	.globl	naive_conv_ab_nonpacked_wrw_ncdhw_ushort_double_ushort_0
	.p2align	8
	.type	naive_conv_ab_nonpacked_wrw_ncdhw_ushort_double_ushort_0,@function
naive_conv_ab_nonpacked_wrw_ncdhw_ushort_double_ushort_0: ; @naive_conv_ab_nonpacked_wrw_ncdhw_ushort_double_ushort_0
; %bb.0:
	s_load_dwordx16 s[4:19], s[0:1], 0xb8
	s_load_dword s33, s[0:1], 0x108
	s_load_dwordx4 s[28:31], s[0:1], 0xf8
	s_waitcnt lgkmcnt(0)
	s_abs_i32 s34, s8
	v_cvt_f32_u32_e32 v1, s34
	s_mul_i32 s70, s33, s31
	s_mul_i32 s3, s70, s30
	;; [unrolled: 1-line block ×3, first 2 shown]
	v_rcp_iflag_f32_e32 v1, v1
	v_cmp_gt_i32_e32 vcc, s80, v0
	v_mul_f32_e32 v1, 0x4f7ffffe, v1
	v_cvt_u32_f32_e32 v1, v1
	s_nop 0
	v_readfirstlane_b32 s9, v1
	s_and_saveexec_b64 s[20:21], vcc
	s_cbranch_execz .LBB107_23
; %bb.1:
	s_sub_i32 s36, 0, s34
	s_mul_i32 s36, s36, s9
	s_mul_hi_u32 s36, s9, s36
	s_abs_i32 s69, s2
	s_add_i32 s9, s9, s36
	s_ashr_i32 s35, s2, 31
	s_ashr_i32 s68, s8, 31
	s_mul_hi_u32 s9, s69, s9
	s_xor_b32 s35, s35, s68
	s_mul_i32 s68, s9, s34
	s_sub_i32 s68, s69, s68
	s_add_i32 s69, s9, 1
	s_sub_i32 s71, s68, s34
	s_cmp_ge_u32 s68, s34
	s_cselect_b32 s9, s69, s9
	s_cselect_b32 s68, s71, s68
	s_add_i32 s69, s9, 1
	s_cmp_ge_u32 s68, s34
	s_load_dwordx16 s[36:51], s[0:1], 0x28
	s_load_dwordx16 s[52:67], s[0:1], 0x68
	s_cselect_b32 s9, s69, s9
	s_xor_b32 s9, s9, s35
	s_sub_i32 s68, s9, s35
	s_load_dwordx8 s[20:27], s[0:1], 0x0
	s_mul_i32 s8, s68, s8
	s_ashr_i32 s69, s68, 31
	s_sub_i32 s2, s2, s8
	s_waitcnt lgkmcnt(0)
	s_mul_i32 s8, s44, s69
	s_mul_hi_u32 s9, s44, s68
	s_add_i32 s8, s9, s8
	s_mul_i32 s9, s45, s68
	s_add_i32 s9, s8, s9
	s_mul_i32 s8, s44, s68
	s_lshl_b64 s[8:9], s[8:9], 1
	s_add_u32 s8, s20, s8
	s_addc_u32 s9, s21, s9
	s_mul_i32 s20, s58, s69
	s_mul_hi_u32 s21, s58, s68
	s_ashr_i32 s44, s2, 31
	s_add_i32 s20, s21, s20
	s_mul_i32 s21, s59, s68
	s_mul_i32 s34, s56, s44
	s_mul_hi_u32 s35, s56, s2
	s_add_i32 s21, s20, s21
	s_mul_i32 s20, s58, s68
	s_add_i32 s34, s35, s34
	s_mul_i32 s35, s57, s2
	s_add_i32 s35, s34, s35
	s_lshl_b64 s[20:21], s[20:21], 1
	s_mul_i32 s34, s56, s2
	s_add_u32 s22, s22, s20
	s_addc_u32 s23, s23, s21
	s_lshl_b64 s[20:21], s[34:35], 1
	s_add_u32 s34, s22, s20
	s_addc_u32 s35, s23, s21
	s_load_dword s71, s[0:1], 0x11c
	s_load_dwordx4 s[20:23], s[0:1], 0xa8
	s_mul_i32 s44, s66, s44
	s_load_dwordx2 s[0:1], s[0:1], 0x20
	v_mov_b32_e32 v19, 0
	s_mov_b32 s90, 0x7f800000
	s_waitcnt lgkmcnt(0)
	s_mul_i32 s45, s20, s69
	s_mul_hi_u32 s56, s20, s68
	s_add_i32 s45, s56, s45
	s_mul_i32 s21, s21, s68
	s_add_i32 s21, s45, s21
	s_mul_hi_u32 s45, s66, s2
	s_mul_i32 s20, s20, s68
	s_add_i32 s44, s45, s44
	s_mul_i32 s45, s67, s2
	s_add_i32 s45, s44, s45
	s_lshl_b64 s[20:21], s[20:21], 1
	s_add_u32 s20, s0, s20
	s_mul_i32 s44, s66, s2
	s_addc_u32 s21, s1, s21
	s_lshl_b64 s[0:1], s[44:45], 1
	s_add_u32 s20, s20, s0
	s_addc_u32 s21, s21, s1
	s_cmp_lt_i32 s7, 1
	s_cselect_b64 s[44:45], -1, 0
	s_cmp_gt_i32 s10, 0
	s_cselect_b64 s[56:57], -1, 0
	s_cmp_gt_i32 s11, 0
	;; [unrolled: 2-line block ×3, first 2 shown]
	s_cselect_b64 s[66:67], -1, 0
	s_abs_i32 s81, s33
	v_cvt_f32_u32_e32 v1, s81
	s_abs_i32 s82, s31
	v_cvt_f32_u32_e32 v3, s82
	;; [unrolled: 2-line block ×4, first 2 shown]
	s_abs_i32 s85, s3
	v_rcp_iflag_f32_e32 v1, v1
	v_cvt_f32_u32_e32 v9, s85
	v_rcp_iflag_f32_e32 v3, v3
	v_rcp_iflag_f32_e32 v5, v5
	;; [unrolled: 1-line block ×3, first 2 shown]
	v_mul_f32_e32 v1, 0x4f7ffffe, v1
	v_rcp_iflag_f32_e32 v9, v9
	v_cvt_u32_f32_e32 v1, v1
	v_mul_f32_e32 v3, 0x4f7ffffe, v3
	v_cvt_u32_f32_e32 v3, v3
	v_mul_f32_e32 v5, 0x4f7ffffe, v5
	v_cmp_neq_f64_e64 s[0:1], s[24:25], 1.0
	v_cmp_neq_f64_e64 s[68:69], s[26:27], 0
	v_cvt_u32_f32_e32 v5, v5
	v_mul_f32_e32 v7, 0x4f7ffffe, v7
	s_or_b64 s[68:69], s[0:1], s[68:69]
	s_sub_i32 s0, 0, s81
	v_cvt_u32_f32_e32 v7, v7
	v_mul_f32_e32 v9, 0x4f7ffffe, v9
	v_mul_lo_u32 v2, s0, v1
	s_sub_i32 s0, 0, s82
	v_cvt_u32_f32_e32 v9, v9
	v_mul_lo_u32 v4, s0, v3
	s_sub_i32 s0, 0, s83
	v_mul_hi_u32 v2, v1, v2
	v_mul_lo_u32 v6, s0, v5
	s_sub_i32 s0, 0, s84
	v_add_u32_e32 v1, v1, v2
	v_mul_hi_u32 v2, v3, v4
	v_mul_lo_u32 v8, s0, v7
	s_sub_i32 s0, 0, s85
	v_add_u32_e32 v3, v3, v2
	v_mul_hi_u32 v2, v5, v6
	v_mul_lo_u32 v10, s0, v9
	v_add_u32_e32 v16, v5, v2
	v_mul_hi_u32 v2, v7, v8
	v_add_u32_e32 v17, v7, v2
	v_mul_hi_u32 v2, v9, v10
	s_lshl_b64 s[22:23], s[22:23], 1
	s_and_b32 s86, s71, 0xffff
	s_ashr_i32 s87, s70, 31
	s_ashr_i32 s88, s3, 31
	v_add_u32_e32 v18, v9, v2
	s_ashr_i32 s89, s33, 31
	s_sub_i32 s29, 0, s29
	s_mov_b64 s[30:31], 0
	s_lshl_b64 s[64:65], s[64:65], 1
	s_lshl_b64 s[62:63], s[62:63], 1
	;; [unrolled: 1-line block ×3, first 2 shown]
	s_branch .LBB107_3
.LBB107_2:                              ;   in Loop: Header=BB107_3 Depth=1
	v_add_u32_e32 v0, s86, v0
	v_cmp_le_i32_e32 vcc, s80, v0
	s_or_b64 s[30:31], vcc, s[30:31]
	s_andn2_b64 exec, exec, s[30:31]
	s_cbranch_execz .LBB107_23
.LBB107_3:                              ; =>This Loop Header: Depth=1
                                        ;     Child Loop BB107_8 Depth 2
                                        ;       Child Loop BB107_11 Depth 3
                                        ;         Child Loop BB107_14 Depth 4
                                        ;           Child Loop BB107_17 Depth 5
	v_sub_u32_e32 v5, 0, v0
	v_max_i32_e32 v5, v0, v5
	v_mul_hi_u32 v6, v5, v1
	v_mul_lo_u32 v7, v6, s81
	v_sub_u32_e32 v7, v5, v7
	v_add_u32_e32 v8, 1, v6
	v_cmp_le_u32_e32 vcc, s81, v7
	v_ashrrev_i32_e32 v2, 31, v0
	v_xor_b32_e32 v4, s89, v2
	v_cndmask_b32_e32 v6, v6, v8, vcc
	v_subrev_u32_e32 v8, s81, v7
	v_cndmask_b32_e32 v7, v7, v8, vcc
	v_add_u32_e32 v8, 1, v6
	v_cmp_le_u32_e32 vcc, s81, v7
	s_mov_b64 s[72:73], -1
                                        ; implicit-def: $sgpr70_sgpr71
	s_nop 0
	v_cndmask_b32_e32 v6, v6, v8, vcc
	v_xor_b32_e32 v6, v6, v4
	v_sub_u32_e32 v6, v6, v4
	v_sub_u32_e32 v4, 0, v6
	v_max_i32_e32 v4, v6, v4
	v_mul_hi_u32 v7, v4, v3
	v_mul_lo_u32 v7, v7, s82
	v_mul_hi_u32 v8, v5, v16
	v_sub_u32_e32 v4, v4, v7
	v_mul_lo_u32 v9, v8, s83
	v_subrev_u32_e32 v7, s82, v4
	v_cmp_le_u32_e32 vcc, s82, v4
	v_sub_u32_e32 v9, v5, v9
	v_add_u32_e32 v10, 1, v8
	v_cndmask_b32_e32 v7, v4, v7, vcc
	v_cmp_le_u32_e32 vcc, s83, v9
	v_xor_b32_e32 v4, s87, v2
	v_xor_b32_e32 v2, s88, v2
	v_cndmask_b32_e32 v8, v8, v10, vcc
	v_subrev_u32_e32 v10, s83, v9
	v_cndmask_b32_e32 v9, v9, v10, vcc
	v_add_u32_e32 v10, 1, v8
	v_cmp_le_u32_e32 vcc, s83, v9
	v_cmp_le_u32_e64 s[0:1], s82, v7
	s_nop 0
	v_cndmask_b32_e32 v8, v8, v10, vcc
	v_xor_b32_e32 v8, v8, v4
	v_sub_u32_e32 v8, v8, v4
	v_sub_u32_e32 v4, 0, v8
	v_max_i32_e32 v4, v8, v4
	v_mul_hi_u32 v9, v4, v17
	v_mul_lo_u32 v9, v9, s84
	v_sub_u32_e32 v4, v4, v9
	v_subrev_u32_e32 v9, s84, v4
	v_cmp_le_u32_e32 vcc, s84, v4
	s_nop 1
	v_cndmask_b32_e32 v9, v4, v9, vcc
	v_mul_hi_u32 v4, v5, v18
	v_mul_lo_u32 v10, v4, s85
	v_sub_u32_e32 v5, v5, v10
	v_add_u32_e32 v10, 1, v4
	v_cmp_le_u32_e32 vcc, s85, v5
	v_cmp_le_u32_e64 s[2:3], s84, v9
	s_nop 0
	v_cndmask_b32_e32 v4, v4, v10, vcc
	v_subrev_u32_e32 v10, s85, v5
	v_cndmask_b32_e32 v5, v5, v10, vcc
	v_add_u32_e32 v10, 1, v4
	v_cmp_le_u32_e32 vcc, s85, v5
	s_nop 1
	v_cndmask_b32_e32 v4, v4, v10, vcc
	v_xor_b32_e32 v4, v4, v2
	v_sub_u32_e32 v2, v4, v2
	s_andn2_b64 vcc, exec, s[44:45]
                                        ; implicit-def: $vgpr4_vgpr5
	s_cbranch_vccnz .LBB107_5
; %bb.4:                                ;   in Loop: Header=BB107_3 Depth=1
	v_ashrrev_i32_e32 v5, 31, v2
	s_mov_b64 s[72:73], 0
	s_mov_b64 s[70:71], 0
.LBB107_5:                              ;   in Loop: Header=BB107_3 Depth=1
	v_mul_lo_u32 v4, v6, s33
	v_sub_u32_e32 v20, v0, v4
	v_ashrrev_i32_e32 v4, 31, v6
	v_subrev_u32_e32 v6, s82, v7
	v_cndmask_b32_e64 v6, v7, v6, s[0:1]
	v_xor_b32_e32 v6, v6, v4
	v_sub_u32_e32 v21, v6, v4
	v_subrev_u32_e32 v6, s84, v9
	v_ashrrev_i32_e32 v4, 31, v8
	v_cndmask_b32_e64 v6, v9, v6, s[2:3]
	v_xor_b32_e32 v6, v6, v4
	v_sub_u32_e32 v4, v6, v4
	s_andn2_b64 vcc, exec, s[72:73]
	v_mov_b64_e32 v[6:7], s[70:71]
	s_cbranch_vccnz .LBB107_19
; %bb.6:                                ;   in Loop: Header=BB107_3 Depth=1
	v_ashrrev_i32_e32 v5, 31, v2
	v_mul_lo_u32 v8, s43, v2
	v_mul_lo_u32 v9, s42, v5
	v_mad_u64_u32 v[6:7], s[0:1], s42, v2, 0
	v_mul_lo_u32 v10, v20, s18
	v_add3_u32 v7, v7, v9, v8
	v_mul_lo_u32 v22, v4, s16
	v_mul_lo_u32 v23, v21, s17
	v_lshl_add_u64 v[8:9], v[6:7], 1, s[8:9]
	v_add_u32_e32 v24, s29, v10
	s_mov_b32 s91, 0
	v_mov_b64_e32 v[6:7], 0
	s_mov_b64 s[2:3], s[20:21]
	s_branch .LBB107_8
.LBB107_7:                              ;   in Loop: Header=BB107_8 Depth=2
	s_add_i32 s91, s91, 1
	s_add_u32 s2, s2, s22
	s_addc_u32 s3, s3, s23
	s_cmp_eq_u32 s91, s7
	s_cbranch_scc1 .LBB107_19
.LBB107_8:                              ;   Parent Loop BB107_3 Depth=1
                                        ; =>  This Loop Header: Depth=2
                                        ;       Child Loop BB107_11 Depth 3
                                        ;         Child Loop BB107_14 Depth 4
                                        ;           Child Loop BB107_17 Depth 5
	s_andn2_b64 vcc, exec, s[56:57]
	s_cbranch_vccnz .LBB107_7
; %bb.9:                                ;   in Loop: Header=BB107_8 Depth=2
	s_mul_i32 s0, s47, s91
	s_mul_hi_u32 s1, s46, s91
	s_add_i32 s1, s1, s0
	s_mul_i32 s0, s46, s91
	v_lshl_add_u64 v[10:11], s[0:1], 1, v[8:9]
	s_mov_b32 s92, 0
	s_mov_b64 s[70:71], s[2:3]
	s_branch .LBB107_11
.LBB107_10:                             ;   in Loop: Header=BB107_11 Depth=3
	s_add_i32 s92, s92, 1
	s_add_u32 s70, s70, s64
	s_addc_u32 s71, s71, s65
	s_cmp_eq_u32 s92, s10
	s_cbranch_scc1 .LBB107_7
.LBB107_11:                             ;   Parent Loop BB107_3 Depth=1
                                        ;     Parent Loop BB107_8 Depth=2
                                        ; =>    This Loop Header: Depth=3
                                        ;         Child Loop BB107_14 Depth 4
                                        ;           Child Loop BB107_17 Depth 5
	s_andn2_b64 vcc, exec, s[58:59]
	s_cbranch_vccnz .LBB107_10
; %bb.12:                               ;   in Loop: Header=BB107_11 Depth=3
	s_mul_i32 s0, s92, s13
	s_sub_i32 s0, s0, s19
	v_add_u32_e32 v15, s0, v22
	v_cmp_gt_i32_e32 vcc, 0, v15
	v_cmp_le_i32_e64 s[0:1], s4, v15
	s_or_b64 s[72:73], vcc, s[0:1]
	v_mad_u64_u32 v[12:13], s[0:1], s40, v15, 0
	v_mov_b32_e32 v14, v13
	v_mad_u64_u32 v[14:15], s[0:1], s41, v15, v[14:15]
	v_mov_b32_e32 v13, v14
	s_mov_b32 s93, 0
	v_lshl_add_u64 v[12:13], v[12:13], 1, v[10:11]
	s_mov_b64 s[74:75], s[70:71]
	s_branch .LBB107_14
.LBB107_13:                             ;   in Loop: Header=BB107_14 Depth=4
	s_add_i32 s93, s93, 1
	s_add_u32 s74, s74, s62
	s_addc_u32 s75, s75, s63
	s_cmp_eq_u32 s93, s11
	s_cbranch_scc1 .LBB107_10
.LBB107_14:                             ;   Parent Loop BB107_3 Depth=1
                                        ;     Parent Loop BB107_8 Depth=2
                                        ;       Parent Loop BB107_11 Depth=3
                                        ; =>      This Loop Header: Depth=4
                                        ;           Child Loop BB107_17 Depth 5
	s_andn2_b64 vcc, exec, s[66:67]
	s_cbranch_vccnz .LBB107_13
; %bb.15:                               ;   in Loop: Header=BB107_14 Depth=4
	s_mul_i32 s0, s93, s14
	s_sub_i32 s0, s0, s28
	v_add_u32_e32 v25, s0, v23
	v_cmp_gt_i32_e32 vcc, 0, v25
	v_cmp_le_i32_e64 s[0:1], s5, v25
	s_or_b64 s[0:1], vcc, s[0:1]
	s_or_b64 s[76:77], s[72:73], s[0:1]
	v_mad_u64_u32 v[14:15], s[0:1], s38, v25, 0
	v_mov_b32_e32 v26, v15
	v_mad_u64_u32 v[26:27], s[0:1], s39, v25, v[26:27]
	v_mov_b32_e32 v15, v26
	v_lshl_add_u64 v[14:15], v[14:15], 1, v[12:13]
	v_mov_b32_e32 v25, v24
	s_mov_b64 s[78:79], s[74:75]
	s_mov_b32 s94, s12
	s_branch .LBB107_17
.LBB107_16:                             ;   in Loop: Header=BB107_17 Depth=5
	s_or_b64 exec, exec, s[0:1]
	s_add_i32 s94, s94, -1
	s_add_u32 s78, s78, s60
	s_addc_u32 s79, s79, s61
	s_cmp_eq_u32 s94, 0
	v_add_u32_e32 v25, s15, v25
	s_cbranch_scc1 .LBB107_13
.LBB107_17:                             ;   Parent Loop BB107_3 Depth=1
                                        ;     Parent Loop BB107_8 Depth=2
                                        ;       Parent Loop BB107_11 Depth=3
                                        ;         Parent Loop BB107_14 Depth=4
                                        ; =>        This Inner Loop Header: Depth=5
	v_cmp_gt_i32_e32 vcc, 0, v25
	v_cmp_le_i32_e64 s[0:1], s6, v25
	s_or_b64 s[0:1], vcc, s[0:1]
	s_or_b64 s[0:1], s[76:77], s[0:1]
	s_xor_b64 s[96:97], s[0:1], -1
	s_and_saveexec_b64 s[0:1], s[96:97]
	s_cbranch_execz .LBB107_16
; %bb.18:                               ;   in Loop: Header=BB107_17 Depth=5
	v_mad_u64_u32 v[26:27], s[96:97], s36, v25, 0
	v_mov_b32_e32 v28, v27
	v_mad_u64_u32 v[28:29], s[96:97], s37, v25, v[28:29]
	v_mov_b32_e32 v27, v28
	v_lshl_add_u64 v[26:27], v[26:27], 1, v[14:15]
	global_load_ushort v28, v19, s[78:79]
	s_nop 0
	global_load_ushort v26, v[26:27], off
	s_waitcnt vmcnt(1)
	v_lshlrev_b32_e32 v28, 16, v28
	s_waitcnt vmcnt(0)
	v_lshlrev_b32_e32 v26, 16, v26
	v_cvt_f64_f32_e32 v[26:27], v26
	v_cvt_f64_f32_e32 v[28:29], v28
	v_fmac_f64_e32 v[6:7], v[26:27], v[28:29]
	s_branch .LBB107_16
.LBB107_19:                             ;   in Loop: Header=BB107_3 Depth=1
	v_ashrrev_i32_e32 v8, 31, v20
	v_mul_lo_u32 v12, s49, v20
	v_mul_lo_u32 v13, s48, v8
	v_mad_u64_u32 v[8:9], s[0:1], s48, v20, 0
	v_ashrrev_i32_e32 v11, 31, v21
	v_add3_u32 v9, v9, v13, v12
	v_mad_u64_u32 v[8:9], s[0:1], s50, v21, v[8:9]
	v_mul_lo_u32 v12, s51, v21
	v_mul_lo_u32 v11, s50, v11
	v_ashrrev_i32_e32 v10, 31, v4
	v_add3_u32 v9, v12, v9, v11
	v_mad_u64_u32 v[8:9], s[0:1], s52, v4, v[8:9]
	v_mul_lo_u32 v4, s53, v4
	v_mul_lo_u32 v10, s52, v10
	v_add3_u32 v9, v4, v9, v10
	v_mad_u64_u32 v[8:9], s[0:1], v2, s54, v[8:9]
	v_mul_lo_u32 v2, v2, s55
	v_mul_lo_u32 v4, v5, s54
	v_add3_u32 v9, v4, v9, v2
	s_mov_b64 s[0:1], -1
	s_and_b64 vcc, exec, s[68:69]
	s_cbranch_vccz .LBB107_21
; %bb.20:                               ;   in Loop: Header=BB107_3 Depth=1
	v_lshl_add_u64 v[4:5], v[8:9], 1, s[34:35]
	global_load_ushort v2, v[4:5], off
	s_waitcnt vmcnt(0)
	v_lshlrev_b32_e32 v2, 16, v2
	v_cvt_f64_f32_e32 v[10:11], v2
	v_mul_f64 v[10:11], v[10:11], s[26:27]
	v_fmac_f64_e32 v[10:11], s[24:25], v[6:7]
	v_cvt_f32_f64_e32 v2, v[10:11]
	v_and_b32_e32 v10, 0x7f800000, v2
	v_cmp_ne_u32_sdwa s[0:1], v2, v19 src0_sel:WORD_0 src1_sel:DWORD
	v_cmp_eq_u32_e32 vcc, s90, v10
	s_and_b64 s[0:1], vcc, s[0:1]
	v_cndmask_b32_e64 v10, 0, 1, s[0:1]
	v_or_b32_sdwa v2, v2, v10 dst_sel:DWORD dst_unused:UNUSED_PAD src0_sel:WORD_1 src1_sel:DWORD
	global_store_short v[4:5], v2, off
	s_mov_b64 s[0:1], 0
.LBB107_21:                             ;   in Loop: Header=BB107_3 Depth=1
	s_andn2_b64 vcc, exec, s[0:1]
	s_cbranch_vccnz .LBB107_2
; %bb.22:                               ;   in Loop: Header=BB107_3 Depth=1
	v_cvt_f32_f64_e32 v2, v[6:7]
	v_and_b32_e32 v4, 0x7f800000, v2
	v_cmp_eq_u32_e32 vcc, s90, v4
	v_cmp_ne_u32_sdwa s[0:1], v2, v19 src0_sel:WORD_0 src1_sel:DWORD
	s_and_b64 s[0:1], vcc, s[0:1]
	s_nop 0
	v_cndmask_b32_e64 v4, 0, 1, s[0:1]
	v_or_b32_sdwa v2, v2, v4 dst_sel:DWORD dst_unused:UNUSED_PAD src0_sel:WORD_1 src1_sel:DWORD
	v_lshl_add_u64 v[4:5], v[8:9], 1, s[34:35]
	global_store_short v[4:5], v2, off
	s_branch .LBB107_2
.LBB107_23:
	s_endpgm
	.section	.rodata,"a",@progbits
	.p2align	6, 0x0
	.amdhsa_kernel naive_conv_ab_nonpacked_wrw_ncdhw_ushort_double_ushort_0
		.amdhsa_group_segment_fixed_size 0
		.amdhsa_private_segment_fixed_size 0
		.amdhsa_kernarg_size 528
		.amdhsa_user_sgpr_count 2
		.amdhsa_user_sgpr_dispatch_ptr 0
		.amdhsa_user_sgpr_queue_ptr 0
		.amdhsa_user_sgpr_kernarg_segment_ptr 1
		.amdhsa_user_sgpr_dispatch_id 0
		.amdhsa_user_sgpr_kernarg_preload_length 0
		.amdhsa_user_sgpr_kernarg_preload_offset 0
		.amdhsa_user_sgpr_private_segment_size 0
		.amdhsa_uses_dynamic_stack 0
		.amdhsa_enable_private_segment 0
		.amdhsa_system_sgpr_workgroup_id_x 1
		.amdhsa_system_sgpr_workgroup_id_y 0
		.amdhsa_system_sgpr_workgroup_id_z 0
		.amdhsa_system_sgpr_workgroup_info 0
		.amdhsa_system_vgpr_workitem_id 0
		.amdhsa_next_free_vgpr 30
		.amdhsa_next_free_sgpr 98
		.amdhsa_accum_offset 32
		.amdhsa_reserve_vcc 1
		.amdhsa_float_round_mode_32 0
		.amdhsa_float_round_mode_16_64 0
		.amdhsa_float_denorm_mode_32 3
		.amdhsa_float_denorm_mode_16_64 3
		.amdhsa_dx10_clamp 1
		.amdhsa_ieee_mode 1
		.amdhsa_fp16_overflow 0
		.amdhsa_tg_split 0
		.amdhsa_exception_fp_ieee_invalid_op 0
		.amdhsa_exception_fp_denorm_src 0
		.amdhsa_exception_fp_ieee_div_zero 0
		.amdhsa_exception_fp_ieee_overflow 0
		.amdhsa_exception_fp_ieee_underflow 0
		.amdhsa_exception_fp_ieee_inexact 0
		.amdhsa_exception_int_div_zero 0
	.end_amdhsa_kernel
	.text
.Lfunc_end107:
	.size	naive_conv_ab_nonpacked_wrw_ncdhw_ushort_double_ushort_0, .Lfunc_end107-naive_conv_ab_nonpacked_wrw_ncdhw_ushort_double_ushort_0
                                        ; -- End function
	.section	.AMDGPU.csdata,"",@progbits
; Kernel info:
; codeLenInByte = 2040
; NumSgprs: 104
; NumVgprs: 30
; NumAgprs: 0
; TotalNumVgprs: 30
; ScratchSize: 0
; MemoryBound: 0
; FloatMode: 240
; IeeeMode: 1
; LDSByteSize: 0 bytes/workgroup (compile time only)
; SGPRBlocks: 12
; VGPRBlocks: 3
; NumSGPRsForWavesPerEU: 104
; NumVGPRsForWavesPerEU: 30
; AccumOffset: 32
; Occupancy: 7
; WaveLimiterHint : 0
; COMPUTE_PGM_RSRC2:SCRATCH_EN: 0
; COMPUTE_PGM_RSRC2:USER_SGPR: 2
; COMPUTE_PGM_RSRC2:TRAP_HANDLER: 0
; COMPUTE_PGM_RSRC2:TGID_X_EN: 1
; COMPUTE_PGM_RSRC2:TGID_Y_EN: 0
; COMPUTE_PGM_RSRC2:TGID_Z_EN: 0
; COMPUTE_PGM_RSRC2:TIDIG_COMP_CNT: 0
; COMPUTE_PGM_RSRC3_GFX90A:ACCUM_OFFSET: 7
; COMPUTE_PGM_RSRC3_GFX90A:TG_SPLIT: 0
	.text
	.protected	naive_conv_ab_packed_wrw_ndhwc_float_double_float_0 ; -- Begin function naive_conv_ab_packed_wrw_ndhwc_float_double_float_0
	.globl	naive_conv_ab_packed_wrw_ndhwc_float_double_float_0
	.p2align	8
	.type	naive_conv_ab_packed_wrw_ndhwc_float_double_float_0,@function
naive_conv_ab_packed_wrw_ndhwc_float_double_float_0: ; @naive_conv_ab_packed_wrw_ndhwc_float_double_float_0
; %bb.0:
	s_load_dwordx16 s[8:23], s[0:1], 0xb8
	s_load_dwordx2 s[4:5], s[0:1], 0x108
	s_load_dwordx4 s[36:39], s[0:1], 0xf8
	s_waitcnt lgkmcnt(0)
	s_abs_i32 s7, s12
	v_cvt_f32_u32_e32 v1, s7
	s_mul_i32 s6, s4, s13
	s_mul_i32 s3, s6, s39
	;; [unrolled: 1-line block ×3, first 2 shown]
	v_rcp_iflag_f32_e32 v1, v1
	v_cmp_gt_i32_e32 vcc, s33, v0
	v_mul_f32_e32 v1, 0x4f7ffffe, v1
	v_cvt_u32_f32_e32 v1, v1
	s_nop 0
	v_readfirstlane_b32 s34, v1
	s_and_saveexec_b64 s[24:25], vcc
	s_cbranch_execz .LBB108_21
; %bb.1:
	s_sub_i32 s42, 0, s7
	s_mul_i32 s42, s42, s34
	s_mul_hi_u32 s42, s34, s42
	s_abs_i32 s41, s2
	s_add_i32 s34, s34, s42
	s_ashr_i32 s35, s2, 31
	s_ashr_i32 s40, s12, 31
	s_mul_hi_u32 s34, s41, s34
	s_xor_b32 s35, s35, s40
	s_mul_i32 s40, s34, s7
	s_sub_i32 s40, s41, s40
	s_add_i32 s41, s34, 1
	s_sub_i32 s42, s40, s7
	s_cmp_ge_u32 s40, s7
	s_cselect_b32 s34, s41, s34
	s_cselect_b32 s40, s42, s40
	s_add_i32 s41, s34, 1
	s_cmp_ge_u32 s40, s7
	s_load_dwordx8 s[24:31], s[0:1], 0x0
	s_cselect_b32 s7, s41, s34
	s_xor_b32 s7, s7, s35
	s_sub_i32 s7, s7, s35
	s_mul_i32 s34, s7, s12
	s_mul_hi_i32 s43, s7, s13
	s_mul_i32 s42, s7, s13
	s_sub_i32 s40, s2, s34
	s_ashr_i32 s64, s13, 31
	s_lshl_b64 s[42:43], s[42:43], 2
	s_waitcnt lgkmcnt(0)
	s_add_u32 s24, s24, s42
	s_addc_u32 s25, s25, s43
	s_ashr_i32 s2, s39, 31
	s_ashr_i32 s67, s4, 31
	;; [unrolled: 1-line block ×3, first 2 shown]
	s_mul_hi_i32 s43, s38, s13
	s_mul_i32 s38, s38, s13
	s_mul_hi_i32 s35, s7, s12
	s_add_u32 s7, s34, s40
	s_mul_i32 s2, s38, s2
	s_mul_hi_u32 s44, s38, s39
	s_addc_u32 s42, s35, s41
	s_add_i32 s2, s44, s2
	s_mul_i32 s43, s43, s39
	s_mul_i32 s38, s38, s39
	s_add_i32 s2, s2, s43
	s_mul_i32 s43, s38, s67
	s_mul_hi_u32 s44, s38, s4
	s_add_i32 s43, s44, s43
	s_mul_i32 s2, s2, s4
	s_mul_i32 s38, s38, s4
	s_add_i32 s2, s43, s2
	s_mul_i32 s42, s38, s42
	s_mul_hi_u32 s43, s38, s7
	s_add_i32 s42, s43, s42
	s_mul_i32 s2, s2, s7
	s_load_dwordx2 s[44:45], s[0:1], 0x20
	s_add_i32 s43, s42, s2
	s_load_dword s2, s[0:1], 0x11c
	s_mul_i32 s42, s38, s7
	s_lshl_b64 s[42:43], s[42:43], 2
	s_add_u32 s26, s26, s42
	s_addc_u32 s27, s27, s43
	s_lshl_b64 s[34:35], s[34:35], 2
	s_waitcnt lgkmcnt(0)
	s_add_u32 s7, s44, s34
	s_addc_u32 s35, s45, s35
	s_lshl_b64 s[0:1], s[40:41], 2
	s_add_u32 s34, s7, s0
	s_addc_u32 s35, s35, s1
	s_cmp_lt_i32 s11, 1
	s_cselect_b64 s[40:41], -1, 0
	s_cmp_gt_i32 s14, 0
	s_cselect_b64 s[42:43], -1, 0
	s_cmp_gt_i32 s15, 0
	;; [unrolled: 2-line block ×3, first 2 shown]
	s_cselect_b64 s[46:47], -1, 0
	s_abs_i32 s77, s13
	v_cvt_f32_u32_e32 v1, s77
	s_abs_i32 s78, s4
	v_cvt_f32_u32_e32 v2, s78
	s_abs_i32 s80, s6
	v_rcp_iflag_f32_e32 v1, v1
	v_cvt_f32_u32_e32 v4, s80
	v_rcp_iflag_f32_e32 v2, v2
	s_and_b32 s79, s2, 0xffff
	v_mul_f32_e32 v1, 0x4f7ffffe, v1
	v_cvt_u32_f32_e32 v1, v1
	s_sub_i32 s2, 0, s77
	v_mul_f32_e32 v2, 0x4f7ffffe, v2
	v_cvt_u32_f32_e32 v2, v2
	v_mul_lo_u32 v3, s2, v1
	v_mul_hi_u32 v3, v1, v3
	v_add_u32_e32 v1, v1, v3
	v_rcp_iflag_f32_e32 v3, v4
	s_sub_i32 s2, 0, s78
	v_mul_lo_u32 v4, s2, v2
	v_mul_hi_u32 v4, v2, v4
	v_add_u32_e32 v18, v2, v4
	v_mul_f32_e32 v2, 0x4f7ffffe, v3
	s_abs_i32 s81, s39
	v_cvt_u32_f32_e32 v2, v2
	v_cvt_f32_u32_e32 v3, s81
	s_abs_i32 s83, s3
	v_cvt_f32_u32_e32 v5, s83
	s_sub_i32 s2, 0, s80
	v_mul_lo_u32 v4, s2, v2
	v_rcp_iflag_f32_e32 v3, v3
	v_mul_hi_u32 v4, v2, v4
	v_add_u32_e32 v19, v2, v4
	v_rcp_iflag_f32_e32 v2, v5
	v_mul_f32_e32 v3, 0x4f7ffffe, v3
	v_cvt_u32_f32_e32 v3, v3
	s_sub_i32 s2, 0, s81
	v_mul_f32_e32 v2, 0x4f7ffffe, v2
	v_cvt_u32_f32_e32 v2, v2
	v_mul_lo_u32 v4, s2, v3
	s_mov_b32 s68, s4
	s_mul_i32 s0, s5, s12
	v_mul_hi_u32 v4, v3, v4
	s_sub_i32 s2, 0, s83
	s_mul_i32 s4, s16, s15
	s_mul_i32 s69, s5, s13
	s_ashr_i32 s5, s14, 31
	v_add_u32_e32 v20, v3, v4
	v_mul_lo_u32 v3, s2, v2
	s_mul_i32 s2, s4, s0
	s_ashr_i32 s1, s0, 31
	s_ashr_i32 s82, s6, 31
	s_mul_hi_u32 s6, s2, s14
	s_mul_i32 s5, s2, s5
	s_ashr_i32 s84, s3, 31
	s_mul_hi_i32 s3, s16, s15
	s_add_i32 s5, s6, s5
	s_mul_hi_u32 s6, s4, s0
	s_mul_i32 s4, s4, s1
	s_add_i32 s4, s6, s4
	s_mul_i32 s3, s3, s0
	s_add_i32 s3, s4, s3
	v_cmp_neq_f64_e64 s[48:49], s[28:29], 1.0
	v_cmp_neq_f64_e64 s[50:51], s[30:31], 0
	s_mul_i32 s4, s3, s14
	s_or_b64 s[48:49], s[48:49], s[50:51]
	v_mul_hi_u32 v3, v2, v3
	s_add_i32 s5, s5, s4
	s_mul_i32 s4, s2, s14
	s_lshl_b64 s[50:51], s[2:3], 2
	s_mul_hi_i32 s3, s16, s0
	s_mul_i32 s2, s16, s0
	s_mov_b32 s65, s13
	s_mov_b32 s66, s39
	s_ashr_i32 s70, s8, 31
	s_mov_b32 s71, s8
	s_ashr_i32 s72, s9, 31
	;; [unrolled: 2-line block ×4, first 2 shown]
	s_mov_b64 s[12:13], 0
	v_add_u32_e32 v21, v2, v3
	s_lshl_b64 s[38:39], s[4:5], 2
	s_lshl_b64 s[52:53], s[2:3], 2
	;; [unrolled: 1-line block ×3, first 2 shown]
	s_sub_i32 s37, 0, s37
	v_mov_b32_e32 v3, 0
	s_branch .LBB108_3
.LBB108_2:                              ;   in Loop: Header=BB108_3 Depth=1
	v_add_u32_e32 v0, s79, v0
	v_cmp_le_i32_e32 vcc, s33, v0
	v_cvt_f32_f64_e32 v2, v[8:9]
	s_or_b64 s[12:13], vcc, s[12:13]
	global_store_dword v[4:5], v2, off
	s_andn2_b64 exec, exec, s[12:13]
	s_cbranch_execz .LBB108_21
.LBB108_3:                              ; =>This Loop Header: Depth=1
                                        ;     Child Loop BB108_8 Depth 2
                                        ;       Child Loop BB108_11 Depth 3
                                        ;         Child Loop BB108_14 Depth 4
                                        ;           Child Loop BB108_17 Depth 5
	v_sub_u32_e32 v5, 0, v0
	v_max_i32_e32 v5, v0, v5
	v_mul_hi_u32 v6, v5, v1
	v_mul_lo_u32 v7, v6, s77
	v_sub_u32_e32 v7, v5, v7
	v_add_u32_e32 v8, 1, v6
	v_cmp_le_u32_e32 vcc, s77, v7
	v_ashrrev_i32_e32 v2, 31, v0
	v_xor_b32_e32 v4, s64, v2
	v_cndmask_b32_e32 v6, v6, v8, vcc
	v_subrev_u32_e32 v8, s77, v7
	v_cndmask_b32_e32 v7, v7, v8, vcc
	v_add_u32_e32 v8, 1, v6
	v_cmp_le_u32_e32 vcc, s77, v7
	v_mul_hi_u32 v9, v5, v19
	v_mul_lo_u32 v10, v9, s80
	v_cndmask_b32_e32 v6, v6, v8, vcc
	v_xor_b32_e32 v6, v6, v4
	v_sub_u32_e32 v6, v6, v4
	v_sub_u32_e32 v7, 0, v6
	v_max_i32_e32 v7, v6, v7
	v_mul_hi_u32 v8, v7, v18
	v_mul_lo_u32 v8, v8, s78
	v_sub_u32_e32 v7, v7, v8
	v_subrev_u32_e32 v8, s78, v7
	v_cmp_le_u32_e32 vcc, s78, v7
	v_sub_u32_e32 v10, v5, v10
	v_add_u32_e32 v11, 1, v9
	v_cndmask_b32_e32 v7, v7, v8, vcc
	v_cmp_le_u32_e32 vcc, s80, v10
	v_xor_b32_e32 v8, s82, v2
	v_mul_lo_u32 v4, v6, s65
	v_cndmask_b32_e32 v9, v9, v11, vcc
	v_subrev_u32_e32 v11, s80, v10
	v_cndmask_b32_e32 v10, v10, v11, vcc
	v_add_u32_e32 v11, 1, v9
	v_cmp_le_u32_e32 vcc, s80, v10
	v_sub_u32_e32 v4, v0, v4
	v_cmp_le_u32_e64 s[0:1], s78, v7
	v_cndmask_b32_e32 v9, v9, v11, vcc
	v_xor_b32_e32 v9, v9, v8
	v_sub_u32_e32 v8, v9, v8
	v_sub_u32_e32 v9, 0, v8
	v_max_i32_e32 v9, v8, v9
	v_mul_hi_u32 v10, v9, v20
	v_mul_lo_u32 v10, v10, s81
	v_sub_u32_e32 v9, v9, v10
	v_subrev_u32_e32 v10, s81, v9
	v_cmp_le_u32_e32 vcc, s81, v9
	s_mov_b64 s[58:59], -1
                                        ; implicit-def: $sgpr56_sgpr57
	s_nop 0
	v_cndmask_b32_e32 v10, v9, v10, vcc
	v_mul_hi_u32 v9, v5, v21
	v_mul_lo_u32 v11, v9, s83
	v_sub_u32_e32 v5, v5, v11
	v_subrev_u32_e32 v11, s83, v5
	v_cmp_le_u32_e64 s[4:5], s83, v5
	v_cmp_le_u32_e64 s[2:3], s81, v10
	s_andn2_b64 vcc, exec, s[40:41]
	v_cndmask_b32_e64 v5, v5, v11, s[4:5]
	v_cmp_le_u32_e64 s[6:7], s83, v5
	s_cbranch_vccnz .LBB108_5
; %bb.4:                                ;   in Loop: Header=BB108_3 Depth=1
	v_ashrrev_i32_e32 v5, 31, v4
	s_mov_b64 s[58:59], 0
	s_mov_b64 s[56:57], 0
.LBB108_5:                              ;   in Loop: Header=BB108_3 Depth=1
	v_subrev_u32_e32 v11, s78, v7
	v_ashrrev_i32_e32 v6, 31, v6
	v_cndmask_b32_e64 v7, v7, v11, s[0:1]
	v_xor_b32_e32 v7, v7, v6
	v_sub_u32_e32 v6, v7, v6
	v_ashrrev_i32_e32 v7, 31, v8
	v_subrev_u32_e32 v8, s81, v10
	v_cndmask_b32_e64 v8, v10, v8, s[2:3]
	v_xor_b32_e32 v8, v8, v7
	v_sub_u32_e32 v10, v8, v7
	v_add_u32_e32 v7, 1, v9
	v_cndmask_b32_e64 v7, v9, v7, s[4:5]
	v_add_u32_e32 v8, 1, v7
	v_xor_b32_e32 v2, s84, v2
	v_cndmask_b32_e64 v7, v7, v8, s[6:7]
	v_xor_b32_e32 v7, v7, v2
	v_sub_u32_e32 v7, v7, v2
	s_andn2_b64 vcc, exec, s[58:59]
	v_mov_b64_e32 v[8:9], s[56:57]
	s_cbranch_vccnz .LBB108_19
; %bb.6:                                ;   in Loop: Header=BB108_3 Depth=1
	v_mul_lo_u32 v2, v6, s22
	v_ashrrev_i32_e32 v5, 31, v4
	v_mul_lo_u32 v11, v7, s20
	v_mul_lo_u32 v22, v10, s21
	v_lshl_add_u64 v[12:13], v[4:5], 2, s[24:25]
	v_add_u32_e32 v23, s37, v2
	s_mov_b32 s85, 0
	v_mov_b64_e32 v[8:9], 0
	s_mov_b64 s[2:3], s[34:35]
	s_branch .LBB108_8
.LBB108_7:                              ;   in Loop: Header=BB108_8 Depth=2
	s_add_i32 s85, s85, 1
	s_add_u32 s2, s2, s38
	s_addc_u32 s3, s3, s39
	s_cmp_eq_u32 s85, s11
	s_cbranch_scc1 .LBB108_19
.LBB108_8:                              ;   Parent Loop BB108_3 Depth=1
                                        ; =>  This Loop Header: Depth=2
                                        ;       Child Loop BB108_11 Depth 3
                                        ;         Child Loop BB108_14 Depth 4
                                        ;           Child Loop BB108_17 Depth 5
	s_andn2_b64 vcc, exec, s[42:43]
	s_cbranch_vccnz .LBB108_7
; %bb.9:                                ;   in Loop: Header=BB108_8 Depth=2
	s_mul_i32 s0, s85, s70
	s_mul_hi_u32 s1, s85, s71
	s_add_i32 s5, s1, s0
	s_mul_i32 s4, s85, s71
	s_mov_b32 s86, 0
	s_mov_b64 s[6:7], s[2:3]
	s_branch .LBB108_11
.LBB108_10:                             ;   in Loop: Header=BB108_11 Depth=3
	s_add_i32 s86, s86, 1
	s_add_u32 s6, s6, s50
	s_addc_u32 s7, s7, s51
	s_cmp_eq_u32 s86, s14
	s_cbranch_scc1 .LBB108_7
.LBB108_11:                             ;   Parent Loop BB108_3 Depth=1
                                        ;     Parent Loop BB108_8 Depth=2
                                        ; =>    This Loop Header: Depth=3
                                        ;         Child Loop BB108_14 Depth 4
                                        ;           Child Loop BB108_17 Depth 5
	s_andn2_b64 vcc, exec, s[44:45]
	s_cbranch_vccnz .LBB108_10
; %bb.12:                               ;   in Loop: Header=BB108_11 Depth=3
	s_mul_i32 s0, s86, s17
	s_sub_i32 s0, s0, s23
	v_add_u32_e32 v2, s0, v11
	v_cmp_gt_i32_e32 vcc, 0, v2
	v_cmp_le_i32_e64 s[0:1], s8, v2
	v_lshl_add_u64 v[14:15], s[4:5], 0, v[2:3]
	s_or_b64 s[56:57], vcc, s[0:1]
	v_mul_lo_u32 v2, v15, s73
	v_mul_lo_u32 v16, v14, s72
	v_mad_u64_u32 v[14:15], s[0:1], v14, s73, 0
	s_mov_b32 s87, 0
	v_add3_u32 v15, v15, v16, v2
	s_mov_b64 s[58:59], s[6:7]
	s_branch .LBB108_14
.LBB108_13:                             ;   in Loop: Header=BB108_14 Depth=4
	s_add_i32 s87, s87, 1
	s_add_u32 s58, s58, s52
	s_addc_u32 s59, s59, s53
	s_cmp_eq_u32 s87, s15
	s_cbranch_scc1 .LBB108_10
.LBB108_14:                             ;   Parent Loop BB108_3 Depth=1
                                        ;     Parent Loop BB108_8 Depth=2
                                        ;       Parent Loop BB108_11 Depth=3
                                        ; =>      This Loop Header: Depth=4
                                        ;           Child Loop BB108_17 Depth 5
	s_andn2_b64 vcc, exec, s[46:47]
	s_cbranch_vccnz .LBB108_13
; %bb.15:                               ;   in Loop: Header=BB108_14 Depth=4
	s_mul_i32 s0, s87, s18
	s_sub_i32 s0, s0, s36
	v_add_u32_e32 v2, s0, v22
	v_cmp_gt_i32_e32 vcc, 0, v2
	v_cmp_le_i32_e64 s[0:1], s9, v2
	s_or_b64 s[0:1], vcc, s[0:1]
	v_lshl_add_u64 v[16:17], v[14:15], 0, v[2:3]
	s_or_b64 s[60:61], s[56:57], s[0:1]
	v_mul_lo_u32 v2, v17, s75
	v_mul_lo_u32 v24, v16, s74
	v_mad_u64_u32 v[16:17], s[0:1], v16, s75, 0
	v_add3_u32 v17, v17, v24, v2
	v_mov_b32_e32 v2, v23
	s_mov_b64 s[62:63], s[58:59]
	s_mov_b32 s88, s16
	s_branch .LBB108_17
.LBB108_16:                             ;   in Loop: Header=BB108_17 Depth=5
	s_or_b64 exec, exec, s[0:1]
	s_add_i32 s88, s88, -1
	s_add_u32 s62, s62, s54
	s_addc_u32 s63, s63, s55
	s_cmp_eq_u32 s88, 0
	v_add_u32_e32 v2, s19, v2
	s_cbranch_scc1 .LBB108_13
.LBB108_17:                             ;   Parent Loop BB108_3 Depth=1
                                        ;     Parent Loop BB108_8 Depth=2
                                        ;       Parent Loop BB108_11 Depth=3
                                        ;         Parent Loop BB108_14 Depth=4
                                        ; =>        This Inner Loop Header: Depth=5
	v_cmp_gt_i32_e32 vcc, 0, v2
	v_cmp_le_i32_e64 s[0:1], s10, v2
	s_or_b64 s[0:1], vcc, s[0:1]
	s_or_b64 s[0:1], s[60:61], s[0:1]
	s_xor_b64 s[90:91], s[0:1], -1
	s_and_saveexec_b64 s[0:1], s[90:91]
	s_cbranch_execz .LBB108_16
; %bb.18:                               ;   in Loop: Header=BB108_17 Depth=5
	v_lshl_add_u64 v[24:25], v[16:17], 0, v[2:3]
	v_mul_lo_u32 v26, v25, s69
	v_mul_lo_u32 v27, v24, s76
	v_mad_u64_u32 v[24:25], s[90:91], v24, s69, 0
	v_add3_u32 v25, v25, v27, v26
	v_lshl_add_u64 v[24:25], v[24:25], 2, v[12:13]
	global_load_dword v24, v[24:25], off
	s_load_dword s89, s[62:63], 0x0
	s_waitcnt lgkmcnt(0)
	v_cvt_f64_f32_e32 v[26:27], s89
	s_waitcnt vmcnt(0)
	v_cvt_f64_f32_e32 v[24:25], v24
	v_fmac_f64_e32 v[8:9], v[24:25], v[26:27]
	s_branch .LBB108_16
.LBB108_19:                             ;   in Loop: Header=BB108_3 Depth=1
	v_ashrrev_i32_e32 v11, 31, v10
	v_mad_i64_i32 v[10:11], s[0:1], v7, s66, v[10:11]
	v_ashrrev_i32_e32 v7, 31, v6
	v_mad_u64_u32 v[6:7], s[0:1], v10, s68, v[6:7]
	v_mul_lo_u32 v2, v10, s67
	v_mul_lo_u32 v10, v11, s68
	v_add3_u32 v2, v10, v7, v2
	v_mul_lo_u32 v10, v6, s64
	v_mul_lo_u32 v2, v2, s65
	v_mad_u64_u32 v[6:7], s[0:1], v6, s65, 0
	v_add3_u32 v7, v7, v10, v2
	v_lshl_add_u64 v[6:7], v[6:7], 2, s[26:27]
	s_andn2_b64 vcc, exec, s[48:49]
	v_lshl_add_u64 v[4:5], v[4:5], 2, v[6:7]
	s_cbranch_vccnz .LBB108_2
; %bb.20:                               ;   in Loop: Header=BB108_3 Depth=1
	global_load_dword v2, v[4:5], off
	s_waitcnt vmcnt(0)
	v_cvt_f64_f32_e32 v[6:7], v2
	v_mul_f64 v[6:7], v[6:7], s[30:31]
	v_fmac_f64_e32 v[6:7], s[28:29], v[8:9]
	v_mov_b64_e32 v[8:9], v[6:7]
	s_branch .LBB108_2
.LBB108_21:
	s_endpgm
	.section	.rodata,"a",@progbits
	.p2align	6, 0x0
	.amdhsa_kernel naive_conv_ab_packed_wrw_ndhwc_float_double_float_0
		.amdhsa_group_segment_fixed_size 0
		.amdhsa_private_segment_fixed_size 0
		.amdhsa_kernarg_size 528
		.amdhsa_user_sgpr_count 2
		.amdhsa_user_sgpr_dispatch_ptr 0
		.amdhsa_user_sgpr_queue_ptr 0
		.amdhsa_user_sgpr_kernarg_segment_ptr 1
		.amdhsa_user_sgpr_dispatch_id 0
		.amdhsa_user_sgpr_kernarg_preload_length 0
		.amdhsa_user_sgpr_kernarg_preload_offset 0
		.amdhsa_user_sgpr_private_segment_size 0
		.amdhsa_uses_dynamic_stack 0
		.amdhsa_enable_private_segment 0
		.amdhsa_system_sgpr_workgroup_id_x 1
		.amdhsa_system_sgpr_workgroup_id_y 0
		.amdhsa_system_sgpr_workgroup_id_z 0
		.amdhsa_system_sgpr_workgroup_info 0
		.amdhsa_system_vgpr_workitem_id 0
		.amdhsa_next_free_vgpr 28
		.amdhsa_next_free_sgpr 92
		.amdhsa_accum_offset 28
		.amdhsa_reserve_vcc 1
		.amdhsa_float_round_mode_32 0
		.amdhsa_float_round_mode_16_64 0
		.amdhsa_float_denorm_mode_32 3
		.amdhsa_float_denorm_mode_16_64 3
		.amdhsa_dx10_clamp 1
		.amdhsa_ieee_mode 1
		.amdhsa_fp16_overflow 0
		.amdhsa_tg_split 0
		.amdhsa_exception_fp_ieee_invalid_op 0
		.amdhsa_exception_fp_denorm_src 0
		.amdhsa_exception_fp_ieee_div_zero 0
		.amdhsa_exception_fp_ieee_overflow 0
		.amdhsa_exception_fp_ieee_underflow 0
		.amdhsa_exception_fp_ieee_inexact 0
		.amdhsa_exception_int_div_zero 0
	.end_amdhsa_kernel
	.text
.Lfunc_end108:
	.size	naive_conv_ab_packed_wrw_ndhwc_float_double_float_0, .Lfunc_end108-naive_conv_ab_packed_wrw_ndhwc_float_double_float_0
                                        ; -- End function
	.section	.AMDGPU.csdata,"",@progbits
; Kernel info:
; codeLenInByte = 1912
; NumSgprs: 98
; NumVgprs: 28
; NumAgprs: 0
; TotalNumVgprs: 28
; ScratchSize: 0
; MemoryBound: 0
; FloatMode: 240
; IeeeMode: 1
; LDSByteSize: 0 bytes/workgroup (compile time only)
; SGPRBlocks: 12
; VGPRBlocks: 3
; NumSGPRsForWavesPerEU: 98
; NumVGPRsForWavesPerEU: 28
; AccumOffset: 28
; Occupancy: 8
; WaveLimiterHint : 0
; COMPUTE_PGM_RSRC2:SCRATCH_EN: 0
; COMPUTE_PGM_RSRC2:USER_SGPR: 2
; COMPUTE_PGM_RSRC2:TRAP_HANDLER: 0
; COMPUTE_PGM_RSRC2:TGID_X_EN: 1
; COMPUTE_PGM_RSRC2:TGID_Y_EN: 0
; COMPUTE_PGM_RSRC2:TGID_Z_EN: 0
; COMPUTE_PGM_RSRC2:TIDIG_COMP_CNT: 0
; COMPUTE_PGM_RSRC3_GFX90A:ACCUM_OFFSET: 6
; COMPUTE_PGM_RSRC3_GFX90A:TG_SPLIT: 0
	.text
	.protected	naive_conv_ab_nonpacked_wrw_ndhwc_float_double_float_0 ; -- Begin function naive_conv_ab_nonpacked_wrw_ndhwc_float_double_float_0
	.globl	naive_conv_ab_nonpacked_wrw_ndhwc_float_double_float_0
	.p2align	8
	.type	naive_conv_ab_nonpacked_wrw_ndhwc_float_double_float_0,@function
naive_conv_ab_nonpacked_wrw_ndhwc_float_double_float_0: ; @naive_conv_ab_nonpacked_wrw_ndhwc_float_double_float_0
; %bb.0:
	s_load_dwordx16 s[8:23], s[0:1], 0xb8
	s_load_dword s6, s[0:1], 0x108
	s_load_dwordx4 s[68:71], s[0:1], 0xf8
	s_waitcnt lgkmcnt(0)
	s_abs_i32 s3, s12
	v_cvt_f32_u32_e32 v1, s3
	s_mul_i32 s5, s6, s13
	s_mul_i32 s4, s5, s71
	;; [unrolled: 1-line block ×3, first 2 shown]
	v_rcp_iflag_f32_e32 v1, v1
	v_cmp_gt_i32_e32 vcc, s33, v0
	v_mul_f32_e32 v1, 0x4f7ffffe, v1
	v_cvt_u32_f32_e32 v1, v1
	s_nop 0
	v_readfirstlane_b32 s7, v1
	s_and_saveexec_b64 s[24:25], vcc
	s_cbranch_execz .LBB109_21
; %bb.1:
	s_sub_i32 s36, 0, s3
	s_mul_i32 s36, s36, s7
	s_mul_hi_u32 s36, s7, s36
	s_abs_i32 s70, s2
	s_add_i32 s7, s7, s36
	s_ashr_i32 s34, s2, 31
	s_ashr_i32 s35, s12, 31
	s_mul_hi_u32 s7, s70, s7
	s_xor_b32 s34, s34, s35
	s_mul_i32 s35, s7, s3
	s_sub_i32 s35, s70, s35
	s_add_i32 s70, s7, 1
	s_sub_i32 s72, s35, s3
	s_cmp_ge_u32 s35, s3
	s_cselect_b32 s7, s70, s7
	s_cselect_b32 s35, s72, s35
	s_add_i32 s70, s7, 1
	s_cmp_ge_u32 s35, s3
	s_load_dwordx16 s[36:51], s[0:1], 0x28
	s_load_dwordx16 s[52:67], s[0:1], 0x68
	s_cselect_b32 s3, s70, s7
	s_xor_b32 s3, s3, s34
	s_sub_i32 s7, s3, s34
	s_load_dwordx8 s[24:31], s[0:1], 0x0
	s_mul_i32 s3, s7, s12
	s_ashr_i32 s70, s7, 31
	s_sub_i32 s12, s2, s3
	s_waitcnt lgkmcnt(0)
	s_mul_i32 s2, s38, s70
	s_mul_hi_u32 s3, s38, s7
	s_add_i32 s2, s3, s2
	s_mul_i32 s3, s39, s7
	s_add_i32 s3, s2, s3
	s_mul_i32 s2, s38, s7
	s_lshl_b64 s[2:3], s[2:3], 2
	s_add_u32 s24, s24, s2
	s_addc_u32 s25, s25, s3
	s_mul_i32 s2, s58, s70
	s_mul_hi_u32 s3, s58, s7
	s_ashr_i32 s38, s12, 31
	s_add_i32 s2, s3, s2
	s_mul_i32 s3, s59, s7
	s_mul_i32 s34, s56, s38
	s_mul_hi_u32 s35, s56, s12
	s_add_i32 s3, s2, s3
	s_mul_i32 s2, s58, s7
	s_add_i32 s34, s35, s34
	s_mul_i32 s35, s57, s12
	s_add_i32 s35, s34, s35
	s_lshl_b64 s[2:3], s[2:3], 2
	s_mul_i32 s34, s56, s12
	s_add_u32 s26, s26, s2
	s_addc_u32 s27, s27, s3
	s_lshl_b64 s[2:3], s[34:35], 2
	s_add_u32 s26, s26, s2
	s_addc_u32 s27, s27, s3
	s_load_dwordx2 s[2:3], s[0:1], 0x20
	s_mul_i32 s34, s62, s70
	s_mul_hi_u32 s35, s62, s7
	s_add_i32 s34, s35, s34
	s_mul_i32 s35, s63, s7
	s_add_i32 s35, s34, s35
	s_mul_i32 s34, s62, s7
	s_mul_i32 s7, s60, s38
	s_mul_hi_u32 s38, s60, s12
	s_add_i32 s7, s38, s7
	s_mul_i32 s38, s61, s12
	s_add_i32 s39, s7, s38
	s_lshl_b64 s[34:35], s[34:35], 2
	s_mul_i32 s38, s60, s12
	s_waitcnt lgkmcnt(0)
	s_add_u32 s7, s2, s34
	s_addc_u32 s12, s3, s35
	s_lshl_b64 s[2:3], s[38:39], 2
	s_add_u32 s34, s7, s2
	s_addc_u32 s35, s12, s3
	s_cmp_lt_i32 s11, 1
	s_cselect_b64 s[38:39], -1, 0
	s_cmp_gt_i32 s14, 0
	s_cselect_b64 s[56:57], -1, 0
	s_cmp_gt_i32 s15, 0
	;; [unrolled: 2-line block ×3, first 2 shown]
	s_cselect_b64 s[60:61], -1, 0
	s_abs_i32 s12, s13
	v_cvt_f32_u32_e32 v1, s12
	s_abs_i32 s82, s6
	v_cvt_f32_u32_e32 v3, s82
	;; [unrolled: 2-line block ×4, first 2 shown]
	s_abs_i32 s85, s4
	v_rcp_iflag_f32_e32 v1, v1
	v_cvt_f32_u32_e32 v9, s85
	v_rcp_iflag_f32_e32 v3, v3
	v_cmp_neq_f64_e64 s[2:3], s[28:29], 1.0
	v_cmp_neq_f64_e64 s[62:63], s[30:31], 0
	v_rcp_iflag_f32_e32 v5, v5
	s_or_b64 s[62:63], s[2:3], s[62:63]
	s_load_dword s7, s[0:1], 0x11c
	s_nop 0
	s_load_dwordx4 s[0:3], s[0:1], 0xa8
	v_rcp_iflag_f32_e32 v7, v7
	v_mul_f32_e32 v1, 0x4f7ffffe, v1
	v_rcp_iflag_f32_e32 v9, v9
	v_cvt_u32_f32_e32 v1, v1
	v_mul_f32_e32 v3, 0x4f7ffffe, v3
	v_cvt_u32_f32_e32 v3, v3
	v_mul_f32_e32 v5, 0x4f7ffffe, v5
	;; [unrolled: 2-line block ×3, first 2 shown]
	s_waitcnt lgkmcnt(0)
	s_lshl_b64 s[74:75], s[0:1], 2
	s_sub_i32 s0, 0, s12
	v_cvt_u32_f32_e32 v7, v7
	v_mul_f32_e32 v9, 0x4f7ffffe, v9
	v_mul_lo_u32 v2, s0, v1
	s_sub_i32 s0, 0, s82
	v_cvt_u32_f32_e32 v9, v9
	v_mul_lo_u32 v4, s0, v3
	s_sub_i32 s0, 0, s83
	v_mul_hi_u32 v2, v1, v2
	v_mul_lo_u32 v6, s0, v5
	s_sub_i32 s0, 0, s84
	v_add_u32_e32 v1, v1, v2
	v_mul_hi_u32 v2, v3, v4
	v_mul_lo_u32 v8, s0, v7
	s_sub_i32 s0, 0, s85
	v_add_u32_e32 v16, v3, v2
	v_mul_hi_u32 v2, v5, v6
	v_mul_lo_u32 v10, s0, v9
	v_add_u32_e32 v17, v5, v2
	v_mul_hi_u32 v2, v7, v8
	v_add_u32_e32 v18, v7, v2
	v_mul_hi_u32 v2, v9, v10
	s_lshl_b64 s[72:73], s[2:3], 2
	s_and_b32 s86, s7, 0xffff
	s_ashr_i32 s87, s5, 31
	s_ashr_i32 s88, s4, 31
	v_add_u32_e32 v19, v9, v2
	s_ashr_i32 s89, s13, 31
	s_sub_i32 s69, 0, s69
	s_mov_b64 s[70:71], 0
	s_lshl_b64 s[66:67], s[66:67], 2
	s_lshl_b64 s[64:65], s[64:65], 2
	s_branch .LBB109_3
.LBB109_2:                              ;   in Loop: Header=BB109_3 Depth=1
	v_add_u32_e32 v0, s86, v0
	v_cmp_le_i32_e32 vcc, s33, v0
	v_cvt_f32_f64_e32 v4, v[6:7]
	s_or_b64 s[70:71], vcc, s[70:71]
	global_store_dword v[2:3], v4, off
	s_andn2_b64 exec, exec, s[70:71]
	s_cbranch_execz .LBB109_21
.LBB109_3:                              ; =>This Loop Header: Depth=1
                                        ;     Child Loop BB109_8 Depth 2
                                        ;       Child Loop BB109_11 Depth 3
                                        ;         Child Loop BB109_14 Depth 4
                                        ;           Child Loop BB109_17 Depth 5
	v_sub_u32_e32 v3, 0, v0
	v_max_i32_e32 v4, v0, v3
	v_mul_hi_u32 v3, v4, v1
	v_mul_lo_u32 v5, v3, s12
	v_sub_u32_e32 v5, v4, v5
	v_add_u32_e32 v7, 1, v3
	v_cmp_le_u32_e32 vcc, s12, v5
	v_ashrrev_i32_e32 v6, 31, v0
	v_xor_b32_e32 v2, s89, v6
	v_cndmask_b32_e32 v3, v3, v7, vcc
	v_subrev_u32_e32 v7, s12, v5
	v_cndmask_b32_e32 v5, v5, v7, vcc
	v_add_u32_e32 v7, 1, v3
	v_cmp_le_u32_e32 vcc, s12, v5
	v_mul_hi_u32 v8, v4, v17
	v_mul_lo_u32 v9, v8, s83
	v_cndmask_b32_e32 v3, v3, v7, vcc
	v_xor_b32_e32 v3, v3, v2
	v_sub_u32_e32 v3, v3, v2
	v_sub_u32_e32 v5, 0, v3
	v_max_i32_e32 v5, v3, v5
	v_mul_hi_u32 v7, v5, v16
	v_mul_lo_u32 v7, v7, s82
	v_sub_u32_e32 v5, v5, v7
	v_subrev_u32_e32 v7, s82, v5
	v_cmp_le_u32_e32 vcc, s82, v5
	v_sub_u32_e32 v9, v4, v9
	v_add_u32_e32 v10, 1, v8
	v_cndmask_b32_e32 v7, v5, v7, vcc
	v_cmp_le_u32_e32 vcc, s83, v9
	v_xor_b32_e32 v5, s87, v6
	v_mul_lo_u32 v2, v3, s13
	v_cndmask_b32_e32 v8, v8, v10, vcc
	v_subrev_u32_e32 v10, s83, v9
	v_cndmask_b32_e32 v9, v9, v10, vcc
	v_add_u32_e32 v10, 1, v8
	v_cmp_le_u32_e32 vcc, s83, v9
	v_sub_u32_e32 v2, v0, v2
	v_cmp_le_u32_e64 s[0:1], s82, v7
	v_cndmask_b32_e32 v8, v8, v10, vcc
	v_xor_b32_e32 v8, v8, v5
	v_sub_u32_e32 v8, v8, v5
	v_sub_u32_e32 v5, 0, v8
	v_max_i32_e32 v5, v8, v5
	v_mul_hi_u32 v9, v5, v18
	v_mul_lo_u32 v9, v9, s84
	v_sub_u32_e32 v5, v5, v9
	v_subrev_u32_e32 v9, s84, v5
	v_cmp_le_u32_e32 vcc, s84, v5
	s_mov_b64 s[78:79], -1
                                        ; implicit-def: $sgpr76_sgpr77
	s_nop 0
	v_cndmask_b32_e32 v10, v5, v9, vcc
	v_mul_hi_u32 v9, v4, v19
	v_mul_lo_u32 v5, v9, s85
	v_sub_u32_e32 v4, v4, v5
	v_subrev_u32_e32 v5, s85, v4
	v_cmp_le_u32_e64 s[4:5], s85, v4
	v_cmp_le_u32_e64 s[2:3], s84, v10
	s_andn2_b64 vcc, exec, s[38:39]
	v_cndmask_b32_e64 v4, v4, v5, s[4:5]
	v_cmp_le_u32_e64 s[6:7], s85, v4
                                        ; implicit-def: $vgpr4_vgpr5
	s_cbranch_vccnz .LBB109_5
; %bb.4:                                ;   in Loop: Header=BB109_3 Depth=1
	v_ashrrev_i32_e32 v5, 31, v2
	s_mov_b64 s[78:79], 0
	s_mov_b64 s[76:77], 0
.LBB109_5:                              ;   in Loop: Header=BB109_3 Depth=1
	v_subrev_u32_e32 v4, s82, v7
	v_ashrrev_i32_e32 v3, 31, v3
	v_cndmask_b32_e64 v4, v7, v4, s[0:1]
	v_xor_b32_e32 v4, v4, v3
	v_subrev_u32_e32 v7, s84, v10
	v_sub_u32_e32 v3, v4, v3
	v_ashrrev_i32_e32 v4, 31, v8
	v_cndmask_b32_e64 v7, v10, v7, s[2:3]
	v_xor_b32_e32 v7, v7, v4
	v_sub_u32_e32 v4, v7, v4
	v_add_u32_e32 v7, 1, v9
	v_cndmask_b32_e64 v7, v9, v7, s[4:5]
	v_add_u32_e32 v8, 1, v7
	v_xor_b32_e32 v6, s88, v6
	v_cndmask_b32_e64 v7, v7, v8, s[6:7]
	v_xor_b32_e32 v7, v7, v6
	v_sub_u32_e32 v20, v7, v6
	s_andn2_b64 vcc, exec, s[78:79]
	v_mov_b64_e32 v[6:7], s[76:77]
	s_cbranch_vccnz .LBB109_19
; %bb.6:                                ;   in Loop: Header=BB109_3 Depth=1
	v_ashrrev_i32_e32 v5, 31, v2
	v_mul_lo_u32 v8, s37, v2
	v_mul_lo_u32 v9, s36, v5
	v_mad_u64_u32 v[6:7], s[0:1], s36, v2, 0
	v_mul_lo_u32 v10, v3, s22
	v_add3_u32 v7, v7, v9, v8
	v_mul_lo_u32 v21, v20, s20
	v_mul_lo_u32 v22, v4, s21
	v_lshl_add_u64 v[8:9], v[6:7], 2, s[24:25]
	v_add_u32_e32 v23, s69, v10
	s_mov_b32 s90, 0
	v_mov_b64_e32 v[6:7], 0
	s_mov_b64 s[2:3], s[34:35]
	s_branch .LBB109_8
.LBB109_7:                              ;   in Loop: Header=BB109_8 Depth=2
	s_add_i32 s90, s90, 1
	s_add_u32 s2, s2, s72
	s_addc_u32 s3, s3, s73
	s_cmp_eq_u32 s90, s11
	s_cbranch_scc1 .LBB109_19
.LBB109_8:                              ;   Parent Loop BB109_3 Depth=1
                                        ; =>  This Loop Header: Depth=2
                                        ;       Child Loop BB109_11 Depth 3
                                        ;         Child Loop BB109_14 Depth 4
                                        ;           Child Loop BB109_17 Depth 5
	s_andn2_b64 vcc, exec, s[56:57]
	s_cbranch_vccnz .LBB109_7
; %bb.9:                                ;   in Loop: Header=BB109_8 Depth=2
	s_mul_i32 s0, s47, s90
	s_mul_hi_u32 s1, s46, s90
	s_add_i32 s1, s1, s0
	s_mul_i32 s0, s46, s90
	v_lshl_add_u64 v[10:11], s[0:1], 2, v[8:9]
	s_mov_b32 s91, 0
	s_mov_b64 s[4:5], s[2:3]
	s_branch .LBB109_11
.LBB109_10:                             ;   in Loop: Header=BB109_11 Depth=3
	s_add_i32 s91, s91, 1
	s_add_u32 s4, s4, s74
	s_addc_u32 s5, s5, s75
	s_cmp_eq_u32 s91, s14
	s_cbranch_scc1 .LBB109_7
.LBB109_11:                             ;   Parent Loop BB109_3 Depth=1
                                        ;     Parent Loop BB109_8 Depth=2
                                        ; =>    This Loop Header: Depth=3
                                        ;         Child Loop BB109_14 Depth 4
                                        ;           Child Loop BB109_17 Depth 5
	s_andn2_b64 vcc, exec, s[58:59]
	s_cbranch_vccnz .LBB109_10
; %bb.12:                               ;   in Loop: Header=BB109_11 Depth=3
	s_mul_i32 s0, s91, s17
	s_sub_i32 s0, s0, s23
	v_add_u32_e32 v15, s0, v21
	v_cmp_gt_i32_e32 vcc, 0, v15
	v_cmp_le_i32_e64 s[0:1], s8, v15
	s_or_b64 s[6:7], vcc, s[0:1]
	v_mad_u64_u32 v[12:13], s[0:1], s44, v15, 0
	v_mov_b32_e32 v14, v13
	v_mad_u64_u32 v[14:15], s[0:1], s45, v15, v[14:15]
	v_mov_b32_e32 v13, v14
	s_mov_b32 s92, 0
	v_lshl_add_u64 v[12:13], v[12:13], 2, v[10:11]
	s_mov_b64 s[76:77], s[4:5]
	s_branch .LBB109_14
.LBB109_13:                             ;   in Loop: Header=BB109_14 Depth=4
	s_add_i32 s92, s92, 1
	s_add_u32 s76, s76, s66
	s_addc_u32 s77, s77, s67
	s_cmp_eq_u32 s92, s15
	s_cbranch_scc1 .LBB109_10
.LBB109_14:                             ;   Parent Loop BB109_3 Depth=1
                                        ;     Parent Loop BB109_8 Depth=2
                                        ;       Parent Loop BB109_11 Depth=3
                                        ; =>      This Loop Header: Depth=4
                                        ;           Child Loop BB109_17 Depth 5
	s_andn2_b64 vcc, exec, s[60:61]
	s_cbranch_vccnz .LBB109_13
; %bb.15:                               ;   in Loop: Header=BB109_14 Depth=4
	s_mul_i32 s0, s92, s18
	s_sub_i32 s0, s0, s68
	v_add_u32_e32 v25, s0, v22
	v_cmp_gt_i32_e32 vcc, 0, v25
	v_cmp_le_i32_e64 s[0:1], s9, v25
	s_or_b64 s[0:1], vcc, s[0:1]
	s_or_b64 s[78:79], s[6:7], s[0:1]
	v_mad_u64_u32 v[14:15], s[0:1], s42, v25, 0
	v_mov_b32_e32 v24, v15
	v_mad_u64_u32 v[24:25], s[0:1], s43, v25, v[24:25]
	v_mov_b32_e32 v15, v24
	v_lshl_add_u64 v[14:15], v[14:15], 2, v[12:13]
	v_mov_b32_e32 v24, v23
	s_mov_b64 s[80:81], s[76:77]
	s_mov_b32 s93, s16
	s_branch .LBB109_17
.LBB109_16:                             ;   in Loop: Header=BB109_17 Depth=5
	s_or_b64 exec, exec, s[0:1]
	s_add_i32 s93, s93, -1
	s_add_u32 s80, s80, s64
	s_addc_u32 s81, s81, s65
	s_cmp_eq_u32 s93, 0
	v_add_u32_e32 v24, s19, v24
	s_cbranch_scc1 .LBB109_13
.LBB109_17:                             ;   Parent Loop BB109_3 Depth=1
                                        ;     Parent Loop BB109_8 Depth=2
                                        ;       Parent Loop BB109_11 Depth=3
                                        ;         Parent Loop BB109_14 Depth=4
                                        ; =>        This Inner Loop Header: Depth=5
	v_cmp_gt_i32_e32 vcc, 0, v24
	v_cmp_le_i32_e64 s[0:1], s10, v24
	s_or_b64 s[0:1], vcc, s[0:1]
	s_or_b64 s[0:1], s[78:79], s[0:1]
	s_xor_b64 s[94:95], s[0:1], -1
	s_and_saveexec_b64 s[0:1], s[94:95]
	s_cbranch_execz .LBB109_16
; %bb.18:                               ;   in Loop: Header=BB109_17 Depth=5
	v_mad_u64_u32 v[26:27], s[94:95], s40, v24, 0
	v_mov_b32_e32 v28, v27
	v_mad_u64_u32 v[28:29], s[94:95], s41, v24, v[28:29]
	v_mov_b32_e32 v27, v28
	v_lshl_add_u64 v[26:27], v[26:27], 2, v[14:15]
	global_load_dword v25, v[26:27], off
	s_load_dword s94, s[80:81], 0x0
	s_waitcnt lgkmcnt(0)
	v_cvt_f64_f32_e32 v[28:29], s94
	s_waitcnt vmcnt(0)
	v_cvt_f64_f32_e32 v[26:27], v25
	v_fmac_f64_e32 v[6:7], v[26:27], v[28:29]
	s_branch .LBB109_16
.LBB109_19:                             ;   in Loop: Header=BB109_3 Depth=1
	v_ashrrev_i32_e32 v8, 31, v20
	v_mul_lo_u32 v10, s55, v20
	v_mul_lo_u32 v11, s54, v8
	v_mad_u64_u32 v[8:9], s[0:1], s54, v20, 0
	v_add3_u32 v9, v9, v11, v10
	v_ashrrev_i32_e32 v10, 31, v4
	v_mul_lo_u32 v12, s53, v4
	v_mul_lo_u32 v13, s52, v10
	v_mad_u64_u32 v[10:11], s[0:1], s52, v4, 0
	v_ashrrev_i32_e32 v4, 31, v3
	v_add3_u32 v11, v11, v13, v12
	v_mul_lo_u32 v14, s51, v3
	v_mul_lo_u32 v4, s50, v4
	v_mad_u64_u32 v[12:13], s[0:1], s50, v3, 0
	v_add3_u32 v13, v13, v4, v14
	v_mul_lo_u32 v4, v5, s48
	v_mul_lo_u32 v5, v2, s49
	v_mad_u64_u32 v[2:3], s[0:1], v2, s48, 0
	v_add3_u32 v3, v3, v5, v4
	v_lshl_add_u64 v[4:5], v[8:9], 2, s[26:27]
	v_lshl_add_u64 v[4:5], v[10:11], 2, v[4:5]
	;; [unrolled: 1-line block ×3, first 2 shown]
	s_andn2_b64 vcc, exec, s[62:63]
	v_lshl_add_u64 v[2:3], v[2:3], 2, v[4:5]
	s_cbranch_vccnz .LBB109_2
; %bb.20:                               ;   in Loop: Header=BB109_3 Depth=1
	global_load_dword v4, v[2:3], off
	s_waitcnt vmcnt(0)
	v_cvt_f64_f32_e32 v[4:5], v4
	v_mul_f64 v[4:5], v[4:5], s[30:31]
	v_fmac_f64_e32 v[4:5], s[28:29], v[6:7]
	v_mov_b64_e32 v[6:7], v[4:5]
	s_branch .LBB109_2
.LBB109_21:
	s_endpgm
	.section	.rodata,"a",@progbits
	.p2align	6, 0x0
	.amdhsa_kernel naive_conv_ab_nonpacked_wrw_ndhwc_float_double_float_0
		.amdhsa_group_segment_fixed_size 0
		.amdhsa_private_segment_fixed_size 0
		.amdhsa_kernarg_size 528
		.amdhsa_user_sgpr_count 2
		.amdhsa_user_sgpr_dispatch_ptr 0
		.amdhsa_user_sgpr_queue_ptr 0
		.amdhsa_user_sgpr_kernarg_segment_ptr 1
		.amdhsa_user_sgpr_dispatch_id 0
		.amdhsa_user_sgpr_kernarg_preload_length 0
		.amdhsa_user_sgpr_kernarg_preload_offset 0
		.amdhsa_user_sgpr_private_segment_size 0
		.amdhsa_uses_dynamic_stack 0
		.amdhsa_enable_private_segment 0
		.amdhsa_system_sgpr_workgroup_id_x 1
		.amdhsa_system_sgpr_workgroup_id_y 0
		.amdhsa_system_sgpr_workgroup_id_z 0
		.amdhsa_system_sgpr_workgroup_info 0
		.amdhsa_system_vgpr_workitem_id 0
		.amdhsa_next_free_vgpr 30
		.amdhsa_next_free_sgpr 96
		.amdhsa_accum_offset 32
		.amdhsa_reserve_vcc 1
		.amdhsa_float_round_mode_32 0
		.amdhsa_float_round_mode_16_64 0
		.amdhsa_float_denorm_mode_32 3
		.amdhsa_float_denorm_mode_16_64 3
		.amdhsa_dx10_clamp 1
		.amdhsa_ieee_mode 1
		.amdhsa_fp16_overflow 0
		.amdhsa_tg_split 0
		.amdhsa_exception_fp_ieee_invalid_op 0
		.amdhsa_exception_fp_denorm_src 0
		.amdhsa_exception_fp_ieee_div_zero 0
		.amdhsa_exception_fp_ieee_overflow 0
		.amdhsa_exception_fp_ieee_underflow 0
		.amdhsa_exception_fp_ieee_inexact 0
		.amdhsa_exception_int_div_zero 0
	.end_amdhsa_kernel
	.text
.Lfunc_end109:
	.size	naive_conv_ab_nonpacked_wrw_ndhwc_float_double_float_0, .Lfunc_end109-naive_conv_ab_nonpacked_wrw_ndhwc_float_double_float_0
                                        ; -- End function
	.section	.AMDGPU.csdata,"",@progbits
; Kernel info:
; codeLenInByte = 1932
; NumSgprs: 102
; NumVgprs: 30
; NumAgprs: 0
; TotalNumVgprs: 30
; ScratchSize: 0
; MemoryBound: 0
; FloatMode: 240
; IeeeMode: 1
; LDSByteSize: 0 bytes/workgroup (compile time only)
; SGPRBlocks: 12
; VGPRBlocks: 3
; NumSGPRsForWavesPerEU: 102
; NumVGPRsForWavesPerEU: 30
; AccumOffset: 32
; Occupancy: 7
; WaveLimiterHint : 0
; COMPUTE_PGM_RSRC2:SCRATCH_EN: 0
; COMPUTE_PGM_RSRC2:USER_SGPR: 2
; COMPUTE_PGM_RSRC2:TRAP_HANDLER: 0
; COMPUTE_PGM_RSRC2:TGID_X_EN: 1
; COMPUTE_PGM_RSRC2:TGID_Y_EN: 0
; COMPUTE_PGM_RSRC2:TGID_Z_EN: 0
; COMPUTE_PGM_RSRC2:TIDIG_COMP_CNT: 0
; COMPUTE_PGM_RSRC3_GFX90A:ACCUM_OFFSET: 7
; COMPUTE_PGM_RSRC3_GFX90A:TG_SPLIT: 0
	.text
	.protected	naive_conv_ab_packed_wrw_ndhwc_float_double_float_1 ; -- Begin function naive_conv_ab_packed_wrw_ndhwc_float_double_float_1
	.globl	naive_conv_ab_packed_wrw_ndhwc_float_double_float_1
	.p2align	8
	.type	naive_conv_ab_packed_wrw_ndhwc_float_double_float_1,@function
naive_conv_ab_packed_wrw_ndhwc_float_double_float_1: ; @naive_conv_ab_packed_wrw_ndhwc_float_double_float_1
; %bb.0:
	s_load_dwordx16 s[8:23], s[0:1], 0xb8
	s_load_dwordx2 s[4:5], s[0:1], 0x108
	s_load_dwordx4 s[36:39], s[0:1], 0xf8
	s_waitcnt lgkmcnt(0)
	s_abs_i32 s7, s12
	v_cvt_f32_u32_e32 v1, s7
	s_mul_i32 s6, s4, s13
	s_mul_i32 s3, s6, s39
	;; [unrolled: 1-line block ×3, first 2 shown]
	v_rcp_iflag_f32_e32 v1, v1
	v_cmp_gt_i32_e32 vcc, s33, v0
	v_mul_f32_e32 v1, 0x4f7ffffe, v1
	v_cvt_u32_f32_e32 v1, v1
	s_nop 0
	v_readfirstlane_b32 s34, v1
	s_and_saveexec_b64 s[24:25], vcc
	s_cbranch_execz .LBB110_21
; %bb.1:
	s_sub_i32 s42, 0, s7
	s_mul_i32 s42, s42, s34
	s_mul_hi_u32 s42, s34, s42
	s_abs_i32 s41, s2
	s_add_i32 s34, s34, s42
	s_ashr_i32 s35, s2, 31
	s_ashr_i32 s40, s12, 31
	s_mul_hi_u32 s34, s41, s34
	s_xor_b32 s35, s35, s40
	s_mul_i32 s40, s34, s7
	s_sub_i32 s40, s41, s40
	s_add_i32 s41, s34, 1
	s_sub_i32 s42, s40, s7
	s_cmp_ge_u32 s40, s7
	s_cselect_b32 s34, s41, s34
	s_cselect_b32 s40, s42, s40
	s_add_i32 s41, s34, 1
	s_cmp_ge_u32 s40, s7
	s_load_dwordx8 s[24:31], s[0:1], 0x0
	s_cselect_b32 s7, s41, s34
	s_xor_b32 s7, s7, s35
	s_sub_i32 s7, s7, s35
	s_mul_i32 s34, s7, s12
	s_mul_hi_i32 s43, s7, s13
	s_mul_i32 s42, s7, s13
	s_sub_i32 s40, s2, s34
	s_ashr_i32 s64, s13, 31
	s_lshl_b64 s[42:43], s[42:43], 2
	s_waitcnt lgkmcnt(0)
	s_add_u32 s24, s24, s42
	s_addc_u32 s25, s25, s43
	s_ashr_i32 s2, s39, 31
	s_ashr_i32 s67, s4, 31
	;; [unrolled: 1-line block ×3, first 2 shown]
	s_mul_hi_i32 s43, s38, s13
	s_mul_i32 s38, s38, s13
	s_mul_hi_i32 s35, s7, s12
	s_add_u32 s7, s34, s40
	s_mul_i32 s2, s38, s2
	s_mul_hi_u32 s44, s38, s39
	s_addc_u32 s42, s35, s41
	s_add_i32 s2, s44, s2
	s_mul_i32 s43, s43, s39
	s_mul_i32 s38, s38, s39
	s_add_i32 s2, s2, s43
	s_mul_i32 s43, s38, s67
	s_mul_hi_u32 s44, s38, s4
	s_add_i32 s43, s44, s43
	s_mul_i32 s2, s2, s4
	s_mul_i32 s38, s38, s4
	s_add_i32 s2, s43, s2
	s_mul_i32 s42, s38, s42
	s_mul_hi_u32 s43, s38, s7
	s_add_i32 s42, s43, s42
	s_mul_i32 s2, s2, s7
	s_load_dwordx2 s[44:45], s[0:1], 0x20
	s_add_i32 s43, s42, s2
	s_load_dword s2, s[0:1], 0x11c
	s_mul_i32 s42, s38, s7
	s_lshl_b64 s[42:43], s[42:43], 2
	s_add_u32 s26, s26, s42
	s_addc_u32 s27, s27, s43
	s_lshl_b64 s[34:35], s[34:35], 2
	s_waitcnt lgkmcnt(0)
	s_add_u32 s7, s44, s34
	s_addc_u32 s35, s45, s35
	s_lshl_b64 s[0:1], s[40:41], 2
	s_add_u32 s34, s7, s0
	s_addc_u32 s35, s35, s1
	s_cmp_lt_i32 s11, 1
	s_cselect_b64 s[40:41], -1, 0
	s_cmp_gt_i32 s14, 0
	s_cselect_b64 s[42:43], -1, 0
	s_cmp_gt_i32 s15, 0
	;; [unrolled: 2-line block ×3, first 2 shown]
	s_cselect_b64 s[46:47], -1, 0
	s_abs_i32 s77, s13
	v_cvt_f32_u32_e32 v1, s77
	s_abs_i32 s78, s4
	v_cvt_f32_u32_e32 v2, s78
	s_abs_i32 s80, s6
	v_rcp_iflag_f32_e32 v1, v1
	v_cvt_f32_u32_e32 v4, s80
	v_rcp_iflag_f32_e32 v2, v2
	s_and_b32 s79, s2, 0xffff
	v_mul_f32_e32 v1, 0x4f7ffffe, v1
	v_cvt_u32_f32_e32 v1, v1
	s_sub_i32 s2, 0, s77
	v_mul_f32_e32 v2, 0x4f7ffffe, v2
	v_cvt_u32_f32_e32 v2, v2
	v_mul_lo_u32 v3, s2, v1
	v_mul_hi_u32 v3, v1, v3
	v_add_u32_e32 v1, v1, v3
	v_rcp_iflag_f32_e32 v3, v4
	s_sub_i32 s2, 0, s78
	v_mul_lo_u32 v4, s2, v2
	v_mul_hi_u32 v4, v2, v4
	v_add_u32_e32 v18, v2, v4
	v_mul_f32_e32 v2, 0x4f7ffffe, v3
	s_abs_i32 s81, s39
	v_cvt_u32_f32_e32 v2, v2
	v_cvt_f32_u32_e32 v3, s81
	s_abs_i32 s83, s3
	v_cvt_f32_u32_e32 v5, s83
	s_sub_i32 s2, 0, s80
	v_mul_lo_u32 v4, s2, v2
	v_rcp_iflag_f32_e32 v3, v3
	v_mul_hi_u32 v4, v2, v4
	v_add_u32_e32 v19, v2, v4
	v_rcp_iflag_f32_e32 v2, v5
	v_mul_f32_e32 v3, 0x4f7ffffe, v3
	v_cvt_u32_f32_e32 v3, v3
	s_sub_i32 s2, 0, s81
	v_mul_f32_e32 v2, 0x4f7ffffe, v2
	v_cvt_u32_f32_e32 v2, v2
	v_mul_lo_u32 v4, s2, v3
	s_mov_b32 s68, s4
	s_mul_i32 s0, s5, s12
	v_mul_hi_u32 v4, v3, v4
	s_sub_i32 s2, 0, s83
	s_mul_i32 s4, s16, s15
	s_mul_i32 s69, s5, s13
	s_ashr_i32 s5, s14, 31
	v_add_u32_e32 v20, v3, v4
	v_mul_lo_u32 v3, s2, v2
	s_mul_i32 s2, s4, s0
	s_ashr_i32 s1, s0, 31
	s_ashr_i32 s82, s6, 31
	s_mul_hi_u32 s6, s2, s14
	s_mul_i32 s5, s2, s5
	s_ashr_i32 s84, s3, 31
	s_mul_hi_i32 s3, s16, s15
	s_add_i32 s5, s6, s5
	s_mul_hi_u32 s6, s4, s0
	s_mul_i32 s4, s4, s1
	s_add_i32 s4, s6, s4
	s_mul_i32 s3, s3, s0
	s_add_i32 s3, s4, s3
	v_cmp_neq_f64_e64 s[48:49], s[28:29], 1.0
	v_cmp_neq_f64_e64 s[50:51], s[30:31], 0
	s_mul_i32 s4, s3, s14
	s_or_b64 s[48:49], s[48:49], s[50:51]
	v_mul_hi_u32 v3, v2, v3
	s_add_i32 s5, s5, s4
	s_mul_i32 s4, s2, s14
	s_lshl_b64 s[50:51], s[2:3], 2
	s_mul_hi_i32 s3, s16, s0
	s_mul_i32 s2, s16, s0
	s_mov_b32 s65, s13
	s_mov_b32 s66, s39
	s_ashr_i32 s70, s8, 31
	s_mov_b32 s71, s8
	s_ashr_i32 s72, s9, 31
	;; [unrolled: 2-line block ×4, first 2 shown]
	s_mov_b64 s[12:13], 0
	v_add_u32_e32 v21, v2, v3
	s_lshl_b64 s[38:39], s[4:5], 2
	s_lshl_b64 s[52:53], s[2:3], 2
	;; [unrolled: 1-line block ×3, first 2 shown]
	s_sub_i32 s37, 0, s37
	v_mov_b32_e32 v3, 0
	s_branch .LBB110_3
.LBB110_2:                              ;   in Loop: Header=BB110_3 Depth=1
	v_add_u32_e32 v0, s79, v0
	v_cmp_le_i32_e32 vcc, s33, v0
	v_cvt_f32_f64_e32 v2, v[8:9]
	s_or_b64 s[12:13], vcc, s[12:13]
	global_store_dword v[4:5], v2, off
	s_andn2_b64 exec, exec, s[12:13]
	s_cbranch_execz .LBB110_21
.LBB110_3:                              ; =>This Loop Header: Depth=1
                                        ;     Child Loop BB110_8 Depth 2
                                        ;       Child Loop BB110_11 Depth 3
                                        ;         Child Loop BB110_14 Depth 4
                                        ;           Child Loop BB110_17 Depth 5
	v_sub_u32_e32 v5, 0, v0
	v_max_i32_e32 v5, v0, v5
	v_mul_hi_u32 v6, v5, v1
	v_mul_lo_u32 v7, v6, s77
	v_sub_u32_e32 v7, v5, v7
	v_add_u32_e32 v8, 1, v6
	v_cmp_le_u32_e32 vcc, s77, v7
	v_ashrrev_i32_e32 v2, 31, v0
	v_xor_b32_e32 v4, s64, v2
	v_cndmask_b32_e32 v6, v6, v8, vcc
	v_subrev_u32_e32 v8, s77, v7
	v_cndmask_b32_e32 v7, v7, v8, vcc
	v_add_u32_e32 v8, 1, v6
	v_cmp_le_u32_e32 vcc, s77, v7
	v_mul_hi_u32 v9, v5, v19
	v_mul_lo_u32 v10, v9, s80
	v_cndmask_b32_e32 v6, v6, v8, vcc
	v_xor_b32_e32 v6, v6, v4
	v_sub_u32_e32 v6, v6, v4
	v_sub_u32_e32 v7, 0, v6
	v_max_i32_e32 v7, v6, v7
	v_mul_hi_u32 v8, v7, v18
	v_mul_lo_u32 v8, v8, s78
	v_sub_u32_e32 v7, v7, v8
	v_subrev_u32_e32 v8, s78, v7
	v_cmp_le_u32_e32 vcc, s78, v7
	v_sub_u32_e32 v10, v5, v10
	v_add_u32_e32 v11, 1, v9
	v_cndmask_b32_e32 v7, v7, v8, vcc
	v_cmp_le_u32_e32 vcc, s80, v10
	v_xor_b32_e32 v8, s82, v2
	v_mul_lo_u32 v4, v6, s65
	v_cndmask_b32_e32 v9, v9, v11, vcc
	v_subrev_u32_e32 v11, s80, v10
	v_cndmask_b32_e32 v10, v10, v11, vcc
	v_add_u32_e32 v11, 1, v9
	v_cmp_le_u32_e32 vcc, s80, v10
	v_sub_u32_e32 v4, v0, v4
	v_cmp_le_u32_e64 s[0:1], s78, v7
	v_cndmask_b32_e32 v9, v9, v11, vcc
	v_xor_b32_e32 v9, v9, v8
	v_sub_u32_e32 v8, v9, v8
	v_sub_u32_e32 v9, 0, v8
	v_max_i32_e32 v9, v8, v9
	v_mul_hi_u32 v10, v9, v20
	v_mul_lo_u32 v10, v10, s81
	v_sub_u32_e32 v9, v9, v10
	v_subrev_u32_e32 v10, s81, v9
	v_cmp_le_u32_e32 vcc, s81, v9
	s_mov_b64 s[58:59], -1
                                        ; implicit-def: $sgpr56_sgpr57
	s_nop 0
	v_cndmask_b32_e32 v10, v9, v10, vcc
	v_mul_hi_u32 v9, v5, v21
	v_mul_lo_u32 v11, v9, s83
	v_sub_u32_e32 v5, v5, v11
	v_subrev_u32_e32 v11, s83, v5
	v_cmp_le_u32_e64 s[4:5], s83, v5
	v_cmp_le_u32_e64 s[2:3], s81, v10
	s_andn2_b64 vcc, exec, s[40:41]
	v_cndmask_b32_e64 v5, v5, v11, s[4:5]
	v_cmp_le_u32_e64 s[6:7], s83, v5
	s_cbranch_vccnz .LBB110_5
; %bb.4:                                ;   in Loop: Header=BB110_3 Depth=1
	v_ashrrev_i32_e32 v5, 31, v4
	s_mov_b64 s[58:59], 0
	s_mov_b64 s[56:57], 0
.LBB110_5:                              ;   in Loop: Header=BB110_3 Depth=1
	v_subrev_u32_e32 v11, s78, v7
	v_ashrrev_i32_e32 v6, 31, v6
	v_cndmask_b32_e64 v7, v7, v11, s[0:1]
	v_xor_b32_e32 v7, v7, v6
	v_sub_u32_e32 v6, v7, v6
	v_ashrrev_i32_e32 v7, 31, v8
	v_subrev_u32_e32 v8, s81, v10
	v_cndmask_b32_e64 v8, v10, v8, s[2:3]
	v_xor_b32_e32 v8, v8, v7
	v_sub_u32_e32 v10, v8, v7
	v_add_u32_e32 v7, 1, v9
	v_cndmask_b32_e64 v7, v9, v7, s[4:5]
	v_add_u32_e32 v8, 1, v7
	v_xor_b32_e32 v2, s84, v2
	v_cndmask_b32_e64 v7, v7, v8, s[6:7]
	v_xor_b32_e32 v7, v7, v2
	v_sub_u32_e32 v7, v7, v2
	s_andn2_b64 vcc, exec, s[58:59]
	v_mov_b64_e32 v[8:9], s[56:57]
	s_cbranch_vccnz .LBB110_19
; %bb.6:                                ;   in Loop: Header=BB110_3 Depth=1
	v_mul_lo_u32 v2, v6, s22
	v_ashrrev_i32_e32 v5, 31, v4
	v_mul_lo_u32 v11, v7, s20
	v_mul_lo_u32 v22, v10, s21
	v_lshl_add_u64 v[12:13], v[4:5], 2, s[24:25]
	v_add_u32_e32 v23, s37, v2
	s_mov_b32 s85, 0
	v_mov_b64_e32 v[8:9], 0
	s_mov_b64 s[2:3], s[34:35]
	s_branch .LBB110_8
.LBB110_7:                              ;   in Loop: Header=BB110_8 Depth=2
	s_add_i32 s85, s85, 1
	s_add_u32 s2, s2, s38
	s_addc_u32 s3, s3, s39
	s_cmp_eq_u32 s85, s11
	s_cbranch_scc1 .LBB110_19
.LBB110_8:                              ;   Parent Loop BB110_3 Depth=1
                                        ; =>  This Loop Header: Depth=2
                                        ;       Child Loop BB110_11 Depth 3
                                        ;         Child Loop BB110_14 Depth 4
                                        ;           Child Loop BB110_17 Depth 5
	s_andn2_b64 vcc, exec, s[42:43]
	s_cbranch_vccnz .LBB110_7
; %bb.9:                                ;   in Loop: Header=BB110_8 Depth=2
	s_mul_i32 s0, s85, s70
	s_mul_hi_u32 s1, s85, s71
	s_add_i32 s5, s1, s0
	s_mul_i32 s4, s85, s71
	s_mov_b32 s86, 0
	s_mov_b64 s[6:7], s[2:3]
	s_branch .LBB110_11
.LBB110_10:                             ;   in Loop: Header=BB110_11 Depth=3
	s_add_i32 s86, s86, 1
	s_add_u32 s6, s6, s50
	s_addc_u32 s7, s7, s51
	s_cmp_eq_u32 s86, s14
	s_cbranch_scc1 .LBB110_7
.LBB110_11:                             ;   Parent Loop BB110_3 Depth=1
                                        ;     Parent Loop BB110_8 Depth=2
                                        ; =>    This Loop Header: Depth=3
                                        ;         Child Loop BB110_14 Depth 4
                                        ;           Child Loop BB110_17 Depth 5
	s_andn2_b64 vcc, exec, s[44:45]
	s_cbranch_vccnz .LBB110_10
; %bb.12:                               ;   in Loop: Header=BB110_11 Depth=3
	s_mul_i32 s0, s86, s17
	s_sub_i32 s0, s0, s23
	v_add_u32_e32 v2, s0, v11
	v_cmp_gt_i32_e32 vcc, 0, v2
	v_cmp_le_i32_e64 s[0:1], s8, v2
	v_lshl_add_u64 v[14:15], s[4:5], 0, v[2:3]
	s_or_b64 s[56:57], vcc, s[0:1]
	v_mul_lo_u32 v2, v15, s73
	v_mul_lo_u32 v16, v14, s72
	v_mad_u64_u32 v[14:15], s[0:1], v14, s73, 0
	s_mov_b32 s87, 0
	v_add3_u32 v15, v15, v16, v2
	s_mov_b64 s[58:59], s[6:7]
	s_branch .LBB110_14
.LBB110_13:                             ;   in Loop: Header=BB110_14 Depth=4
	s_add_i32 s87, s87, 1
	s_add_u32 s58, s58, s52
	s_addc_u32 s59, s59, s53
	s_cmp_eq_u32 s87, s15
	s_cbranch_scc1 .LBB110_10
.LBB110_14:                             ;   Parent Loop BB110_3 Depth=1
                                        ;     Parent Loop BB110_8 Depth=2
                                        ;       Parent Loop BB110_11 Depth=3
                                        ; =>      This Loop Header: Depth=4
                                        ;           Child Loop BB110_17 Depth 5
	s_andn2_b64 vcc, exec, s[46:47]
	s_cbranch_vccnz .LBB110_13
; %bb.15:                               ;   in Loop: Header=BB110_14 Depth=4
	s_mul_i32 s0, s87, s18
	s_sub_i32 s0, s0, s36
	v_add_u32_e32 v2, s0, v22
	v_cmp_gt_i32_e32 vcc, 0, v2
	v_cmp_le_i32_e64 s[0:1], s9, v2
	s_or_b64 s[0:1], vcc, s[0:1]
	v_lshl_add_u64 v[16:17], v[14:15], 0, v[2:3]
	s_or_b64 s[60:61], s[56:57], s[0:1]
	v_mul_lo_u32 v2, v17, s75
	v_mul_lo_u32 v24, v16, s74
	v_mad_u64_u32 v[16:17], s[0:1], v16, s75, 0
	v_add3_u32 v17, v17, v24, v2
	v_mov_b32_e32 v2, v23
	s_mov_b64 s[62:63], s[58:59]
	s_mov_b32 s88, s16
	s_branch .LBB110_17
.LBB110_16:                             ;   in Loop: Header=BB110_17 Depth=5
	s_or_b64 exec, exec, s[0:1]
	s_add_i32 s88, s88, -1
	s_add_u32 s62, s62, s54
	s_addc_u32 s63, s63, s55
	s_cmp_eq_u32 s88, 0
	v_add_u32_e32 v2, s19, v2
	s_cbranch_scc1 .LBB110_13
.LBB110_17:                             ;   Parent Loop BB110_3 Depth=1
                                        ;     Parent Loop BB110_8 Depth=2
                                        ;       Parent Loop BB110_11 Depth=3
                                        ;         Parent Loop BB110_14 Depth=4
                                        ; =>        This Inner Loop Header: Depth=5
	v_cmp_gt_i32_e32 vcc, 0, v2
	v_cmp_le_i32_e64 s[0:1], s10, v2
	s_or_b64 s[0:1], vcc, s[0:1]
	s_or_b64 s[0:1], s[60:61], s[0:1]
	s_xor_b64 s[90:91], s[0:1], -1
	s_and_saveexec_b64 s[0:1], s[90:91]
	s_cbranch_execz .LBB110_16
; %bb.18:                               ;   in Loop: Header=BB110_17 Depth=5
	v_lshl_add_u64 v[24:25], v[16:17], 0, v[2:3]
	v_mul_lo_u32 v26, v25, s69
	v_mul_lo_u32 v27, v24, s76
	v_mad_u64_u32 v[24:25], s[90:91], v24, s69, 0
	v_add3_u32 v25, v25, v27, v26
	v_lshl_add_u64 v[24:25], v[24:25], 2, v[12:13]
	global_load_dword v24, v[24:25], off
	s_load_dword s89, s[62:63], 0x0
	s_waitcnt lgkmcnt(0)
	s_and_b32 s89, s89, 0xffffe000
	v_cvt_f64_f32_e32 v[26:27], s89
	s_waitcnt vmcnt(0)
	v_and_b32_e32 v24, 0xffffe000, v24
	v_cvt_f64_f32_e32 v[24:25], v24
	v_fmac_f64_e32 v[8:9], v[24:25], v[26:27]
	s_branch .LBB110_16
.LBB110_19:                             ;   in Loop: Header=BB110_3 Depth=1
	v_ashrrev_i32_e32 v11, 31, v10
	v_mad_i64_i32 v[10:11], s[0:1], v7, s66, v[10:11]
	v_ashrrev_i32_e32 v7, 31, v6
	v_mad_u64_u32 v[6:7], s[0:1], v10, s68, v[6:7]
	v_mul_lo_u32 v2, v10, s67
	v_mul_lo_u32 v10, v11, s68
	v_add3_u32 v2, v10, v7, v2
	v_mul_lo_u32 v10, v6, s64
	v_mul_lo_u32 v2, v2, s65
	v_mad_u64_u32 v[6:7], s[0:1], v6, s65, 0
	v_add3_u32 v7, v7, v10, v2
	v_lshl_add_u64 v[6:7], v[6:7], 2, s[26:27]
	s_andn2_b64 vcc, exec, s[48:49]
	v_lshl_add_u64 v[4:5], v[4:5], 2, v[6:7]
	s_cbranch_vccnz .LBB110_2
; %bb.20:                               ;   in Loop: Header=BB110_3 Depth=1
	global_load_dword v2, v[4:5], off
	s_waitcnt vmcnt(0)
	v_cvt_f64_f32_e32 v[6:7], v2
	v_mul_f64 v[6:7], v[6:7], s[30:31]
	v_fmac_f64_e32 v[6:7], s[28:29], v[8:9]
	v_mov_b64_e32 v[8:9], v[6:7]
	s_branch .LBB110_2
.LBB110_21:
	s_endpgm
	.section	.rodata,"a",@progbits
	.p2align	6, 0x0
	.amdhsa_kernel naive_conv_ab_packed_wrw_ndhwc_float_double_float_1
		.amdhsa_group_segment_fixed_size 0
		.amdhsa_private_segment_fixed_size 0
		.amdhsa_kernarg_size 528
		.amdhsa_user_sgpr_count 2
		.amdhsa_user_sgpr_dispatch_ptr 0
		.amdhsa_user_sgpr_queue_ptr 0
		.amdhsa_user_sgpr_kernarg_segment_ptr 1
		.amdhsa_user_sgpr_dispatch_id 0
		.amdhsa_user_sgpr_kernarg_preload_length 0
		.amdhsa_user_sgpr_kernarg_preload_offset 0
		.amdhsa_user_sgpr_private_segment_size 0
		.amdhsa_uses_dynamic_stack 0
		.amdhsa_enable_private_segment 0
		.amdhsa_system_sgpr_workgroup_id_x 1
		.amdhsa_system_sgpr_workgroup_id_y 0
		.amdhsa_system_sgpr_workgroup_id_z 0
		.amdhsa_system_sgpr_workgroup_info 0
		.amdhsa_system_vgpr_workitem_id 0
		.amdhsa_next_free_vgpr 28
		.amdhsa_next_free_sgpr 92
		.amdhsa_accum_offset 28
		.amdhsa_reserve_vcc 1
		.amdhsa_float_round_mode_32 0
		.amdhsa_float_round_mode_16_64 0
		.amdhsa_float_denorm_mode_32 3
		.amdhsa_float_denorm_mode_16_64 3
		.amdhsa_dx10_clamp 1
		.amdhsa_ieee_mode 1
		.amdhsa_fp16_overflow 0
		.amdhsa_tg_split 0
		.amdhsa_exception_fp_ieee_invalid_op 0
		.amdhsa_exception_fp_denorm_src 0
		.amdhsa_exception_fp_ieee_div_zero 0
		.amdhsa_exception_fp_ieee_overflow 0
		.amdhsa_exception_fp_ieee_underflow 0
		.amdhsa_exception_fp_ieee_inexact 0
		.amdhsa_exception_int_div_zero 0
	.end_amdhsa_kernel
	.text
.Lfunc_end110:
	.size	naive_conv_ab_packed_wrw_ndhwc_float_double_float_1, .Lfunc_end110-naive_conv_ab_packed_wrw_ndhwc_float_double_float_1
                                        ; -- End function
	.section	.AMDGPU.csdata,"",@progbits
; Kernel info:
; codeLenInByte = 1928
; NumSgprs: 98
; NumVgprs: 28
; NumAgprs: 0
; TotalNumVgprs: 28
; ScratchSize: 0
; MemoryBound: 0
; FloatMode: 240
; IeeeMode: 1
; LDSByteSize: 0 bytes/workgroup (compile time only)
; SGPRBlocks: 12
; VGPRBlocks: 3
; NumSGPRsForWavesPerEU: 98
; NumVGPRsForWavesPerEU: 28
; AccumOffset: 28
; Occupancy: 8
; WaveLimiterHint : 0
; COMPUTE_PGM_RSRC2:SCRATCH_EN: 0
; COMPUTE_PGM_RSRC2:USER_SGPR: 2
; COMPUTE_PGM_RSRC2:TRAP_HANDLER: 0
; COMPUTE_PGM_RSRC2:TGID_X_EN: 1
; COMPUTE_PGM_RSRC2:TGID_Y_EN: 0
; COMPUTE_PGM_RSRC2:TGID_Z_EN: 0
; COMPUTE_PGM_RSRC2:TIDIG_COMP_CNT: 0
; COMPUTE_PGM_RSRC3_GFX90A:ACCUM_OFFSET: 6
; COMPUTE_PGM_RSRC3_GFX90A:TG_SPLIT: 0
	.text
	.protected	naive_conv_ab_nonpacked_wrw_ndhwc_float_double_float_1 ; -- Begin function naive_conv_ab_nonpacked_wrw_ndhwc_float_double_float_1
	.globl	naive_conv_ab_nonpacked_wrw_ndhwc_float_double_float_1
	.p2align	8
	.type	naive_conv_ab_nonpacked_wrw_ndhwc_float_double_float_1,@function
naive_conv_ab_nonpacked_wrw_ndhwc_float_double_float_1: ; @naive_conv_ab_nonpacked_wrw_ndhwc_float_double_float_1
; %bb.0:
	s_load_dwordx16 s[8:23], s[0:1], 0xb8
	s_load_dword s6, s[0:1], 0x108
	s_load_dwordx4 s[68:71], s[0:1], 0xf8
	s_waitcnt lgkmcnt(0)
	s_abs_i32 s3, s12
	v_cvt_f32_u32_e32 v1, s3
	s_mul_i32 s5, s6, s13
	s_mul_i32 s4, s5, s71
	;; [unrolled: 1-line block ×3, first 2 shown]
	v_rcp_iflag_f32_e32 v1, v1
	v_cmp_gt_i32_e32 vcc, s33, v0
	v_mul_f32_e32 v1, 0x4f7ffffe, v1
	v_cvt_u32_f32_e32 v1, v1
	s_nop 0
	v_readfirstlane_b32 s7, v1
	s_and_saveexec_b64 s[24:25], vcc
	s_cbranch_execz .LBB111_21
; %bb.1:
	s_sub_i32 s36, 0, s3
	s_mul_i32 s36, s36, s7
	s_mul_hi_u32 s36, s7, s36
	s_abs_i32 s70, s2
	s_add_i32 s7, s7, s36
	s_ashr_i32 s34, s2, 31
	s_ashr_i32 s35, s12, 31
	s_mul_hi_u32 s7, s70, s7
	s_xor_b32 s34, s34, s35
	s_mul_i32 s35, s7, s3
	s_sub_i32 s35, s70, s35
	s_add_i32 s70, s7, 1
	s_sub_i32 s72, s35, s3
	s_cmp_ge_u32 s35, s3
	s_cselect_b32 s7, s70, s7
	s_cselect_b32 s35, s72, s35
	s_add_i32 s70, s7, 1
	s_cmp_ge_u32 s35, s3
	s_load_dwordx16 s[36:51], s[0:1], 0x28
	s_load_dwordx16 s[52:67], s[0:1], 0x68
	s_cselect_b32 s3, s70, s7
	s_xor_b32 s3, s3, s34
	s_sub_i32 s7, s3, s34
	s_load_dwordx8 s[24:31], s[0:1], 0x0
	s_mul_i32 s3, s7, s12
	s_ashr_i32 s70, s7, 31
	s_sub_i32 s12, s2, s3
	s_waitcnt lgkmcnt(0)
	s_mul_i32 s2, s38, s70
	s_mul_hi_u32 s3, s38, s7
	s_add_i32 s2, s3, s2
	s_mul_i32 s3, s39, s7
	s_add_i32 s3, s2, s3
	s_mul_i32 s2, s38, s7
	s_lshl_b64 s[2:3], s[2:3], 2
	s_add_u32 s24, s24, s2
	s_addc_u32 s25, s25, s3
	s_mul_i32 s2, s58, s70
	s_mul_hi_u32 s3, s58, s7
	s_ashr_i32 s38, s12, 31
	s_add_i32 s2, s3, s2
	s_mul_i32 s3, s59, s7
	s_mul_i32 s34, s56, s38
	s_mul_hi_u32 s35, s56, s12
	s_add_i32 s3, s2, s3
	s_mul_i32 s2, s58, s7
	s_add_i32 s34, s35, s34
	s_mul_i32 s35, s57, s12
	s_add_i32 s35, s34, s35
	s_lshl_b64 s[2:3], s[2:3], 2
	s_mul_i32 s34, s56, s12
	s_add_u32 s26, s26, s2
	s_addc_u32 s27, s27, s3
	s_lshl_b64 s[2:3], s[34:35], 2
	s_add_u32 s26, s26, s2
	s_addc_u32 s27, s27, s3
	s_load_dwordx2 s[2:3], s[0:1], 0x20
	s_mul_i32 s34, s62, s70
	s_mul_hi_u32 s35, s62, s7
	s_add_i32 s34, s35, s34
	s_mul_i32 s35, s63, s7
	s_add_i32 s35, s34, s35
	s_mul_i32 s34, s62, s7
	s_mul_i32 s7, s60, s38
	s_mul_hi_u32 s38, s60, s12
	s_add_i32 s7, s38, s7
	s_mul_i32 s38, s61, s12
	s_add_i32 s39, s7, s38
	s_lshl_b64 s[34:35], s[34:35], 2
	s_mul_i32 s38, s60, s12
	s_waitcnt lgkmcnt(0)
	s_add_u32 s7, s2, s34
	s_addc_u32 s12, s3, s35
	s_lshl_b64 s[2:3], s[38:39], 2
	s_add_u32 s34, s7, s2
	s_addc_u32 s35, s12, s3
	s_cmp_lt_i32 s11, 1
	s_cselect_b64 s[38:39], -1, 0
	s_cmp_gt_i32 s14, 0
	s_cselect_b64 s[56:57], -1, 0
	s_cmp_gt_i32 s15, 0
	;; [unrolled: 2-line block ×3, first 2 shown]
	s_cselect_b64 s[60:61], -1, 0
	s_abs_i32 s12, s13
	v_cvt_f32_u32_e32 v1, s12
	s_abs_i32 s82, s6
	v_cvt_f32_u32_e32 v3, s82
	;; [unrolled: 2-line block ×4, first 2 shown]
	s_abs_i32 s85, s4
	v_rcp_iflag_f32_e32 v1, v1
	v_cvt_f32_u32_e32 v9, s85
	v_rcp_iflag_f32_e32 v3, v3
	v_cmp_neq_f64_e64 s[2:3], s[28:29], 1.0
	v_cmp_neq_f64_e64 s[62:63], s[30:31], 0
	v_rcp_iflag_f32_e32 v5, v5
	s_or_b64 s[62:63], s[2:3], s[62:63]
	s_load_dword s7, s[0:1], 0x11c
	s_nop 0
	s_load_dwordx4 s[0:3], s[0:1], 0xa8
	v_rcp_iflag_f32_e32 v7, v7
	v_mul_f32_e32 v1, 0x4f7ffffe, v1
	v_rcp_iflag_f32_e32 v9, v9
	v_cvt_u32_f32_e32 v1, v1
	v_mul_f32_e32 v3, 0x4f7ffffe, v3
	v_cvt_u32_f32_e32 v3, v3
	v_mul_f32_e32 v5, 0x4f7ffffe, v5
	v_cvt_u32_f32_e32 v5, v5
	v_mul_f32_e32 v7, 0x4f7ffffe, v7
	s_waitcnt lgkmcnt(0)
	s_lshl_b64 s[74:75], s[0:1], 2
	s_sub_i32 s0, 0, s12
	v_cvt_u32_f32_e32 v7, v7
	v_mul_f32_e32 v9, 0x4f7ffffe, v9
	v_mul_lo_u32 v2, s0, v1
	s_sub_i32 s0, 0, s82
	v_cvt_u32_f32_e32 v9, v9
	v_mul_lo_u32 v4, s0, v3
	s_sub_i32 s0, 0, s83
	v_mul_hi_u32 v2, v1, v2
	v_mul_lo_u32 v6, s0, v5
	s_sub_i32 s0, 0, s84
	v_add_u32_e32 v1, v1, v2
	v_mul_hi_u32 v2, v3, v4
	v_mul_lo_u32 v8, s0, v7
	s_sub_i32 s0, 0, s85
	v_add_u32_e32 v16, v3, v2
	v_mul_hi_u32 v2, v5, v6
	v_mul_lo_u32 v10, s0, v9
	v_add_u32_e32 v17, v5, v2
	v_mul_hi_u32 v2, v7, v8
	v_add_u32_e32 v18, v7, v2
	v_mul_hi_u32 v2, v9, v10
	s_lshl_b64 s[72:73], s[2:3], 2
	s_and_b32 s86, s7, 0xffff
	s_ashr_i32 s87, s5, 31
	s_ashr_i32 s88, s4, 31
	v_add_u32_e32 v19, v9, v2
	s_ashr_i32 s89, s13, 31
	s_sub_i32 s69, 0, s69
	s_mov_b64 s[70:71], 0
	s_lshl_b64 s[66:67], s[66:67], 2
	s_lshl_b64 s[64:65], s[64:65], 2
	s_branch .LBB111_3
.LBB111_2:                              ;   in Loop: Header=BB111_3 Depth=1
	v_add_u32_e32 v0, s86, v0
	v_cmp_le_i32_e32 vcc, s33, v0
	v_cvt_f32_f64_e32 v4, v[6:7]
	s_or_b64 s[70:71], vcc, s[70:71]
	global_store_dword v[2:3], v4, off
	s_andn2_b64 exec, exec, s[70:71]
	s_cbranch_execz .LBB111_21
.LBB111_3:                              ; =>This Loop Header: Depth=1
                                        ;     Child Loop BB111_8 Depth 2
                                        ;       Child Loop BB111_11 Depth 3
                                        ;         Child Loop BB111_14 Depth 4
                                        ;           Child Loop BB111_17 Depth 5
	v_sub_u32_e32 v3, 0, v0
	v_max_i32_e32 v4, v0, v3
	v_mul_hi_u32 v3, v4, v1
	v_mul_lo_u32 v5, v3, s12
	v_sub_u32_e32 v5, v4, v5
	v_add_u32_e32 v7, 1, v3
	v_cmp_le_u32_e32 vcc, s12, v5
	v_ashrrev_i32_e32 v6, 31, v0
	v_xor_b32_e32 v2, s89, v6
	v_cndmask_b32_e32 v3, v3, v7, vcc
	v_subrev_u32_e32 v7, s12, v5
	v_cndmask_b32_e32 v5, v5, v7, vcc
	v_add_u32_e32 v7, 1, v3
	v_cmp_le_u32_e32 vcc, s12, v5
	v_mul_hi_u32 v8, v4, v17
	v_mul_lo_u32 v9, v8, s83
	v_cndmask_b32_e32 v3, v3, v7, vcc
	v_xor_b32_e32 v3, v3, v2
	v_sub_u32_e32 v3, v3, v2
	v_sub_u32_e32 v5, 0, v3
	v_max_i32_e32 v5, v3, v5
	v_mul_hi_u32 v7, v5, v16
	v_mul_lo_u32 v7, v7, s82
	v_sub_u32_e32 v5, v5, v7
	v_subrev_u32_e32 v7, s82, v5
	v_cmp_le_u32_e32 vcc, s82, v5
	v_sub_u32_e32 v9, v4, v9
	v_add_u32_e32 v10, 1, v8
	v_cndmask_b32_e32 v7, v5, v7, vcc
	v_cmp_le_u32_e32 vcc, s83, v9
	v_xor_b32_e32 v5, s87, v6
	v_mul_lo_u32 v2, v3, s13
	v_cndmask_b32_e32 v8, v8, v10, vcc
	v_subrev_u32_e32 v10, s83, v9
	v_cndmask_b32_e32 v9, v9, v10, vcc
	v_add_u32_e32 v10, 1, v8
	v_cmp_le_u32_e32 vcc, s83, v9
	v_sub_u32_e32 v2, v0, v2
	v_cmp_le_u32_e64 s[0:1], s82, v7
	v_cndmask_b32_e32 v8, v8, v10, vcc
	v_xor_b32_e32 v8, v8, v5
	v_sub_u32_e32 v8, v8, v5
	v_sub_u32_e32 v5, 0, v8
	v_max_i32_e32 v5, v8, v5
	v_mul_hi_u32 v9, v5, v18
	v_mul_lo_u32 v9, v9, s84
	v_sub_u32_e32 v5, v5, v9
	v_subrev_u32_e32 v9, s84, v5
	v_cmp_le_u32_e32 vcc, s84, v5
	s_mov_b64 s[78:79], -1
                                        ; implicit-def: $sgpr76_sgpr77
	s_nop 0
	v_cndmask_b32_e32 v10, v5, v9, vcc
	v_mul_hi_u32 v9, v4, v19
	v_mul_lo_u32 v5, v9, s85
	v_sub_u32_e32 v4, v4, v5
	v_subrev_u32_e32 v5, s85, v4
	v_cmp_le_u32_e64 s[4:5], s85, v4
	v_cmp_le_u32_e64 s[2:3], s84, v10
	s_andn2_b64 vcc, exec, s[38:39]
	v_cndmask_b32_e64 v4, v4, v5, s[4:5]
	v_cmp_le_u32_e64 s[6:7], s85, v4
                                        ; implicit-def: $vgpr4_vgpr5
	s_cbranch_vccnz .LBB111_5
; %bb.4:                                ;   in Loop: Header=BB111_3 Depth=1
	v_ashrrev_i32_e32 v5, 31, v2
	s_mov_b64 s[78:79], 0
	s_mov_b64 s[76:77], 0
.LBB111_5:                              ;   in Loop: Header=BB111_3 Depth=1
	v_subrev_u32_e32 v4, s82, v7
	v_ashrrev_i32_e32 v3, 31, v3
	v_cndmask_b32_e64 v4, v7, v4, s[0:1]
	v_xor_b32_e32 v4, v4, v3
	v_subrev_u32_e32 v7, s84, v10
	v_sub_u32_e32 v3, v4, v3
	v_ashrrev_i32_e32 v4, 31, v8
	v_cndmask_b32_e64 v7, v10, v7, s[2:3]
	v_xor_b32_e32 v7, v7, v4
	v_sub_u32_e32 v4, v7, v4
	v_add_u32_e32 v7, 1, v9
	v_cndmask_b32_e64 v7, v9, v7, s[4:5]
	v_add_u32_e32 v8, 1, v7
	v_xor_b32_e32 v6, s88, v6
	v_cndmask_b32_e64 v7, v7, v8, s[6:7]
	v_xor_b32_e32 v7, v7, v6
	v_sub_u32_e32 v20, v7, v6
	s_andn2_b64 vcc, exec, s[78:79]
	v_mov_b64_e32 v[6:7], s[76:77]
	s_cbranch_vccnz .LBB111_19
; %bb.6:                                ;   in Loop: Header=BB111_3 Depth=1
	v_ashrrev_i32_e32 v5, 31, v2
	v_mul_lo_u32 v8, s37, v2
	v_mul_lo_u32 v9, s36, v5
	v_mad_u64_u32 v[6:7], s[0:1], s36, v2, 0
	v_mul_lo_u32 v10, v3, s22
	v_add3_u32 v7, v7, v9, v8
	v_mul_lo_u32 v21, v20, s20
	v_mul_lo_u32 v22, v4, s21
	v_lshl_add_u64 v[8:9], v[6:7], 2, s[24:25]
	v_add_u32_e32 v23, s69, v10
	s_mov_b32 s90, 0
	v_mov_b64_e32 v[6:7], 0
	s_mov_b64 s[2:3], s[34:35]
	s_branch .LBB111_8
.LBB111_7:                              ;   in Loop: Header=BB111_8 Depth=2
	s_add_i32 s90, s90, 1
	s_add_u32 s2, s2, s72
	s_addc_u32 s3, s3, s73
	s_cmp_eq_u32 s90, s11
	s_cbranch_scc1 .LBB111_19
.LBB111_8:                              ;   Parent Loop BB111_3 Depth=1
                                        ; =>  This Loop Header: Depth=2
                                        ;       Child Loop BB111_11 Depth 3
                                        ;         Child Loop BB111_14 Depth 4
                                        ;           Child Loop BB111_17 Depth 5
	s_andn2_b64 vcc, exec, s[56:57]
	s_cbranch_vccnz .LBB111_7
; %bb.9:                                ;   in Loop: Header=BB111_8 Depth=2
	s_mul_i32 s0, s47, s90
	s_mul_hi_u32 s1, s46, s90
	s_add_i32 s1, s1, s0
	s_mul_i32 s0, s46, s90
	v_lshl_add_u64 v[10:11], s[0:1], 2, v[8:9]
	s_mov_b32 s91, 0
	s_mov_b64 s[4:5], s[2:3]
	s_branch .LBB111_11
.LBB111_10:                             ;   in Loop: Header=BB111_11 Depth=3
	s_add_i32 s91, s91, 1
	s_add_u32 s4, s4, s74
	s_addc_u32 s5, s5, s75
	s_cmp_eq_u32 s91, s14
	s_cbranch_scc1 .LBB111_7
.LBB111_11:                             ;   Parent Loop BB111_3 Depth=1
                                        ;     Parent Loop BB111_8 Depth=2
                                        ; =>    This Loop Header: Depth=3
                                        ;         Child Loop BB111_14 Depth 4
                                        ;           Child Loop BB111_17 Depth 5
	s_andn2_b64 vcc, exec, s[58:59]
	s_cbranch_vccnz .LBB111_10
; %bb.12:                               ;   in Loop: Header=BB111_11 Depth=3
	s_mul_i32 s0, s91, s17
	s_sub_i32 s0, s0, s23
	v_add_u32_e32 v15, s0, v21
	v_cmp_gt_i32_e32 vcc, 0, v15
	v_cmp_le_i32_e64 s[0:1], s8, v15
	s_or_b64 s[6:7], vcc, s[0:1]
	v_mad_u64_u32 v[12:13], s[0:1], s44, v15, 0
	v_mov_b32_e32 v14, v13
	v_mad_u64_u32 v[14:15], s[0:1], s45, v15, v[14:15]
	v_mov_b32_e32 v13, v14
	s_mov_b32 s92, 0
	v_lshl_add_u64 v[12:13], v[12:13], 2, v[10:11]
	s_mov_b64 s[76:77], s[4:5]
	s_branch .LBB111_14
.LBB111_13:                             ;   in Loop: Header=BB111_14 Depth=4
	s_add_i32 s92, s92, 1
	s_add_u32 s76, s76, s66
	s_addc_u32 s77, s77, s67
	s_cmp_eq_u32 s92, s15
	s_cbranch_scc1 .LBB111_10
.LBB111_14:                             ;   Parent Loop BB111_3 Depth=1
                                        ;     Parent Loop BB111_8 Depth=2
                                        ;       Parent Loop BB111_11 Depth=3
                                        ; =>      This Loop Header: Depth=4
                                        ;           Child Loop BB111_17 Depth 5
	s_andn2_b64 vcc, exec, s[60:61]
	s_cbranch_vccnz .LBB111_13
; %bb.15:                               ;   in Loop: Header=BB111_14 Depth=4
	s_mul_i32 s0, s92, s18
	s_sub_i32 s0, s0, s68
	v_add_u32_e32 v25, s0, v22
	v_cmp_gt_i32_e32 vcc, 0, v25
	v_cmp_le_i32_e64 s[0:1], s9, v25
	s_or_b64 s[0:1], vcc, s[0:1]
	s_or_b64 s[78:79], s[6:7], s[0:1]
	v_mad_u64_u32 v[14:15], s[0:1], s42, v25, 0
	v_mov_b32_e32 v24, v15
	v_mad_u64_u32 v[24:25], s[0:1], s43, v25, v[24:25]
	v_mov_b32_e32 v15, v24
	v_lshl_add_u64 v[14:15], v[14:15], 2, v[12:13]
	v_mov_b32_e32 v24, v23
	s_mov_b64 s[80:81], s[76:77]
	s_mov_b32 s93, s16
	s_branch .LBB111_17
.LBB111_16:                             ;   in Loop: Header=BB111_17 Depth=5
	s_or_b64 exec, exec, s[0:1]
	s_add_i32 s93, s93, -1
	s_add_u32 s80, s80, s64
	s_addc_u32 s81, s81, s65
	s_cmp_eq_u32 s93, 0
	v_add_u32_e32 v24, s19, v24
	s_cbranch_scc1 .LBB111_13
.LBB111_17:                             ;   Parent Loop BB111_3 Depth=1
                                        ;     Parent Loop BB111_8 Depth=2
                                        ;       Parent Loop BB111_11 Depth=3
                                        ;         Parent Loop BB111_14 Depth=4
                                        ; =>        This Inner Loop Header: Depth=5
	v_cmp_gt_i32_e32 vcc, 0, v24
	v_cmp_le_i32_e64 s[0:1], s10, v24
	s_or_b64 s[0:1], vcc, s[0:1]
	s_or_b64 s[0:1], s[78:79], s[0:1]
	s_xor_b64 s[94:95], s[0:1], -1
	s_and_saveexec_b64 s[0:1], s[94:95]
	s_cbranch_execz .LBB111_16
; %bb.18:                               ;   in Loop: Header=BB111_17 Depth=5
	v_mad_u64_u32 v[26:27], s[94:95], s40, v24, 0
	v_mov_b32_e32 v28, v27
	v_mad_u64_u32 v[28:29], s[94:95], s41, v24, v[28:29]
	v_mov_b32_e32 v27, v28
	v_lshl_add_u64 v[26:27], v[26:27], 2, v[14:15]
	global_load_dword v25, v[26:27], off
	s_load_dword s94, s[80:81], 0x0
	s_waitcnt lgkmcnt(0)
	s_and_b32 s94, s94, 0xffffe000
	v_cvt_f64_f32_e32 v[28:29], s94
	s_waitcnt vmcnt(0)
	v_and_b32_e32 v25, 0xffffe000, v25
	v_cvt_f64_f32_e32 v[26:27], v25
	v_fmac_f64_e32 v[6:7], v[26:27], v[28:29]
	s_branch .LBB111_16
.LBB111_19:                             ;   in Loop: Header=BB111_3 Depth=1
	v_ashrrev_i32_e32 v8, 31, v20
	v_mul_lo_u32 v10, s55, v20
	v_mul_lo_u32 v11, s54, v8
	v_mad_u64_u32 v[8:9], s[0:1], s54, v20, 0
	v_add3_u32 v9, v9, v11, v10
	v_ashrrev_i32_e32 v10, 31, v4
	v_mul_lo_u32 v12, s53, v4
	v_mul_lo_u32 v13, s52, v10
	v_mad_u64_u32 v[10:11], s[0:1], s52, v4, 0
	v_ashrrev_i32_e32 v4, 31, v3
	v_add3_u32 v11, v11, v13, v12
	v_mul_lo_u32 v14, s51, v3
	v_mul_lo_u32 v4, s50, v4
	v_mad_u64_u32 v[12:13], s[0:1], s50, v3, 0
	v_add3_u32 v13, v13, v4, v14
	v_mul_lo_u32 v4, v5, s48
	v_mul_lo_u32 v5, v2, s49
	v_mad_u64_u32 v[2:3], s[0:1], v2, s48, 0
	v_add3_u32 v3, v3, v5, v4
	v_lshl_add_u64 v[4:5], v[8:9], 2, s[26:27]
	v_lshl_add_u64 v[4:5], v[10:11], 2, v[4:5]
	;; [unrolled: 1-line block ×3, first 2 shown]
	s_andn2_b64 vcc, exec, s[62:63]
	v_lshl_add_u64 v[2:3], v[2:3], 2, v[4:5]
	s_cbranch_vccnz .LBB111_2
; %bb.20:                               ;   in Loop: Header=BB111_3 Depth=1
	global_load_dword v4, v[2:3], off
	s_waitcnt vmcnt(0)
	v_cvt_f64_f32_e32 v[4:5], v4
	v_mul_f64 v[4:5], v[4:5], s[30:31]
	v_fmac_f64_e32 v[4:5], s[28:29], v[6:7]
	v_mov_b64_e32 v[6:7], v[4:5]
	s_branch .LBB111_2
.LBB111_21:
	s_endpgm
	.section	.rodata,"a",@progbits
	.p2align	6, 0x0
	.amdhsa_kernel naive_conv_ab_nonpacked_wrw_ndhwc_float_double_float_1
		.amdhsa_group_segment_fixed_size 0
		.amdhsa_private_segment_fixed_size 0
		.amdhsa_kernarg_size 528
		.amdhsa_user_sgpr_count 2
		.amdhsa_user_sgpr_dispatch_ptr 0
		.amdhsa_user_sgpr_queue_ptr 0
		.amdhsa_user_sgpr_kernarg_segment_ptr 1
		.amdhsa_user_sgpr_dispatch_id 0
		.amdhsa_user_sgpr_kernarg_preload_length 0
		.amdhsa_user_sgpr_kernarg_preload_offset 0
		.amdhsa_user_sgpr_private_segment_size 0
		.amdhsa_uses_dynamic_stack 0
		.amdhsa_enable_private_segment 0
		.amdhsa_system_sgpr_workgroup_id_x 1
		.amdhsa_system_sgpr_workgroup_id_y 0
		.amdhsa_system_sgpr_workgroup_id_z 0
		.amdhsa_system_sgpr_workgroup_info 0
		.amdhsa_system_vgpr_workitem_id 0
		.amdhsa_next_free_vgpr 30
		.amdhsa_next_free_sgpr 96
		.amdhsa_accum_offset 32
		.amdhsa_reserve_vcc 1
		.amdhsa_float_round_mode_32 0
		.amdhsa_float_round_mode_16_64 0
		.amdhsa_float_denorm_mode_32 3
		.amdhsa_float_denorm_mode_16_64 3
		.amdhsa_dx10_clamp 1
		.amdhsa_ieee_mode 1
		.amdhsa_fp16_overflow 0
		.amdhsa_tg_split 0
		.amdhsa_exception_fp_ieee_invalid_op 0
		.amdhsa_exception_fp_denorm_src 0
		.amdhsa_exception_fp_ieee_div_zero 0
		.amdhsa_exception_fp_ieee_overflow 0
		.amdhsa_exception_fp_ieee_underflow 0
		.amdhsa_exception_fp_ieee_inexact 0
		.amdhsa_exception_int_div_zero 0
	.end_amdhsa_kernel
	.text
.Lfunc_end111:
	.size	naive_conv_ab_nonpacked_wrw_ndhwc_float_double_float_1, .Lfunc_end111-naive_conv_ab_nonpacked_wrw_ndhwc_float_double_float_1
                                        ; -- End function
	.section	.AMDGPU.csdata,"",@progbits
; Kernel info:
; codeLenInByte = 1948
; NumSgprs: 102
; NumVgprs: 30
; NumAgprs: 0
; TotalNumVgprs: 30
; ScratchSize: 0
; MemoryBound: 0
; FloatMode: 240
; IeeeMode: 1
; LDSByteSize: 0 bytes/workgroup (compile time only)
; SGPRBlocks: 12
; VGPRBlocks: 3
; NumSGPRsForWavesPerEU: 102
; NumVGPRsForWavesPerEU: 30
; AccumOffset: 32
; Occupancy: 7
; WaveLimiterHint : 0
; COMPUTE_PGM_RSRC2:SCRATCH_EN: 0
; COMPUTE_PGM_RSRC2:USER_SGPR: 2
; COMPUTE_PGM_RSRC2:TRAP_HANDLER: 0
; COMPUTE_PGM_RSRC2:TGID_X_EN: 1
; COMPUTE_PGM_RSRC2:TGID_Y_EN: 0
; COMPUTE_PGM_RSRC2:TGID_Z_EN: 0
; COMPUTE_PGM_RSRC2:TIDIG_COMP_CNT: 0
; COMPUTE_PGM_RSRC3_GFX90A:ACCUM_OFFSET: 7
; COMPUTE_PGM_RSRC3_GFX90A:TG_SPLIT: 0
	.text
	.protected	naive_conv_ab_packed_wrw_ndhwc_half_double_half_0 ; -- Begin function naive_conv_ab_packed_wrw_ndhwc_half_double_half_0
	.globl	naive_conv_ab_packed_wrw_ndhwc_half_double_half_0
	.p2align	8
	.type	naive_conv_ab_packed_wrw_ndhwc_half_double_half_0,@function
naive_conv_ab_packed_wrw_ndhwc_half_double_half_0: ; @naive_conv_ab_packed_wrw_ndhwc_half_double_half_0
; %bb.0:
	s_load_dwordx16 s[8:23], s[0:1], 0xb8
	s_load_dwordx2 s[4:5], s[0:1], 0x108
	s_load_dwordx4 s[36:39], s[0:1], 0xf8
	s_waitcnt lgkmcnt(0)
	s_abs_i32 s7, s12
	v_cvt_f32_u32_e32 v1, s7
	s_mul_i32 s6, s4, s13
	s_mul_i32 s3, s6, s39
	;; [unrolled: 1-line block ×3, first 2 shown]
	v_rcp_iflag_f32_e32 v1, v1
	v_cmp_gt_i32_e32 vcc, s33, v0
	v_mul_f32_e32 v1, 0x4f7ffffe, v1
	v_cvt_u32_f32_e32 v1, v1
	s_nop 0
	v_readfirstlane_b32 s34, v1
	s_and_saveexec_b64 s[24:25], vcc
	s_cbranch_execz .LBB112_23
; %bb.1:
	s_sub_i32 s42, 0, s7
	s_mul_i32 s42, s42, s34
	s_mul_hi_u32 s42, s34, s42
	s_abs_i32 s41, s2
	s_add_i32 s34, s34, s42
	s_ashr_i32 s35, s2, 31
	s_ashr_i32 s40, s12, 31
	s_mul_hi_u32 s34, s41, s34
	s_xor_b32 s35, s35, s40
	s_mul_i32 s40, s34, s7
	s_sub_i32 s40, s41, s40
	s_add_i32 s41, s34, 1
	s_sub_i32 s42, s40, s7
	s_cmp_ge_u32 s40, s7
	s_cselect_b32 s34, s41, s34
	s_cselect_b32 s40, s42, s40
	s_add_i32 s41, s34, 1
	s_cmp_ge_u32 s40, s7
	s_load_dwordx8 s[24:31], s[0:1], 0x0
	s_cselect_b32 s7, s41, s34
	s_xor_b32 s7, s7, s35
	s_sub_i32 s7, s7, s35
	s_mul_i32 s34, s7, s12
	s_mul_hi_i32 s43, s7, s13
	s_mul_i32 s42, s7, s13
	s_sub_i32 s40, s2, s34
	s_ashr_i32 s64, s13, 31
	s_lshl_b64 s[42:43], s[42:43], 1
	s_waitcnt lgkmcnt(0)
	s_add_u32 s24, s24, s42
	s_addc_u32 s25, s25, s43
	s_ashr_i32 s2, s39, 31
	s_ashr_i32 s67, s4, 31
	;; [unrolled: 1-line block ×3, first 2 shown]
	s_mul_hi_i32 s43, s38, s13
	s_mul_i32 s38, s38, s13
	s_mul_hi_i32 s35, s7, s12
	s_add_u32 s7, s34, s40
	s_mul_i32 s2, s38, s2
	s_mul_hi_u32 s44, s38, s39
	s_addc_u32 s42, s35, s41
	s_add_i32 s2, s44, s2
	s_mul_i32 s43, s43, s39
	s_mul_i32 s38, s38, s39
	s_add_i32 s2, s2, s43
	s_mul_i32 s43, s38, s67
	s_mul_hi_u32 s44, s38, s4
	s_add_i32 s43, s44, s43
	s_mul_i32 s2, s2, s4
	s_mul_i32 s38, s38, s4
	s_add_i32 s2, s43, s2
	s_mul_i32 s42, s38, s42
	s_mul_hi_u32 s43, s38, s7
	s_add_i32 s42, s43, s42
	s_mul_i32 s2, s2, s7
	s_load_dwordx2 s[44:45], s[0:1], 0x20
	s_add_i32 s43, s42, s2
	s_load_dword s2, s[0:1], 0x11c
	s_mul_i32 s42, s38, s7
	s_lshl_b64 s[42:43], s[42:43], 1
	s_add_u32 s26, s26, s42
	s_addc_u32 s27, s27, s43
	s_lshl_b64 s[34:35], s[34:35], 1
	s_waitcnt lgkmcnt(0)
	s_add_u32 s7, s44, s34
	s_addc_u32 s35, s45, s35
	s_lshl_b64 s[0:1], s[40:41], 1
	s_add_u32 s34, s7, s0
	s_addc_u32 s35, s35, s1
	s_cmp_lt_i32 s11, 1
	s_cselect_b64 s[40:41], -1, 0
	s_cmp_gt_i32 s14, 0
	s_cselect_b64 s[42:43], -1, 0
	s_cmp_gt_i32 s15, 0
	;; [unrolled: 2-line block ×3, first 2 shown]
	s_cselect_b64 s[46:47], -1, 0
	s_abs_i32 s77, s13
	v_cvt_f32_u32_e32 v1, s77
	s_abs_i32 s78, s4
	v_cvt_f32_u32_e32 v2, s78
	s_abs_i32 s80, s6
	v_rcp_iflag_f32_e32 v1, v1
	v_cvt_f32_u32_e32 v4, s80
	v_rcp_iflag_f32_e32 v2, v2
	s_and_b32 s79, s2, 0xffff
	v_mul_f32_e32 v1, 0x4f7ffffe, v1
	v_cvt_u32_f32_e32 v1, v1
	s_sub_i32 s2, 0, s77
	v_mul_f32_e32 v2, 0x4f7ffffe, v2
	v_cvt_u32_f32_e32 v2, v2
	v_mul_lo_u32 v3, s2, v1
	v_mul_hi_u32 v3, v1, v3
	v_add_u32_e32 v1, v1, v3
	v_rcp_iflag_f32_e32 v3, v4
	s_sub_i32 s2, 0, s78
	v_mul_lo_u32 v4, s2, v2
	v_mul_hi_u32 v4, v2, v4
	v_add_u32_e32 v18, v2, v4
	v_mul_f32_e32 v2, 0x4f7ffffe, v3
	s_abs_i32 s81, s39
	v_cvt_u32_f32_e32 v2, v2
	v_cvt_f32_u32_e32 v3, s81
	s_abs_i32 s83, s3
	v_cvt_f32_u32_e32 v5, s83
	s_sub_i32 s2, 0, s80
	v_mul_lo_u32 v4, s2, v2
	v_rcp_iflag_f32_e32 v3, v3
	v_mul_hi_u32 v4, v2, v4
	v_add_u32_e32 v19, v2, v4
	v_rcp_iflag_f32_e32 v2, v5
	v_mul_f32_e32 v3, 0x4f7ffffe, v3
	v_cvt_u32_f32_e32 v3, v3
	s_sub_i32 s2, 0, s81
	v_mul_f32_e32 v2, 0x4f7ffffe, v2
	v_cvt_u32_f32_e32 v2, v2
	v_mul_lo_u32 v4, s2, v3
	s_mov_b32 s68, s4
	s_mul_i32 s0, s5, s12
	v_mul_hi_u32 v4, v3, v4
	s_sub_i32 s2, 0, s83
	s_mul_i32 s4, s16, s15
	s_mul_i32 s69, s5, s13
	s_ashr_i32 s5, s14, 31
	v_add_u32_e32 v20, v3, v4
	v_mul_lo_u32 v3, s2, v2
	s_mul_i32 s2, s4, s0
	s_ashr_i32 s1, s0, 31
	s_ashr_i32 s82, s6, 31
	s_mul_hi_u32 s6, s2, s14
	s_mul_i32 s5, s2, s5
	s_ashr_i32 s84, s3, 31
	s_mul_hi_i32 s3, s16, s15
	s_add_i32 s5, s6, s5
	s_mul_hi_u32 s6, s4, s0
	s_mul_i32 s4, s4, s1
	s_add_i32 s4, s6, s4
	s_mul_i32 s3, s3, s0
	s_add_i32 s3, s4, s3
	v_cmp_neq_f64_e64 s[48:49], s[28:29], 1.0
	v_cmp_neq_f64_e64 s[50:51], s[30:31], 0
	s_mul_i32 s4, s3, s14
	s_or_b64 s[48:49], s[48:49], s[50:51]
	v_mul_hi_u32 v3, v2, v3
	s_add_i32 s5, s5, s4
	s_mul_i32 s4, s2, s14
	s_lshl_b64 s[50:51], s[2:3], 1
	s_mul_hi_i32 s3, s16, s0
	s_mul_i32 s2, s16, s0
	s_mov_b32 s65, s13
	s_mov_b32 s66, s39
	s_ashr_i32 s70, s8, 31
	s_mov_b32 s71, s8
	s_ashr_i32 s72, s9, 31
	;; [unrolled: 2-line block ×4, first 2 shown]
	s_mov_b64 s[12:13], 0
	v_add_u32_e32 v21, v2, v3
	s_lshl_b64 s[38:39], s[4:5], 1
	s_lshl_b64 s[52:53], s[2:3], 1
	;; [unrolled: 1-line block ×3, first 2 shown]
	s_sub_i32 s37, 0, s37
	v_mov_b32_e32 v3, 0
	s_branch .LBB112_3
.LBB112_2:                              ;   in Loop: Header=BB112_3 Depth=1
	v_add_u32_e32 v0, s79, v0
	v_cmp_le_i32_e32 vcc, s33, v0
	s_or_b64 s[12:13], vcc, s[12:13]
	s_andn2_b64 exec, exec, s[12:13]
	s_cbranch_execz .LBB112_23
.LBB112_3:                              ; =>This Loop Header: Depth=1
                                        ;     Child Loop BB112_8 Depth 2
                                        ;       Child Loop BB112_11 Depth 3
                                        ;         Child Loop BB112_14 Depth 4
                                        ;           Child Loop BB112_17 Depth 5
	v_sub_u32_e32 v5, 0, v0
	v_max_i32_e32 v5, v0, v5
	v_mul_hi_u32 v6, v5, v1
	v_mul_lo_u32 v7, v6, s77
	v_sub_u32_e32 v7, v5, v7
	v_add_u32_e32 v8, 1, v6
	v_cmp_le_u32_e32 vcc, s77, v7
	v_ashrrev_i32_e32 v2, 31, v0
	v_xor_b32_e32 v4, s64, v2
	v_cndmask_b32_e32 v6, v6, v8, vcc
	v_subrev_u32_e32 v8, s77, v7
	v_cndmask_b32_e32 v7, v7, v8, vcc
	v_add_u32_e32 v8, 1, v6
	v_cmp_le_u32_e32 vcc, s77, v7
	v_mul_hi_u32 v9, v5, v19
	v_mul_lo_u32 v10, v9, s80
	v_cndmask_b32_e32 v6, v6, v8, vcc
	v_xor_b32_e32 v6, v6, v4
	v_sub_u32_e32 v6, v6, v4
	v_sub_u32_e32 v7, 0, v6
	v_max_i32_e32 v7, v6, v7
	v_mul_hi_u32 v8, v7, v18
	v_mul_lo_u32 v8, v8, s78
	v_sub_u32_e32 v7, v7, v8
	v_subrev_u32_e32 v8, s78, v7
	v_cmp_le_u32_e32 vcc, s78, v7
	v_sub_u32_e32 v10, v5, v10
	v_add_u32_e32 v11, 1, v9
	v_cndmask_b32_e32 v7, v7, v8, vcc
	v_cmp_le_u32_e32 vcc, s80, v10
	v_xor_b32_e32 v8, s82, v2
	v_mul_lo_u32 v4, v6, s65
	v_cndmask_b32_e32 v9, v9, v11, vcc
	v_subrev_u32_e32 v11, s80, v10
	v_cndmask_b32_e32 v10, v10, v11, vcc
	v_add_u32_e32 v11, 1, v9
	v_cmp_le_u32_e32 vcc, s80, v10
	v_sub_u32_e32 v4, v0, v4
	v_cmp_le_u32_e64 s[0:1], s78, v7
	v_cndmask_b32_e32 v9, v9, v11, vcc
	v_xor_b32_e32 v9, v9, v8
	v_sub_u32_e32 v9, v9, v8
	v_sub_u32_e32 v8, 0, v9
	v_max_i32_e32 v8, v9, v8
	v_mul_hi_u32 v10, v8, v20
	v_mul_lo_u32 v10, v10, s81
	v_sub_u32_e32 v8, v8, v10
	v_subrev_u32_e32 v10, s81, v8
	v_cmp_le_u32_e32 vcc, s81, v8
	v_mul_hi_u32 v11, v5, v21
	s_mov_b64 s[58:59], -1
	v_cndmask_b32_e32 v10, v8, v10, vcc
	v_mul_lo_u32 v8, v11, s83
	v_sub_u32_e32 v5, v5, v8
	v_subrev_u32_e32 v8, s83, v5
	v_cmp_le_u32_e64 s[4:5], s83, v5
	v_cmp_le_u32_e64 s[2:3], s81, v10
	s_andn2_b64 vcc, exec, s[40:41]
	v_cndmask_b32_e64 v5, v5, v8, s[4:5]
	v_cmp_le_u32_e64 s[6:7], s83, v5
                                        ; implicit-def: $sgpr56_sgpr57
	s_cbranch_vccnz .LBB112_5
; %bb.4:                                ;   in Loop: Header=BB112_3 Depth=1
	v_ashrrev_i32_e32 v5, 31, v4
	s_mov_b64 s[58:59], 0
	s_mov_b64 s[56:57], 0
.LBB112_5:                              ;   in Loop: Header=BB112_3 Depth=1
	v_subrev_u32_e32 v8, s78, v7
	v_ashrrev_i32_e32 v6, 31, v6
	v_cndmask_b32_e64 v7, v7, v8, s[0:1]
	v_xor_b32_e32 v7, v7, v6
	v_sub_u32_e32 v8, v7, v6
	v_subrev_u32_e32 v7, s81, v10
	v_ashrrev_i32_e32 v6, 31, v9
	v_cndmask_b32_e64 v7, v10, v7, s[2:3]
	v_xor_b32_e32 v7, v7, v6
	v_sub_u32_e32 v10, v7, v6
	v_add_u32_e32 v6, 1, v11
	v_cndmask_b32_e64 v6, v11, v6, s[4:5]
	v_add_u32_e32 v7, 1, v6
	v_xor_b32_e32 v2, s84, v2
	v_cndmask_b32_e64 v6, v6, v7, s[6:7]
	v_xor_b32_e32 v6, v6, v2
	v_sub_u32_e32 v9, v6, v2
	s_andn2_b64 vcc, exec, s[58:59]
	v_mov_b64_e32 v[6:7], s[56:57]
	s_cbranch_vccnz .LBB112_19
; %bb.6:                                ;   in Loop: Header=BB112_3 Depth=1
	v_mul_lo_u32 v2, v8, s22
	v_ashrrev_i32_e32 v5, 31, v4
	v_mul_lo_u32 v11, v9, s20
	v_mul_lo_u32 v22, v10, s21
	v_lshl_add_u64 v[12:13], v[4:5], 1, s[24:25]
	v_add_u32_e32 v23, s37, v2
	s_mov_b32 s85, 0
	v_mov_b64_e32 v[6:7], 0
	s_mov_b64 s[2:3], s[34:35]
	s_branch .LBB112_8
.LBB112_7:                              ;   in Loop: Header=BB112_8 Depth=2
	s_add_i32 s85, s85, 1
	s_add_u32 s2, s2, s38
	s_addc_u32 s3, s3, s39
	s_cmp_eq_u32 s85, s11
	s_cbranch_scc1 .LBB112_19
.LBB112_8:                              ;   Parent Loop BB112_3 Depth=1
                                        ; =>  This Loop Header: Depth=2
                                        ;       Child Loop BB112_11 Depth 3
                                        ;         Child Loop BB112_14 Depth 4
                                        ;           Child Loop BB112_17 Depth 5
	s_andn2_b64 vcc, exec, s[42:43]
	s_cbranch_vccnz .LBB112_7
; %bb.9:                                ;   in Loop: Header=BB112_8 Depth=2
	s_mul_i32 s0, s85, s70
	s_mul_hi_u32 s1, s85, s71
	s_add_i32 s5, s1, s0
	s_mul_i32 s4, s85, s71
	s_mov_b32 s86, 0
	s_mov_b64 s[6:7], s[2:3]
	s_branch .LBB112_11
.LBB112_10:                             ;   in Loop: Header=BB112_11 Depth=3
	s_add_i32 s86, s86, 1
	s_add_u32 s6, s6, s50
	s_addc_u32 s7, s7, s51
	s_cmp_eq_u32 s86, s14
	s_cbranch_scc1 .LBB112_7
.LBB112_11:                             ;   Parent Loop BB112_3 Depth=1
                                        ;     Parent Loop BB112_8 Depth=2
                                        ; =>    This Loop Header: Depth=3
                                        ;         Child Loop BB112_14 Depth 4
                                        ;           Child Loop BB112_17 Depth 5
	s_andn2_b64 vcc, exec, s[44:45]
	s_cbranch_vccnz .LBB112_10
; %bb.12:                               ;   in Loop: Header=BB112_11 Depth=3
	s_mul_i32 s0, s86, s17
	s_sub_i32 s0, s0, s23
	v_add_u32_e32 v2, s0, v11
	v_cmp_gt_i32_e32 vcc, 0, v2
	v_cmp_le_i32_e64 s[0:1], s8, v2
	v_lshl_add_u64 v[14:15], s[4:5], 0, v[2:3]
	s_or_b64 s[56:57], vcc, s[0:1]
	v_mul_lo_u32 v2, v15, s73
	v_mul_lo_u32 v16, v14, s72
	v_mad_u64_u32 v[14:15], s[0:1], v14, s73, 0
	s_mov_b32 s87, 0
	v_add3_u32 v15, v15, v16, v2
	s_mov_b64 s[58:59], s[6:7]
	s_branch .LBB112_14
.LBB112_13:                             ;   in Loop: Header=BB112_14 Depth=4
	s_add_i32 s87, s87, 1
	s_add_u32 s58, s58, s52
	s_addc_u32 s59, s59, s53
	s_cmp_eq_u32 s87, s15
	s_cbranch_scc1 .LBB112_10
.LBB112_14:                             ;   Parent Loop BB112_3 Depth=1
                                        ;     Parent Loop BB112_8 Depth=2
                                        ;       Parent Loop BB112_11 Depth=3
                                        ; =>      This Loop Header: Depth=4
                                        ;           Child Loop BB112_17 Depth 5
	s_andn2_b64 vcc, exec, s[46:47]
	s_cbranch_vccnz .LBB112_13
; %bb.15:                               ;   in Loop: Header=BB112_14 Depth=4
	s_mul_i32 s0, s87, s18
	s_sub_i32 s0, s0, s36
	v_add_u32_e32 v2, s0, v22
	v_cmp_gt_i32_e32 vcc, 0, v2
	v_cmp_le_i32_e64 s[0:1], s9, v2
	s_or_b64 s[0:1], vcc, s[0:1]
	v_lshl_add_u64 v[16:17], v[14:15], 0, v[2:3]
	s_or_b64 s[60:61], s[56:57], s[0:1]
	v_mul_lo_u32 v2, v17, s75
	v_mul_lo_u32 v24, v16, s74
	v_mad_u64_u32 v[16:17], s[0:1], v16, s75, 0
	v_add3_u32 v17, v17, v24, v2
	v_mov_b32_e32 v2, v23
	s_mov_b64 s[62:63], s[58:59]
	s_mov_b32 s88, s16
	s_branch .LBB112_17
.LBB112_16:                             ;   in Loop: Header=BB112_17 Depth=5
	s_or_b64 exec, exec, s[0:1]
	s_add_i32 s88, s88, -1
	s_add_u32 s62, s62, s54
	s_addc_u32 s63, s63, s55
	s_cmp_eq_u32 s88, 0
	v_add_u32_e32 v2, s19, v2
	s_cbranch_scc1 .LBB112_13
.LBB112_17:                             ;   Parent Loop BB112_3 Depth=1
                                        ;     Parent Loop BB112_8 Depth=2
                                        ;       Parent Loop BB112_11 Depth=3
                                        ;         Parent Loop BB112_14 Depth=4
                                        ; =>        This Inner Loop Header: Depth=5
	v_cmp_gt_i32_e32 vcc, 0, v2
	v_cmp_le_i32_e64 s[0:1], s10, v2
	s_or_b64 s[0:1], vcc, s[0:1]
	s_or_b64 s[0:1], s[60:61], s[0:1]
	s_xor_b64 s[90:91], s[0:1], -1
	s_and_saveexec_b64 s[0:1], s[90:91]
	s_cbranch_execz .LBB112_16
; %bb.18:                               ;   in Loop: Header=BB112_17 Depth=5
	v_lshl_add_u64 v[24:25], v[16:17], 0, v[2:3]
	v_mul_lo_u32 v26, v25, s69
	v_mul_lo_u32 v27, v24, s76
	v_mad_u64_u32 v[24:25], s[90:91], v24, s69, 0
	v_add3_u32 v25, v25, v27, v26
	v_lshl_add_u64 v[24:25], v[24:25], 1, v[12:13]
	global_load_ushort v24, v[24:25], off
	s_nop 0
	global_load_ushort v25, v3, s[62:63]
	s_waitcnt vmcnt(1)
	v_cvt_f32_f16_e32 v24, v24
	s_waitcnt vmcnt(0)
	v_cvt_f32_f16_e32 v26, v25
	v_cvt_f64_f32_e32 v[24:25], v24
	v_cvt_f64_f32_e32 v[26:27], v26
	v_fmac_f64_e32 v[6:7], v[24:25], v[26:27]
	s_branch .LBB112_16
.LBB112_19:                             ;   in Loop: Header=BB112_3 Depth=1
	v_ashrrev_i32_e32 v11, 31, v10
	v_mad_i64_i32 v[10:11], s[0:1], v9, s66, v[10:11]
	v_ashrrev_i32_e32 v9, 31, v8
	v_mad_u64_u32 v[8:9], s[0:1], v10, s68, v[8:9]
	v_mul_lo_u32 v2, v10, s67
	v_mul_lo_u32 v10, v11, s68
	v_add3_u32 v2, v10, v9, v2
	v_mul_lo_u32 v9, v8, s64
	v_mul_lo_u32 v2, v2, s65
	v_mad_u64_u32 v[4:5], s[0:1], v8, s65, v[4:5]
	v_add3_u32 v5, v2, v5, v9
	s_mov_b64 s[0:1], -1
	s_and_b64 vcc, exec, s[48:49]
	s_cbranch_vccz .LBB112_21
; %bb.20:                               ;   in Loop: Header=BB112_3 Depth=1
	v_lshl_add_u64 v[8:9], v[4:5], 1, s[26:27]
	global_load_ushort v2, v[8:9], off
	s_mov_b64 s[0:1], 0
	s_waitcnt vmcnt(0)
	v_cvt_f32_f16_e32 v2, v2
	v_cvt_f64_f32_e32 v[10:11], v2
	v_mul_f64 v[10:11], v[10:11], s[30:31]
	v_fmac_f64_e32 v[10:11], s[28:29], v[6:7]
	v_cvt_f32_f64_e32 v2, v[10:11]
	v_cvt_f16_f32_e32 v2, v2
	global_store_short v[8:9], v2, off
.LBB112_21:                             ;   in Loop: Header=BB112_3 Depth=1
	s_andn2_b64 vcc, exec, s[0:1]
	s_cbranch_vccnz .LBB112_2
; %bb.22:                               ;   in Loop: Header=BB112_3 Depth=1
	v_cvt_f32_f64_e32 v2, v[6:7]
	v_cvt_f16_f32_e32 v2, v2
	v_lshl_add_u64 v[4:5], v[4:5], 1, s[26:27]
	global_store_short v[4:5], v2, off
	s_branch .LBB112_2
.LBB112_23:
	s_endpgm
	.section	.rodata,"a",@progbits
	.p2align	6, 0x0
	.amdhsa_kernel naive_conv_ab_packed_wrw_ndhwc_half_double_half_0
		.amdhsa_group_segment_fixed_size 0
		.amdhsa_private_segment_fixed_size 0
		.amdhsa_kernarg_size 528
		.amdhsa_user_sgpr_count 2
		.amdhsa_user_sgpr_dispatch_ptr 0
		.amdhsa_user_sgpr_queue_ptr 0
		.amdhsa_user_sgpr_kernarg_segment_ptr 1
		.amdhsa_user_sgpr_dispatch_id 0
		.amdhsa_user_sgpr_kernarg_preload_length 0
		.amdhsa_user_sgpr_kernarg_preload_offset 0
		.amdhsa_user_sgpr_private_segment_size 0
		.amdhsa_uses_dynamic_stack 0
		.amdhsa_enable_private_segment 0
		.amdhsa_system_sgpr_workgroup_id_x 1
		.amdhsa_system_sgpr_workgroup_id_y 0
		.amdhsa_system_sgpr_workgroup_id_z 0
		.amdhsa_system_sgpr_workgroup_info 0
		.amdhsa_system_vgpr_workitem_id 0
		.amdhsa_next_free_vgpr 28
		.amdhsa_next_free_sgpr 92
		.amdhsa_accum_offset 28
		.amdhsa_reserve_vcc 1
		.amdhsa_float_round_mode_32 0
		.amdhsa_float_round_mode_16_64 0
		.amdhsa_float_denorm_mode_32 3
		.amdhsa_float_denorm_mode_16_64 3
		.amdhsa_dx10_clamp 1
		.amdhsa_ieee_mode 1
		.amdhsa_fp16_overflow 0
		.amdhsa_tg_split 0
		.amdhsa_exception_fp_ieee_invalid_op 0
		.amdhsa_exception_fp_denorm_src 0
		.amdhsa_exception_fp_ieee_div_zero 0
		.amdhsa_exception_fp_ieee_overflow 0
		.amdhsa_exception_fp_ieee_underflow 0
		.amdhsa_exception_fp_ieee_inexact 0
		.amdhsa_exception_int_div_zero 0
	.end_amdhsa_kernel
	.text
.Lfunc_end112:
	.size	naive_conv_ab_packed_wrw_ndhwc_half_double_half_0, .Lfunc_end112-naive_conv_ab_packed_wrw_ndhwc_half_double_half_0
                                        ; -- End function
	.section	.AMDGPU.csdata,"",@progbits
; Kernel info:
; codeLenInByte = 1956
; NumSgprs: 98
; NumVgprs: 28
; NumAgprs: 0
; TotalNumVgprs: 28
; ScratchSize: 0
; MemoryBound: 0
; FloatMode: 240
; IeeeMode: 1
; LDSByteSize: 0 bytes/workgroup (compile time only)
; SGPRBlocks: 12
; VGPRBlocks: 3
; NumSGPRsForWavesPerEU: 98
; NumVGPRsForWavesPerEU: 28
; AccumOffset: 28
; Occupancy: 8
; WaveLimiterHint : 0
; COMPUTE_PGM_RSRC2:SCRATCH_EN: 0
; COMPUTE_PGM_RSRC2:USER_SGPR: 2
; COMPUTE_PGM_RSRC2:TRAP_HANDLER: 0
; COMPUTE_PGM_RSRC2:TGID_X_EN: 1
; COMPUTE_PGM_RSRC2:TGID_Y_EN: 0
; COMPUTE_PGM_RSRC2:TGID_Z_EN: 0
; COMPUTE_PGM_RSRC2:TIDIG_COMP_CNT: 0
; COMPUTE_PGM_RSRC3_GFX90A:ACCUM_OFFSET: 6
; COMPUTE_PGM_RSRC3_GFX90A:TG_SPLIT: 0
	.text
	.protected	naive_conv_ab_nonpacked_wrw_ndhwc_half_double_half_0 ; -- Begin function naive_conv_ab_nonpacked_wrw_ndhwc_half_double_half_0
	.globl	naive_conv_ab_nonpacked_wrw_ndhwc_half_double_half_0
	.p2align	8
	.type	naive_conv_ab_nonpacked_wrw_ndhwc_half_double_half_0,@function
naive_conv_ab_nonpacked_wrw_ndhwc_half_double_half_0: ; @naive_conv_ab_nonpacked_wrw_ndhwc_half_double_half_0
; %bb.0:
	s_load_dwordx16 s[8:23], s[0:1], 0xb8
	s_load_dword s6, s[0:1], 0x108
	s_load_dwordx4 s[68:71], s[0:1], 0xf8
	s_waitcnt lgkmcnt(0)
	s_abs_i32 s3, s12
	v_cvt_f32_u32_e32 v1, s3
	s_mul_i32 s5, s6, s13
	s_mul_i32 s4, s5, s71
	;; [unrolled: 1-line block ×3, first 2 shown]
	v_rcp_iflag_f32_e32 v1, v1
	v_cmp_gt_i32_e32 vcc, s33, v0
	v_mul_f32_e32 v1, 0x4f7ffffe, v1
	v_cvt_u32_f32_e32 v1, v1
	s_nop 0
	v_readfirstlane_b32 s7, v1
	s_and_saveexec_b64 s[24:25], vcc
	s_cbranch_execz .LBB113_23
; %bb.1:
	s_sub_i32 s36, 0, s3
	s_mul_i32 s36, s36, s7
	s_mul_hi_u32 s36, s7, s36
	s_abs_i32 s70, s2
	s_add_i32 s7, s7, s36
	s_ashr_i32 s34, s2, 31
	s_ashr_i32 s35, s12, 31
	s_mul_hi_u32 s7, s70, s7
	s_xor_b32 s34, s34, s35
	s_mul_i32 s35, s7, s3
	s_sub_i32 s35, s70, s35
	s_add_i32 s70, s7, 1
	s_sub_i32 s72, s35, s3
	s_cmp_ge_u32 s35, s3
	s_cselect_b32 s7, s70, s7
	s_cselect_b32 s35, s72, s35
	s_add_i32 s70, s7, 1
	s_cmp_ge_u32 s35, s3
	s_load_dwordx16 s[36:51], s[0:1], 0x28
	s_load_dwordx16 s[52:67], s[0:1], 0x68
	s_cselect_b32 s3, s70, s7
	s_xor_b32 s3, s3, s34
	s_sub_i32 s7, s3, s34
	s_load_dwordx8 s[24:31], s[0:1], 0x0
	s_mul_i32 s3, s7, s12
	s_ashr_i32 s70, s7, 31
	s_sub_i32 s12, s2, s3
	s_waitcnt lgkmcnt(0)
	s_mul_i32 s2, s38, s70
	s_mul_hi_u32 s3, s38, s7
	s_add_i32 s2, s3, s2
	s_mul_i32 s3, s39, s7
	s_add_i32 s3, s2, s3
	s_mul_i32 s2, s38, s7
	s_lshl_b64 s[2:3], s[2:3], 1
	s_add_u32 s24, s24, s2
	s_addc_u32 s25, s25, s3
	s_mul_i32 s2, s58, s70
	s_mul_hi_u32 s3, s58, s7
	s_ashr_i32 s38, s12, 31
	s_add_i32 s2, s3, s2
	s_mul_i32 s3, s59, s7
	s_mul_i32 s34, s56, s38
	s_mul_hi_u32 s35, s56, s12
	s_add_i32 s3, s2, s3
	s_mul_i32 s2, s58, s7
	s_add_i32 s34, s35, s34
	s_mul_i32 s35, s57, s12
	s_add_i32 s35, s34, s35
	s_lshl_b64 s[2:3], s[2:3], 1
	s_mul_i32 s34, s56, s12
	s_add_u32 s26, s26, s2
	s_addc_u32 s27, s27, s3
	s_lshl_b64 s[2:3], s[34:35], 1
	s_add_u32 s26, s26, s2
	s_addc_u32 s27, s27, s3
	s_load_dwordx2 s[2:3], s[0:1], 0x20
	s_mul_i32 s34, s62, s70
	s_mul_hi_u32 s35, s62, s7
	s_add_i32 s34, s35, s34
	s_mul_i32 s35, s63, s7
	s_add_i32 s35, s34, s35
	s_mul_i32 s34, s62, s7
	s_mul_i32 s7, s60, s38
	s_mul_hi_u32 s38, s60, s12
	s_add_i32 s7, s38, s7
	s_mul_i32 s38, s61, s12
	s_add_i32 s39, s7, s38
	s_lshl_b64 s[34:35], s[34:35], 1
	s_mul_i32 s38, s60, s12
	s_waitcnt lgkmcnt(0)
	s_add_u32 s7, s2, s34
	s_addc_u32 s12, s3, s35
	s_lshl_b64 s[2:3], s[38:39], 1
	s_add_u32 s34, s7, s2
	s_addc_u32 s35, s12, s3
	s_cmp_lt_i32 s11, 1
	s_cselect_b64 s[38:39], -1, 0
	s_cmp_gt_i32 s14, 0
	s_cselect_b64 s[56:57], -1, 0
	s_cmp_gt_i32 s15, 0
	;; [unrolled: 2-line block ×3, first 2 shown]
	s_cselect_b64 s[60:61], -1, 0
	s_abs_i32 s12, s13
	v_cvt_f32_u32_e32 v1, s12
	s_abs_i32 s82, s6
	v_cvt_f32_u32_e32 v3, s82
	;; [unrolled: 2-line block ×4, first 2 shown]
	s_abs_i32 s85, s4
	v_rcp_iflag_f32_e32 v1, v1
	v_cvt_f32_u32_e32 v9, s85
	v_rcp_iflag_f32_e32 v3, v3
	v_cmp_neq_f64_e64 s[2:3], s[28:29], 1.0
	v_cmp_neq_f64_e64 s[62:63], s[30:31], 0
	v_rcp_iflag_f32_e32 v5, v5
	s_or_b64 s[62:63], s[2:3], s[62:63]
	s_load_dword s7, s[0:1], 0x11c
	s_nop 0
	s_load_dwordx4 s[0:3], s[0:1], 0xa8
	v_rcp_iflag_f32_e32 v7, v7
	v_mul_f32_e32 v1, 0x4f7ffffe, v1
	v_rcp_iflag_f32_e32 v9, v9
	v_cvt_u32_f32_e32 v1, v1
	v_mul_f32_e32 v3, 0x4f7ffffe, v3
	v_cvt_u32_f32_e32 v3, v3
	v_mul_f32_e32 v5, 0x4f7ffffe, v5
	;; [unrolled: 2-line block ×3, first 2 shown]
	s_waitcnt lgkmcnt(0)
	s_lshl_b64 s[74:75], s[0:1], 1
	s_sub_i32 s0, 0, s12
	v_cvt_u32_f32_e32 v7, v7
	v_mul_f32_e32 v9, 0x4f7ffffe, v9
	v_mul_lo_u32 v2, s0, v1
	s_sub_i32 s0, 0, s82
	v_cvt_u32_f32_e32 v9, v9
	v_mul_lo_u32 v4, s0, v3
	s_sub_i32 s0, 0, s83
	v_mul_hi_u32 v2, v1, v2
	v_mul_lo_u32 v6, s0, v5
	s_sub_i32 s0, 0, s84
	v_add_u32_e32 v1, v1, v2
	v_mul_hi_u32 v2, v3, v4
	v_mul_lo_u32 v8, s0, v7
	s_sub_i32 s0, 0, s85
	v_add_u32_e32 v3, v3, v2
	v_mul_hi_u32 v2, v5, v6
	v_mul_lo_u32 v10, s0, v9
	v_add_u32_e32 v16, v5, v2
	v_mul_hi_u32 v2, v7, v8
	v_add_u32_e32 v17, v7, v2
	v_mul_hi_u32 v2, v9, v10
	s_lshl_b64 s[72:73], s[2:3], 1
	s_and_b32 s86, s7, 0xffff
	s_ashr_i32 s87, s5, 31
	s_ashr_i32 s88, s4, 31
	v_add_u32_e32 v18, v9, v2
	v_mov_b32_e32 v19, 0
	s_ashr_i32 s89, s13, 31
	s_sub_i32 s69, 0, s69
	s_mov_b64 s[70:71], 0
	s_lshl_b64 s[66:67], s[66:67], 1
	s_lshl_b64 s[64:65], s[64:65], 1
	s_branch .LBB113_3
.LBB113_2:                              ;   in Loop: Header=BB113_3 Depth=1
	v_add_u32_e32 v0, s86, v0
	v_cmp_le_i32_e32 vcc, s33, v0
	s_or_b64 s[70:71], vcc, s[70:71]
	s_andn2_b64 exec, exec, s[70:71]
	s_cbranch_execz .LBB113_23
.LBB113_3:                              ; =>This Loop Header: Depth=1
                                        ;     Child Loop BB113_8 Depth 2
                                        ;       Child Loop BB113_11 Depth 3
                                        ;         Child Loop BB113_14 Depth 4
                                        ;           Child Loop BB113_17 Depth 5
	v_sub_u32_e32 v4, 0, v0
	v_max_i32_e32 v4, v0, v4
	v_mul_hi_u32 v5, v4, v1
	v_mul_lo_u32 v7, v5, s12
	v_sub_u32_e32 v7, v4, v7
	v_add_u32_e32 v8, 1, v5
	v_cmp_le_u32_e32 vcc, s12, v7
	v_ashrrev_i32_e32 v6, 31, v0
	v_xor_b32_e32 v2, s89, v6
	v_cndmask_b32_e32 v5, v5, v8, vcc
	v_subrev_u32_e32 v8, s12, v7
	v_cndmask_b32_e32 v7, v7, v8, vcc
	v_add_u32_e32 v8, 1, v5
	v_cmp_le_u32_e32 vcc, s12, v7
	v_mul_hi_u32 v9, v4, v16
	v_mul_lo_u32 v10, v9, s83
	v_cndmask_b32_e32 v5, v5, v8, vcc
	v_xor_b32_e32 v5, v5, v2
	v_sub_u32_e32 v7, v5, v2
	v_sub_u32_e32 v5, 0, v7
	v_max_i32_e32 v5, v7, v5
	v_mul_hi_u32 v8, v5, v3
	v_mul_lo_u32 v8, v8, s82
	v_sub_u32_e32 v5, v5, v8
	v_subrev_u32_e32 v8, s82, v5
	v_cmp_le_u32_e32 vcc, s82, v5
	v_sub_u32_e32 v10, v4, v10
	v_add_u32_e32 v11, 1, v9
	v_cndmask_b32_e32 v8, v5, v8, vcc
	v_cmp_le_u32_e32 vcc, s83, v10
	v_xor_b32_e32 v5, s87, v6
	v_mul_lo_u32 v2, v7, s13
	v_cndmask_b32_e32 v9, v9, v11, vcc
	v_subrev_u32_e32 v11, s83, v10
	v_cndmask_b32_e32 v10, v10, v11, vcc
	v_add_u32_e32 v11, 1, v9
	v_cmp_le_u32_e32 vcc, s83, v10
	v_sub_u32_e32 v2, v0, v2
	v_cmp_le_u32_e64 s[0:1], s82, v8
	v_cndmask_b32_e32 v9, v9, v11, vcc
	v_xor_b32_e32 v9, v9, v5
	v_sub_u32_e32 v9, v9, v5
	v_sub_u32_e32 v5, 0, v9
	v_max_i32_e32 v5, v9, v5
	v_mul_hi_u32 v10, v5, v17
	v_mul_lo_u32 v10, v10, s84
	v_sub_u32_e32 v5, v5, v10
	v_subrev_u32_e32 v10, s84, v5
	v_cmp_le_u32_e32 vcc, s84, v5
	s_mov_b64 s[78:79], -1
                                        ; implicit-def: $sgpr76_sgpr77
	s_nop 0
	v_cndmask_b32_e32 v11, v5, v10, vcc
	v_mul_hi_u32 v10, v4, v18
	v_mul_lo_u32 v5, v10, s85
	v_sub_u32_e32 v4, v4, v5
	v_subrev_u32_e32 v5, s85, v4
	v_cmp_le_u32_e64 s[4:5], s85, v4
	v_cmp_le_u32_e64 s[2:3], s84, v11
	s_andn2_b64 vcc, exec, s[38:39]
	v_cndmask_b32_e64 v4, v4, v5, s[4:5]
	v_cmp_le_u32_e64 s[6:7], s85, v4
                                        ; implicit-def: $vgpr4_vgpr5
	s_cbranch_vccnz .LBB113_5
; %bb.4:                                ;   in Loop: Header=BB113_3 Depth=1
	v_ashrrev_i32_e32 v5, 31, v2
	s_mov_b64 s[78:79], 0
	s_mov_b64 s[76:77], 0
.LBB113_5:                              ;   in Loop: Header=BB113_3 Depth=1
	v_ashrrev_i32_e32 v4, 31, v7
	v_subrev_u32_e32 v7, s82, v8
	v_cndmask_b32_e64 v7, v8, v7, s[0:1]
	v_xor_b32_e32 v7, v7, v4
	v_subrev_u32_e32 v8, s84, v11
	v_sub_u32_e32 v4, v7, v4
	v_ashrrev_i32_e32 v7, 31, v9
	v_cndmask_b32_e64 v8, v11, v8, s[2:3]
	v_xor_b32_e32 v8, v8, v7
	v_sub_u32_e32 v20, v8, v7
	v_add_u32_e32 v7, 1, v10
	v_cndmask_b32_e64 v7, v10, v7, s[4:5]
	v_add_u32_e32 v8, 1, v7
	v_xor_b32_e32 v6, s88, v6
	v_cndmask_b32_e64 v7, v7, v8, s[6:7]
	v_xor_b32_e32 v7, v7, v6
	v_sub_u32_e32 v21, v7, v6
	s_andn2_b64 vcc, exec, s[78:79]
	v_mov_b64_e32 v[6:7], s[76:77]
	s_cbranch_vccnz .LBB113_19
; %bb.6:                                ;   in Loop: Header=BB113_3 Depth=1
	v_ashrrev_i32_e32 v5, 31, v2
	v_mul_lo_u32 v8, s37, v2
	v_mul_lo_u32 v9, s36, v5
	v_mad_u64_u32 v[6:7], s[0:1], s36, v2, 0
	v_mul_lo_u32 v10, v4, s22
	v_add3_u32 v7, v7, v9, v8
	v_mul_lo_u32 v22, v21, s20
	v_mul_lo_u32 v23, v20, s21
	v_lshl_add_u64 v[8:9], v[6:7], 1, s[24:25]
	v_add_u32_e32 v24, s69, v10
	s_mov_b32 s90, 0
	v_mov_b64_e32 v[6:7], 0
	s_mov_b64 s[2:3], s[34:35]
	s_branch .LBB113_8
.LBB113_7:                              ;   in Loop: Header=BB113_8 Depth=2
	s_add_i32 s90, s90, 1
	s_add_u32 s2, s2, s72
	s_addc_u32 s3, s3, s73
	s_cmp_eq_u32 s90, s11
	s_cbranch_scc1 .LBB113_19
.LBB113_8:                              ;   Parent Loop BB113_3 Depth=1
                                        ; =>  This Loop Header: Depth=2
                                        ;       Child Loop BB113_11 Depth 3
                                        ;         Child Loop BB113_14 Depth 4
                                        ;           Child Loop BB113_17 Depth 5
	s_andn2_b64 vcc, exec, s[56:57]
	s_cbranch_vccnz .LBB113_7
; %bb.9:                                ;   in Loop: Header=BB113_8 Depth=2
	s_mul_i32 s0, s47, s90
	s_mul_hi_u32 s1, s46, s90
	s_add_i32 s1, s1, s0
	s_mul_i32 s0, s46, s90
	v_lshl_add_u64 v[10:11], s[0:1], 1, v[8:9]
	s_mov_b32 s91, 0
	s_mov_b64 s[4:5], s[2:3]
	s_branch .LBB113_11
.LBB113_10:                             ;   in Loop: Header=BB113_11 Depth=3
	s_add_i32 s91, s91, 1
	s_add_u32 s4, s4, s74
	s_addc_u32 s5, s5, s75
	s_cmp_eq_u32 s91, s14
	s_cbranch_scc1 .LBB113_7
.LBB113_11:                             ;   Parent Loop BB113_3 Depth=1
                                        ;     Parent Loop BB113_8 Depth=2
                                        ; =>    This Loop Header: Depth=3
                                        ;         Child Loop BB113_14 Depth 4
                                        ;           Child Loop BB113_17 Depth 5
	s_andn2_b64 vcc, exec, s[58:59]
	s_cbranch_vccnz .LBB113_10
; %bb.12:                               ;   in Loop: Header=BB113_11 Depth=3
	s_mul_i32 s0, s91, s17
	s_sub_i32 s0, s0, s23
	v_add_u32_e32 v15, s0, v22
	v_cmp_gt_i32_e32 vcc, 0, v15
	v_cmp_le_i32_e64 s[0:1], s8, v15
	s_or_b64 s[6:7], vcc, s[0:1]
	v_mad_u64_u32 v[12:13], s[0:1], s44, v15, 0
	v_mov_b32_e32 v14, v13
	v_mad_u64_u32 v[14:15], s[0:1], s45, v15, v[14:15]
	v_mov_b32_e32 v13, v14
	s_mov_b32 s92, 0
	v_lshl_add_u64 v[12:13], v[12:13], 1, v[10:11]
	s_mov_b64 s[76:77], s[4:5]
	s_branch .LBB113_14
.LBB113_13:                             ;   in Loop: Header=BB113_14 Depth=4
	s_add_i32 s92, s92, 1
	s_add_u32 s76, s76, s66
	s_addc_u32 s77, s77, s67
	s_cmp_eq_u32 s92, s15
	s_cbranch_scc1 .LBB113_10
.LBB113_14:                             ;   Parent Loop BB113_3 Depth=1
                                        ;     Parent Loop BB113_8 Depth=2
                                        ;       Parent Loop BB113_11 Depth=3
                                        ; =>      This Loop Header: Depth=4
                                        ;           Child Loop BB113_17 Depth 5
	s_andn2_b64 vcc, exec, s[60:61]
	s_cbranch_vccnz .LBB113_13
; %bb.15:                               ;   in Loop: Header=BB113_14 Depth=4
	s_mul_i32 s0, s92, s18
	s_sub_i32 s0, s0, s68
	v_add_u32_e32 v25, s0, v23
	v_cmp_gt_i32_e32 vcc, 0, v25
	v_cmp_le_i32_e64 s[0:1], s9, v25
	s_or_b64 s[0:1], vcc, s[0:1]
	s_or_b64 s[78:79], s[6:7], s[0:1]
	v_mad_u64_u32 v[14:15], s[0:1], s42, v25, 0
	v_mov_b32_e32 v26, v15
	v_mad_u64_u32 v[26:27], s[0:1], s43, v25, v[26:27]
	v_mov_b32_e32 v15, v26
	v_lshl_add_u64 v[14:15], v[14:15], 1, v[12:13]
	v_mov_b32_e32 v25, v24
	s_mov_b64 s[80:81], s[76:77]
	s_mov_b32 s93, s16
	s_branch .LBB113_17
.LBB113_16:                             ;   in Loop: Header=BB113_17 Depth=5
	s_or_b64 exec, exec, s[0:1]
	s_add_i32 s93, s93, -1
	s_add_u32 s80, s80, s64
	s_addc_u32 s81, s81, s65
	s_cmp_eq_u32 s93, 0
	v_add_u32_e32 v25, s19, v25
	s_cbranch_scc1 .LBB113_13
.LBB113_17:                             ;   Parent Loop BB113_3 Depth=1
                                        ;     Parent Loop BB113_8 Depth=2
                                        ;       Parent Loop BB113_11 Depth=3
                                        ;         Parent Loop BB113_14 Depth=4
                                        ; =>        This Inner Loop Header: Depth=5
	v_cmp_gt_i32_e32 vcc, 0, v25
	v_cmp_le_i32_e64 s[0:1], s10, v25
	s_or_b64 s[0:1], vcc, s[0:1]
	s_or_b64 s[0:1], s[78:79], s[0:1]
	s_xor_b64 s[94:95], s[0:1], -1
	s_and_saveexec_b64 s[0:1], s[94:95]
	s_cbranch_execz .LBB113_16
; %bb.18:                               ;   in Loop: Header=BB113_17 Depth=5
	v_mad_u64_u32 v[26:27], s[94:95], s40, v25, 0
	v_mov_b32_e32 v28, v27
	v_mad_u64_u32 v[28:29], s[94:95], s41, v25, v[28:29]
	v_mov_b32_e32 v27, v28
	v_lshl_add_u64 v[26:27], v[26:27], 1, v[14:15]
	global_load_ushort v26, v[26:27], off
	s_nop 0
	global_load_ushort v27, v19, s[80:81]
	s_waitcnt vmcnt(1)
	v_cvt_f32_f16_e32 v26, v26
	s_waitcnt vmcnt(0)
	v_cvt_f32_f16_e32 v28, v27
	v_cvt_f64_f32_e32 v[26:27], v26
	v_cvt_f64_f32_e32 v[28:29], v28
	v_fmac_f64_e32 v[6:7], v[26:27], v[28:29]
	s_branch .LBB113_16
.LBB113_19:                             ;   in Loop: Header=BB113_3 Depth=1
	v_ashrrev_i32_e32 v8, 31, v4
	v_mul_lo_u32 v12, s51, v4
	v_mul_lo_u32 v13, s50, v8
	v_mad_u64_u32 v[8:9], s[0:1], s50, v4, 0
	v_ashrrev_i32_e32 v11, 31, v20
	v_add3_u32 v9, v9, v13, v12
	v_mad_u64_u32 v[8:9], s[0:1], s52, v20, v[8:9]
	v_mul_lo_u32 v4, s53, v20
	v_mul_lo_u32 v11, s52, v11
	v_ashrrev_i32_e32 v10, 31, v21
	v_add3_u32 v9, v4, v9, v11
	v_mad_u64_u32 v[8:9], s[0:1], s54, v21, v[8:9]
	v_mul_lo_u32 v4, s55, v21
	v_mul_lo_u32 v10, s54, v10
	v_add3_u32 v9, v4, v9, v10
	v_mad_u64_u32 v[8:9], s[0:1], v2, s48, v[8:9]
	v_mul_lo_u32 v2, v2, s49
	v_mul_lo_u32 v4, v5, s48
	v_add3_u32 v9, v4, v9, v2
	s_mov_b64 s[0:1], -1
	s_and_b64 vcc, exec, s[62:63]
	s_cbranch_vccz .LBB113_21
; %bb.20:                               ;   in Loop: Header=BB113_3 Depth=1
	v_lshl_add_u64 v[4:5], v[8:9], 1, s[26:27]
	global_load_ushort v2, v[4:5], off
	s_mov_b64 s[0:1], 0
	s_waitcnt vmcnt(0)
	v_cvt_f32_f16_e32 v2, v2
	v_cvt_f64_f32_e32 v[10:11], v2
	v_mul_f64 v[10:11], v[10:11], s[30:31]
	v_fmac_f64_e32 v[10:11], s[28:29], v[6:7]
	v_cvt_f32_f64_e32 v2, v[10:11]
	v_cvt_f16_f32_e32 v2, v2
	global_store_short v[4:5], v2, off
.LBB113_21:                             ;   in Loop: Header=BB113_3 Depth=1
	s_andn2_b64 vcc, exec, s[0:1]
	s_cbranch_vccnz .LBB113_2
; %bb.22:                               ;   in Loop: Header=BB113_3 Depth=1
	v_cvt_f32_f64_e32 v2, v[6:7]
	v_cvt_f16_f32_e32 v2, v2
	v_lshl_add_u64 v[4:5], v[8:9], 1, s[26:27]
	global_store_short v[4:5], v2, off
	s_branch .LBB113_2
.LBB113_23:
	s_endpgm
	.section	.rodata,"a",@progbits
	.p2align	6, 0x0
	.amdhsa_kernel naive_conv_ab_nonpacked_wrw_ndhwc_half_double_half_0
		.amdhsa_group_segment_fixed_size 0
		.amdhsa_private_segment_fixed_size 0
		.amdhsa_kernarg_size 528
		.amdhsa_user_sgpr_count 2
		.amdhsa_user_sgpr_dispatch_ptr 0
		.amdhsa_user_sgpr_queue_ptr 0
		.amdhsa_user_sgpr_kernarg_segment_ptr 1
		.amdhsa_user_sgpr_dispatch_id 0
		.amdhsa_user_sgpr_kernarg_preload_length 0
		.amdhsa_user_sgpr_kernarg_preload_offset 0
		.amdhsa_user_sgpr_private_segment_size 0
		.amdhsa_uses_dynamic_stack 0
		.amdhsa_enable_private_segment 0
		.amdhsa_system_sgpr_workgroup_id_x 1
		.amdhsa_system_sgpr_workgroup_id_y 0
		.amdhsa_system_sgpr_workgroup_id_z 0
		.amdhsa_system_sgpr_workgroup_info 0
		.amdhsa_system_vgpr_workitem_id 0
		.amdhsa_next_free_vgpr 30
		.amdhsa_next_free_sgpr 96
		.amdhsa_accum_offset 32
		.amdhsa_reserve_vcc 1
		.amdhsa_float_round_mode_32 0
		.amdhsa_float_round_mode_16_64 0
		.amdhsa_float_denorm_mode_32 3
		.amdhsa_float_denorm_mode_16_64 3
		.amdhsa_dx10_clamp 1
		.amdhsa_ieee_mode 1
		.amdhsa_fp16_overflow 0
		.amdhsa_tg_split 0
		.amdhsa_exception_fp_ieee_invalid_op 0
		.amdhsa_exception_fp_denorm_src 0
		.amdhsa_exception_fp_ieee_div_zero 0
		.amdhsa_exception_fp_ieee_overflow 0
		.amdhsa_exception_fp_ieee_underflow 0
		.amdhsa_exception_fp_ieee_inexact 0
		.amdhsa_exception_int_div_zero 0
	.end_amdhsa_kernel
	.text
.Lfunc_end113:
	.size	naive_conv_ab_nonpacked_wrw_ndhwc_half_double_half_0, .Lfunc_end113-naive_conv_ab_nonpacked_wrw_ndhwc_half_double_half_0
                                        ; -- End function
	.section	.AMDGPU.csdata,"",@progbits
; Kernel info:
; codeLenInByte = 1968
; NumSgprs: 102
; NumVgprs: 30
; NumAgprs: 0
; TotalNumVgprs: 30
; ScratchSize: 0
; MemoryBound: 0
; FloatMode: 240
; IeeeMode: 1
; LDSByteSize: 0 bytes/workgroup (compile time only)
; SGPRBlocks: 12
; VGPRBlocks: 3
; NumSGPRsForWavesPerEU: 102
; NumVGPRsForWavesPerEU: 30
; AccumOffset: 32
; Occupancy: 7
; WaveLimiterHint : 0
; COMPUTE_PGM_RSRC2:SCRATCH_EN: 0
; COMPUTE_PGM_RSRC2:USER_SGPR: 2
; COMPUTE_PGM_RSRC2:TRAP_HANDLER: 0
; COMPUTE_PGM_RSRC2:TGID_X_EN: 1
; COMPUTE_PGM_RSRC2:TGID_Y_EN: 0
; COMPUTE_PGM_RSRC2:TGID_Z_EN: 0
; COMPUTE_PGM_RSRC2:TIDIG_COMP_CNT: 0
; COMPUTE_PGM_RSRC3_GFX90A:ACCUM_OFFSET: 7
; COMPUTE_PGM_RSRC3_GFX90A:TG_SPLIT: 0
	.text
	.protected	naive_conv_ab_packed_wrw_ndhwc_ushort_double_ushort_0 ; -- Begin function naive_conv_ab_packed_wrw_ndhwc_ushort_double_ushort_0
	.globl	naive_conv_ab_packed_wrw_ndhwc_ushort_double_ushort_0
	.p2align	8
	.type	naive_conv_ab_packed_wrw_ndhwc_ushort_double_ushort_0,@function
naive_conv_ab_packed_wrw_ndhwc_ushort_double_ushort_0: ; @naive_conv_ab_packed_wrw_ndhwc_ushort_double_ushort_0
; %bb.0:
	s_load_dwordx16 s[8:23], s[0:1], 0xb8
	s_load_dwordx2 s[4:5], s[0:1], 0x108
	s_load_dwordx4 s[36:39], s[0:1], 0xf8
	s_waitcnt lgkmcnt(0)
	s_abs_i32 s7, s12
	v_cvt_f32_u32_e32 v1, s7
	s_mul_i32 s6, s4, s13
	s_mul_i32 s3, s6, s39
	s_mul_i32 s33, s3, s38
	v_rcp_iflag_f32_e32 v1, v1
	v_cmp_gt_i32_e32 vcc, s33, v0
	v_mul_f32_e32 v1, 0x4f7ffffe, v1
	v_cvt_u32_f32_e32 v1, v1
	s_nop 0
	v_readfirstlane_b32 s34, v1
	s_and_saveexec_b64 s[24:25], vcc
	s_cbranch_execz .LBB114_23
; %bb.1:
	s_sub_i32 s42, 0, s7
	s_mul_i32 s42, s42, s34
	s_mul_hi_u32 s42, s34, s42
	s_abs_i32 s41, s2
	s_add_i32 s34, s34, s42
	s_ashr_i32 s35, s2, 31
	s_ashr_i32 s40, s12, 31
	s_mul_hi_u32 s34, s41, s34
	s_xor_b32 s35, s35, s40
	s_mul_i32 s40, s34, s7
	s_sub_i32 s40, s41, s40
	s_add_i32 s41, s34, 1
	s_sub_i32 s42, s40, s7
	s_cmp_ge_u32 s40, s7
	s_cselect_b32 s34, s41, s34
	s_cselect_b32 s40, s42, s40
	s_add_i32 s41, s34, 1
	s_cmp_ge_u32 s40, s7
	s_load_dwordx8 s[24:31], s[0:1], 0x0
	s_cselect_b32 s7, s41, s34
	s_xor_b32 s7, s7, s35
	s_sub_i32 s7, s7, s35
	s_mul_i32 s34, s7, s12
	s_mul_hi_i32 s43, s7, s13
	s_mul_i32 s42, s7, s13
	s_sub_i32 s40, s2, s34
	s_ashr_i32 s64, s13, 31
	s_lshl_b64 s[42:43], s[42:43], 1
	s_waitcnt lgkmcnt(0)
	s_add_u32 s24, s24, s42
	s_addc_u32 s25, s25, s43
	s_ashr_i32 s2, s39, 31
	s_ashr_i32 s67, s4, 31
	;; [unrolled: 1-line block ×3, first 2 shown]
	s_mul_hi_i32 s43, s38, s13
	s_mul_i32 s38, s38, s13
	s_mul_hi_i32 s35, s7, s12
	s_add_u32 s7, s34, s40
	s_mul_i32 s2, s38, s2
	s_mul_hi_u32 s44, s38, s39
	s_addc_u32 s42, s35, s41
	s_add_i32 s2, s44, s2
	s_mul_i32 s43, s43, s39
	s_mul_i32 s38, s38, s39
	s_add_i32 s2, s2, s43
	s_mul_i32 s43, s38, s67
	s_mul_hi_u32 s44, s38, s4
	s_add_i32 s43, s44, s43
	s_mul_i32 s2, s2, s4
	s_mul_i32 s38, s38, s4
	s_add_i32 s2, s43, s2
	s_mul_i32 s42, s38, s42
	s_mul_hi_u32 s43, s38, s7
	s_add_i32 s42, s43, s42
	s_mul_i32 s2, s2, s7
	s_load_dwordx2 s[44:45], s[0:1], 0x20
	s_add_i32 s43, s42, s2
	s_load_dword s2, s[0:1], 0x11c
	s_mul_i32 s42, s38, s7
	s_lshl_b64 s[42:43], s[42:43], 1
	s_add_u32 s26, s26, s42
	s_addc_u32 s27, s27, s43
	s_lshl_b64 s[34:35], s[34:35], 1
	s_waitcnt lgkmcnt(0)
	s_add_u32 s7, s44, s34
	s_addc_u32 s35, s45, s35
	s_lshl_b64 s[0:1], s[40:41], 1
	s_add_u32 s34, s7, s0
	s_addc_u32 s35, s35, s1
	s_cmp_lt_i32 s11, 1
	s_cselect_b64 s[40:41], -1, 0
	s_cmp_gt_i32 s14, 0
	s_cselect_b64 s[42:43], -1, 0
	s_cmp_gt_i32 s15, 0
	;; [unrolled: 2-line block ×3, first 2 shown]
	s_cselect_b64 s[46:47], -1, 0
	s_abs_i32 s77, s13
	v_cvt_f32_u32_e32 v1, s77
	s_abs_i32 s78, s4
	v_cvt_f32_u32_e32 v2, s78
	s_abs_i32 s80, s6
	v_rcp_iflag_f32_e32 v1, v1
	v_cvt_f32_u32_e32 v4, s80
	v_rcp_iflag_f32_e32 v2, v2
	s_and_b32 s79, s2, 0xffff
	v_mul_f32_e32 v1, 0x4f7ffffe, v1
	v_cvt_u32_f32_e32 v1, v1
	s_sub_i32 s2, 0, s77
	v_mul_f32_e32 v2, 0x4f7ffffe, v2
	v_cvt_u32_f32_e32 v2, v2
	v_mul_lo_u32 v3, s2, v1
	v_mul_hi_u32 v3, v1, v3
	v_add_u32_e32 v1, v1, v3
	v_rcp_iflag_f32_e32 v3, v4
	s_sub_i32 s2, 0, s78
	v_mul_lo_u32 v4, s2, v2
	v_mul_hi_u32 v4, v2, v4
	v_add_u32_e32 v18, v2, v4
	v_mul_f32_e32 v2, 0x4f7ffffe, v3
	s_abs_i32 s81, s39
	v_cvt_u32_f32_e32 v2, v2
	v_cvt_f32_u32_e32 v3, s81
	s_abs_i32 s83, s3
	v_cvt_f32_u32_e32 v5, s83
	s_sub_i32 s2, 0, s80
	v_mul_lo_u32 v4, s2, v2
	v_rcp_iflag_f32_e32 v3, v3
	v_mul_hi_u32 v4, v2, v4
	v_add_u32_e32 v19, v2, v4
	v_rcp_iflag_f32_e32 v2, v5
	v_mul_f32_e32 v3, 0x4f7ffffe, v3
	v_cvt_u32_f32_e32 v3, v3
	s_sub_i32 s2, 0, s81
	v_mul_f32_e32 v2, 0x4f7ffffe, v2
	v_cvt_u32_f32_e32 v2, v2
	v_mul_lo_u32 v4, s2, v3
	s_mov_b32 s68, s4
	s_mul_i32 s0, s5, s12
	v_mul_hi_u32 v4, v3, v4
	s_sub_i32 s2, 0, s83
	s_mul_i32 s4, s16, s15
	s_mul_i32 s69, s5, s13
	s_ashr_i32 s5, s14, 31
	v_add_u32_e32 v20, v3, v4
	v_mul_lo_u32 v3, s2, v2
	s_mul_i32 s2, s4, s0
	s_ashr_i32 s1, s0, 31
	s_ashr_i32 s82, s6, 31
	s_mul_hi_u32 s6, s2, s14
	s_mul_i32 s5, s2, s5
	s_ashr_i32 s84, s3, 31
	s_mul_hi_i32 s3, s16, s15
	s_add_i32 s5, s6, s5
	s_mul_hi_u32 s6, s4, s0
	s_mul_i32 s4, s4, s1
	s_add_i32 s4, s6, s4
	s_mul_i32 s3, s3, s0
	s_add_i32 s3, s4, s3
	v_cmp_neq_f64_e64 s[48:49], s[28:29], 1.0
	v_cmp_neq_f64_e64 s[50:51], s[30:31], 0
	s_mul_i32 s4, s3, s14
	s_or_b64 s[48:49], s[48:49], s[50:51]
	v_mul_hi_u32 v3, v2, v3
	s_add_i32 s5, s5, s4
	s_mul_i32 s4, s2, s14
	s_lshl_b64 s[50:51], s[2:3], 1
	s_mul_hi_i32 s3, s16, s0
	s_mul_i32 s2, s16, s0
	s_mov_b32 s65, s13
	s_mov_b32 s66, s39
	s_ashr_i32 s70, s8, 31
	s_mov_b32 s71, s8
	s_ashr_i32 s72, s9, 31
	;; [unrolled: 2-line block ×4, first 2 shown]
	s_mov_b64 s[12:13], 0
	v_add_u32_e32 v21, v2, v3
	s_lshl_b64 s[38:39], s[4:5], 1
	s_lshl_b64 s[52:53], s[2:3], 1
	;; [unrolled: 1-line block ×3, first 2 shown]
	s_sub_i32 s37, 0, s37
	v_mov_b32_e32 v3, 0
	s_mov_b32 s85, 0x7f800000
	s_branch .LBB114_3
.LBB114_2:                              ;   in Loop: Header=BB114_3 Depth=1
	v_add_u32_e32 v0, s79, v0
	v_cmp_le_i32_e32 vcc, s33, v0
	s_or_b64 s[12:13], vcc, s[12:13]
	s_andn2_b64 exec, exec, s[12:13]
	s_cbranch_execz .LBB114_23
.LBB114_3:                              ; =>This Loop Header: Depth=1
                                        ;     Child Loop BB114_8 Depth 2
                                        ;       Child Loop BB114_11 Depth 3
                                        ;         Child Loop BB114_14 Depth 4
                                        ;           Child Loop BB114_17 Depth 5
	v_sub_u32_e32 v5, 0, v0
	v_max_i32_e32 v5, v0, v5
	v_mul_hi_u32 v6, v5, v1
	v_mul_lo_u32 v7, v6, s77
	v_sub_u32_e32 v7, v5, v7
	v_add_u32_e32 v8, 1, v6
	v_cmp_le_u32_e32 vcc, s77, v7
	v_ashrrev_i32_e32 v2, 31, v0
	v_xor_b32_e32 v4, s64, v2
	v_cndmask_b32_e32 v6, v6, v8, vcc
	v_subrev_u32_e32 v8, s77, v7
	v_cndmask_b32_e32 v7, v7, v8, vcc
	v_add_u32_e32 v8, 1, v6
	v_cmp_le_u32_e32 vcc, s77, v7
	v_mul_hi_u32 v9, v5, v19
	v_mul_lo_u32 v10, v9, s80
	v_cndmask_b32_e32 v6, v6, v8, vcc
	v_xor_b32_e32 v6, v6, v4
	v_sub_u32_e32 v6, v6, v4
	v_sub_u32_e32 v7, 0, v6
	v_max_i32_e32 v7, v6, v7
	v_mul_hi_u32 v8, v7, v18
	v_mul_lo_u32 v8, v8, s78
	v_sub_u32_e32 v7, v7, v8
	v_subrev_u32_e32 v8, s78, v7
	v_cmp_le_u32_e32 vcc, s78, v7
	v_sub_u32_e32 v10, v5, v10
	v_add_u32_e32 v11, 1, v9
	v_cndmask_b32_e32 v7, v7, v8, vcc
	v_cmp_le_u32_e32 vcc, s80, v10
	v_xor_b32_e32 v8, s82, v2
	v_mul_lo_u32 v4, v6, s65
	v_cndmask_b32_e32 v9, v9, v11, vcc
	v_subrev_u32_e32 v11, s80, v10
	v_cndmask_b32_e32 v10, v10, v11, vcc
	v_add_u32_e32 v11, 1, v9
	v_cmp_le_u32_e32 vcc, s80, v10
	v_sub_u32_e32 v4, v0, v4
	v_cmp_le_u32_e64 s[0:1], s78, v7
	v_cndmask_b32_e32 v9, v9, v11, vcc
	v_xor_b32_e32 v9, v9, v8
	v_sub_u32_e32 v9, v9, v8
	v_sub_u32_e32 v8, 0, v9
	v_max_i32_e32 v8, v9, v8
	v_mul_hi_u32 v10, v8, v20
	v_mul_lo_u32 v10, v10, s81
	v_sub_u32_e32 v8, v8, v10
	v_subrev_u32_e32 v10, s81, v8
	v_cmp_le_u32_e32 vcc, s81, v8
	v_mul_hi_u32 v11, v5, v21
	s_mov_b64 s[58:59], -1
	v_cndmask_b32_e32 v10, v8, v10, vcc
	v_mul_lo_u32 v8, v11, s83
	v_sub_u32_e32 v5, v5, v8
	v_subrev_u32_e32 v8, s83, v5
	v_cmp_le_u32_e64 s[4:5], s83, v5
	v_cmp_le_u32_e64 s[2:3], s81, v10
	s_andn2_b64 vcc, exec, s[40:41]
	v_cndmask_b32_e64 v5, v5, v8, s[4:5]
	v_cmp_le_u32_e64 s[6:7], s83, v5
                                        ; implicit-def: $sgpr56_sgpr57
	s_cbranch_vccnz .LBB114_5
; %bb.4:                                ;   in Loop: Header=BB114_3 Depth=1
	v_ashrrev_i32_e32 v5, 31, v4
	s_mov_b64 s[58:59], 0
	s_mov_b64 s[56:57], 0
.LBB114_5:                              ;   in Loop: Header=BB114_3 Depth=1
	v_subrev_u32_e32 v8, s78, v7
	v_ashrrev_i32_e32 v6, 31, v6
	v_cndmask_b32_e64 v7, v7, v8, s[0:1]
	v_xor_b32_e32 v7, v7, v6
	v_sub_u32_e32 v8, v7, v6
	v_subrev_u32_e32 v7, s81, v10
	v_ashrrev_i32_e32 v6, 31, v9
	v_cndmask_b32_e64 v7, v10, v7, s[2:3]
	v_xor_b32_e32 v7, v7, v6
	v_sub_u32_e32 v10, v7, v6
	v_add_u32_e32 v6, 1, v11
	v_cndmask_b32_e64 v6, v11, v6, s[4:5]
	v_add_u32_e32 v7, 1, v6
	v_xor_b32_e32 v2, s84, v2
	v_cndmask_b32_e64 v6, v6, v7, s[6:7]
	v_xor_b32_e32 v6, v6, v2
	v_sub_u32_e32 v9, v6, v2
	s_andn2_b64 vcc, exec, s[58:59]
	v_mov_b64_e32 v[6:7], s[56:57]
	s_cbranch_vccnz .LBB114_19
; %bb.6:                                ;   in Loop: Header=BB114_3 Depth=1
	v_mul_lo_u32 v2, v8, s22
	v_ashrrev_i32_e32 v5, 31, v4
	v_mul_lo_u32 v11, v9, s20
	v_mul_lo_u32 v22, v10, s21
	v_lshl_add_u64 v[12:13], v[4:5], 1, s[24:25]
	v_add_u32_e32 v23, s37, v2
	s_mov_b32 s86, 0
	v_mov_b64_e32 v[6:7], 0
	s_mov_b64 s[2:3], s[34:35]
	s_branch .LBB114_8
.LBB114_7:                              ;   in Loop: Header=BB114_8 Depth=2
	s_add_i32 s86, s86, 1
	s_add_u32 s2, s2, s38
	s_addc_u32 s3, s3, s39
	s_cmp_eq_u32 s86, s11
	s_cbranch_scc1 .LBB114_19
.LBB114_8:                              ;   Parent Loop BB114_3 Depth=1
                                        ; =>  This Loop Header: Depth=2
                                        ;       Child Loop BB114_11 Depth 3
                                        ;         Child Loop BB114_14 Depth 4
                                        ;           Child Loop BB114_17 Depth 5
	s_andn2_b64 vcc, exec, s[42:43]
	s_cbranch_vccnz .LBB114_7
; %bb.9:                                ;   in Loop: Header=BB114_8 Depth=2
	s_mul_i32 s0, s86, s70
	s_mul_hi_u32 s1, s86, s71
	s_add_i32 s5, s1, s0
	s_mul_i32 s4, s86, s71
	s_mov_b32 s87, 0
	s_mov_b64 s[6:7], s[2:3]
	s_branch .LBB114_11
.LBB114_10:                             ;   in Loop: Header=BB114_11 Depth=3
	s_add_i32 s87, s87, 1
	s_add_u32 s6, s6, s50
	s_addc_u32 s7, s7, s51
	s_cmp_eq_u32 s87, s14
	s_cbranch_scc1 .LBB114_7
.LBB114_11:                             ;   Parent Loop BB114_3 Depth=1
                                        ;     Parent Loop BB114_8 Depth=2
                                        ; =>    This Loop Header: Depth=3
                                        ;         Child Loop BB114_14 Depth 4
                                        ;           Child Loop BB114_17 Depth 5
	s_andn2_b64 vcc, exec, s[44:45]
	s_cbranch_vccnz .LBB114_10
; %bb.12:                               ;   in Loop: Header=BB114_11 Depth=3
	s_mul_i32 s0, s87, s17
	s_sub_i32 s0, s0, s23
	v_add_u32_e32 v2, s0, v11
	v_cmp_gt_i32_e32 vcc, 0, v2
	v_cmp_le_i32_e64 s[0:1], s8, v2
	v_lshl_add_u64 v[14:15], s[4:5], 0, v[2:3]
	s_or_b64 s[56:57], vcc, s[0:1]
	v_mul_lo_u32 v2, v15, s73
	v_mul_lo_u32 v16, v14, s72
	v_mad_u64_u32 v[14:15], s[0:1], v14, s73, 0
	s_mov_b32 s88, 0
	v_add3_u32 v15, v15, v16, v2
	s_mov_b64 s[58:59], s[6:7]
	s_branch .LBB114_14
.LBB114_13:                             ;   in Loop: Header=BB114_14 Depth=4
	s_add_i32 s88, s88, 1
	s_add_u32 s58, s58, s52
	s_addc_u32 s59, s59, s53
	s_cmp_eq_u32 s88, s15
	s_cbranch_scc1 .LBB114_10
.LBB114_14:                             ;   Parent Loop BB114_3 Depth=1
                                        ;     Parent Loop BB114_8 Depth=2
                                        ;       Parent Loop BB114_11 Depth=3
                                        ; =>      This Loop Header: Depth=4
                                        ;           Child Loop BB114_17 Depth 5
	s_andn2_b64 vcc, exec, s[46:47]
	s_cbranch_vccnz .LBB114_13
; %bb.15:                               ;   in Loop: Header=BB114_14 Depth=4
	s_mul_i32 s0, s88, s18
	s_sub_i32 s0, s0, s36
	v_add_u32_e32 v2, s0, v22
	v_cmp_gt_i32_e32 vcc, 0, v2
	v_cmp_le_i32_e64 s[0:1], s9, v2
	s_or_b64 s[0:1], vcc, s[0:1]
	v_lshl_add_u64 v[16:17], v[14:15], 0, v[2:3]
	s_or_b64 s[60:61], s[56:57], s[0:1]
	v_mul_lo_u32 v2, v17, s75
	v_mul_lo_u32 v24, v16, s74
	v_mad_u64_u32 v[16:17], s[0:1], v16, s75, 0
	v_add3_u32 v17, v17, v24, v2
	v_mov_b32_e32 v2, v23
	s_mov_b64 s[62:63], s[58:59]
	s_mov_b32 s89, s16
	s_branch .LBB114_17
.LBB114_16:                             ;   in Loop: Header=BB114_17 Depth=5
	s_or_b64 exec, exec, s[0:1]
	s_add_i32 s89, s89, -1
	s_add_u32 s62, s62, s54
	s_addc_u32 s63, s63, s55
	s_cmp_eq_u32 s89, 0
	v_add_u32_e32 v2, s19, v2
	s_cbranch_scc1 .LBB114_13
.LBB114_17:                             ;   Parent Loop BB114_3 Depth=1
                                        ;     Parent Loop BB114_8 Depth=2
                                        ;       Parent Loop BB114_11 Depth=3
                                        ;         Parent Loop BB114_14 Depth=4
                                        ; =>        This Inner Loop Header: Depth=5
	v_cmp_gt_i32_e32 vcc, 0, v2
	v_cmp_le_i32_e64 s[0:1], s10, v2
	s_or_b64 s[0:1], vcc, s[0:1]
	s_or_b64 s[0:1], s[60:61], s[0:1]
	s_xor_b64 s[90:91], s[0:1], -1
	s_and_saveexec_b64 s[0:1], s[90:91]
	s_cbranch_execz .LBB114_16
; %bb.18:                               ;   in Loop: Header=BB114_17 Depth=5
	v_lshl_add_u64 v[24:25], v[16:17], 0, v[2:3]
	v_mul_lo_u32 v26, v25, s69
	v_mul_lo_u32 v27, v24, s76
	v_mad_u64_u32 v[24:25], s[90:91], v24, s69, 0
	v_add3_u32 v25, v25, v27, v26
	v_lshl_add_u64 v[24:25], v[24:25], 1, v[12:13]
	global_load_ushort v26, v3, s[62:63]
	s_nop 0
	global_load_ushort v24, v[24:25], off
	s_waitcnt vmcnt(1)
	v_lshlrev_b32_e32 v26, 16, v26
	s_waitcnt vmcnt(0)
	v_lshlrev_b32_e32 v24, 16, v24
	v_cvt_f64_f32_e32 v[24:25], v24
	v_cvt_f64_f32_e32 v[26:27], v26
	v_fmac_f64_e32 v[6:7], v[24:25], v[26:27]
	s_branch .LBB114_16
.LBB114_19:                             ;   in Loop: Header=BB114_3 Depth=1
	v_ashrrev_i32_e32 v11, 31, v10
	v_mad_i64_i32 v[10:11], s[0:1], v9, s66, v[10:11]
	v_ashrrev_i32_e32 v9, 31, v8
	v_mad_u64_u32 v[8:9], s[0:1], v10, s68, v[8:9]
	v_mul_lo_u32 v2, v10, s67
	v_mul_lo_u32 v10, v11, s68
	v_add3_u32 v2, v10, v9, v2
	v_mul_lo_u32 v9, v8, s64
	v_mul_lo_u32 v2, v2, s65
	v_mad_u64_u32 v[4:5], s[0:1], v8, s65, v[4:5]
	v_add3_u32 v5, v2, v5, v9
	s_mov_b64 s[0:1], -1
	s_and_b64 vcc, exec, s[48:49]
	s_cbranch_vccz .LBB114_21
; %bb.20:                               ;   in Loop: Header=BB114_3 Depth=1
	v_lshl_add_u64 v[8:9], v[4:5], 1, s[26:27]
	global_load_ushort v2, v[8:9], off
	s_waitcnt vmcnt(0)
	v_lshlrev_b32_e32 v2, 16, v2
	v_cvt_f64_f32_e32 v[10:11], v2
	v_mul_f64 v[10:11], v[10:11], s[30:31]
	v_fmac_f64_e32 v[10:11], s[28:29], v[6:7]
	v_cvt_f32_f64_e32 v2, v[10:11]
	v_and_b32_e32 v10, 0x7f800000, v2
	v_cmp_ne_u32_sdwa s[0:1], v2, v3 src0_sel:WORD_0 src1_sel:DWORD
	v_cmp_eq_u32_e32 vcc, s85, v10
	s_and_b64 s[0:1], vcc, s[0:1]
	v_cndmask_b32_e64 v10, 0, 1, s[0:1]
	v_or_b32_sdwa v2, v2, v10 dst_sel:DWORD dst_unused:UNUSED_PAD src0_sel:WORD_1 src1_sel:DWORD
	global_store_short v[8:9], v2, off
	s_mov_b64 s[0:1], 0
.LBB114_21:                             ;   in Loop: Header=BB114_3 Depth=1
	s_andn2_b64 vcc, exec, s[0:1]
	s_cbranch_vccnz .LBB114_2
; %bb.22:                               ;   in Loop: Header=BB114_3 Depth=1
	v_cvt_f32_f64_e32 v2, v[6:7]
	v_and_b32_e32 v6, 0x7f800000, v2
	v_cmp_eq_u32_e32 vcc, s85, v6
	v_cmp_ne_u32_sdwa s[0:1], v2, v3 src0_sel:WORD_0 src1_sel:DWORD
	s_and_b64 s[0:1], vcc, s[0:1]
	v_lshl_add_u64 v[4:5], v[4:5], 1, s[26:27]
	v_cndmask_b32_e64 v6, 0, 1, s[0:1]
	v_or_b32_sdwa v2, v2, v6 dst_sel:DWORD dst_unused:UNUSED_PAD src0_sel:WORD_1 src1_sel:DWORD
	global_store_short v[4:5], v2, off
	s_branch .LBB114_2
.LBB114_23:
	s_endpgm
	.section	.rodata,"a",@progbits
	.p2align	6, 0x0
	.amdhsa_kernel naive_conv_ab_packed_wrw_ndhwc_ushort_double_ushort_0
		.amdhsa_group_segment_fixed_size 0
		.amdhsa_private_segment_fixed_size 0
		.amdhsa_kernarg_size 528
		.amdhsa_user_sgpr_count 2
		.amdhsa_user_sgpr_dispatch_ptr 0
		.amdhsa_user_sgpr_queue_ptr 0
		.amdhsa_user_sgpr_kernarg_segment_ptr 1
		.amdhsa_user_sgpr_dispatch_id 0
		.amdhsa_user_sgpr_kernarg_preload_length 0
		.amdhsa_user_sgpr_kernarg_preload_offset 0
		.amdhsa_user_sgpr_private_segment_size 0
		.amdhsa_uses_dynamic_stack 0
		.amdhsa_enable_private_segment 0
		.amdhsa_system_sgpr_workgroup_id_x 1
		.amdhsa_system_sgpr_workgroup_id_y 0
		.amdhsa_system_sgpr_workgroup_id_z 0
		.amdhsa_system_sgpr_workgroup_info 0
		.amdhsa_system_vgpr_workitem_id 0
		.amdhsa_next_free_vgpr 28
		.amdhsa_next_free_sgpr 92
		.amdhsa_accum_offset 28
		.amdhsa_reserve_vcc 1
		.amdhsa_float_round_mode_32 0
		.amdhsa_float_round_mode_16_64 0
		.amdhsa_float_denorm_mode_32 3
		.amdhsa_float_denorm_mode_16_64 3
		.amdhsa_dx10_clamp 1
		.amdhsa_ieee_mode 1
		.amdhsa_fp16_overflow 0
		.amdhsa_tg_split 0
		.amdhsa_exception_fp_ieee_invalid_op 0
		.amdhsa_exception_fp_denorm_src 0
		.amdhsa_exception_fp_ieee_div_zero 0
		.amdhsa_exception_fp_ieee_overflow 0
		.amdhsa_exception_fp_ieee_underflow 0
		.amdhsa_exception_fp_ieee_inexact 0
		.amdhsa_exception_int_div_zero 0
	.end_amdhsa_kernel
	.text
.Lfunc_end114:
	.size	naive_conv_ab_packed_wrw_ndhwc_ushort_double_ushort_0, .Lfunc_end114-naive_conv_ab_packed_wrw_ndhwc_ushort_double_ushort_0
                                        ; -- End function
	.section	.AMDGPU.csdata,"",@progbits
; Kernel info:
; codeLenInByte = 2036
; NumSgprs: 98
; NumVgprs: 28
; NumAgprs: 0
; TotalNumVgprs: 28
; ScratchSize: 0
; MemoryBound: 0
; FloatMode: 240
; IeeeMode: 1
; LDSByteSize: 0 bytes/workgroup (compile time only)
; SGPRBlocks: 12
; VGPRBlocks: 3
; NumSGPRsForWavesPerEU: 98
; NumVGPRsForWavesPerEU: 28
; AccumOffset: 28
; Occupancy: 8
; WaveLimiterHint : 0
; COMPUTE_PGM_RSRC2:SCRATCH_EN: 0
; COMPUTE_PGM_RSRC2:USER_SGPR: 2
; COMPUTE_PGM_RSRC2:TRAP_HANDLER: 0
; COMPUTE_PGM_RSRC2:TGID_X_EN: 1
; COMPUTE_PGM_RSRC2:TGID_Y_EN: 0
; COMPUTE_PGM_RSRC2:TGID_Z_EN: 0
; COMPUTE_PGM_RSRC2:TIDIG_COMP_CNT: 0
; COMPUTE_PGM_RSRC3_GFX90A:ACCUM_OFFSET: 6
; COMPUTE_PGM_RSRC3_GFX90A:TG_SPLIT: 0
	.text
	.protected	naive_conv_ab_nonpacked_wrw_ndhwc_ushort_double_ushort_0 ; -- Begin function naive_conv_ab_nonpacked_wrw_ndhwc_ushort_double_ushort_0
	.globl	naive_conv_ab_nonpacked_wrw_ndhwc_ushort_double_ushort_0
	.p2align	8
	.type	naive_conv_ab_nonpacked_wrw_ndhwc_ushort_double_ushort_0,@function
naive_conv_ab_nonpacked_wrw_ndhwc_ushort_double_ushort_0: ; @naive_conv_ab_nonpacked_wrw_ndhwc_ushort_double_ushort_0
; %bb.0:
	s_load_dwordx16 s[8:23], s[0:1], 0xb8
	s_load_dword s6, s[0:1], 0x108
	s_load_dwordx4 s[68:71], s[0:1], 0xf8
	s_waitcnt lgkmcnt(0)
	s_abs_i32 s3, s12
	v_cvt_f32_u32_e32 v1, s3
	s_mul_i32 s5, s6, s13
	s_mul_i32 s4, s5, s71
	;; [unrolled: 1-line block ×3, first 2 shown]
	v_rcp_iflag_f32_e32 v1, v1
	v_cmp_gt_i32_e32 vcc, s33, v0
	v_mul_f32_e32 v1, 0x4f7ffffe, v1
	v_cvt_u32_f32_e32 v1, v1
	s_nop 0
	v_readfirstlane_b32 s7, v1
	s_and_saveexec_b64 s[24:25], vcc
	s_cbranch_execz .LBB115_23
; %bb.1:
	s_sub_i32 s36, 0, s3
	s_mul_i32 s36, s36, s7
	s_mul_hi_u32 s36, s7, s36
	s_abs_i32 s70, s2
	s_add_i32 s7, s7, s36
	s_ashr_i32 s34, s2, 31
	s_ashr_i32 s35, s12, 31
	s_mul_hi_u32 s7, s70, s7
	s_xor_b32 s34, s34, s35
	s_mul_i32 s35, s7, s3
	s_sub_i32 s35, s70, s35
	s_add_i32 s70, s7, 1
	s_sub_i32 s72, s35, s3
	s_cmp_ge_u32 s35, s3
	s_cselect_b32 s7, s70, s7
	s_cselect_b32 s35, s72, s35
	s_add_i32 s70, s7, 1
	s_cmp_ge_u32 s35, s3
	s_load_dwordx16 s[36:51], s[0:1], 0x28
	s_load_dwordx16 s[52:67], s[0:1], 0x68
	s_cselect_b32 s3, s70, s7
	s_xor_b32 s3, s3, s34
	s_sub_i32 s7, s3, s34
	s_load_dwordx8 s[24:31], s[0:1], 0x0
	s_mul_i32 s3, s7, s12
	s_ashr_i32 s70, s7, 31
	s_sub_i32 s12, s2, s3
	s_waitcnt lgkmcnt(0)
	s_mul_i32 s2, s38, s70
	s_mul_hi_u32 s3, s38, s7
	s_add_i32 s2, s3, s2
	s_mul_i32 s3, s39, s7
	s_add_i32 s3, s2, s3
	s_mul_i32 s2, s38, s7
	s_lshl_b64 s[2:3], s[2:3], 1
	s_add_u32 s24, s24, s2
	s_addc_u32 s25, s25, s3
	s_mul_i32 s2, s58, s70
	s_mul_hi_u32 s3, s58, s7
	s_ashr_i32 s38, s12, 31
	s_add_i32 s2, s3, s2
	s_mul_i32 s3, s59, s7
	s_mul_i32 s34, s56, s38
	s_mul_hi_u32 s35, s56, s12
	s_add_i32 s3, s2, s3
	s_mul_i32 s2, s58, s7
	s_add_i32 s34, s35, s34
	s_mul_i32 s35, s57, s12
	s_add_i32 s35, s34, s35
	s_lshl_b64 s[2:3], s[2:3], 1
	s_mul_i32 s34, s56, s12
	s_add_u32 s26, s26, s2
	s_addc_u32 s27, s27, s3
	s_lshl_b64 s[2:3], s[34:35], 1
	s_add_u32 s26, s26, s2
	s_addc_u32 s27, s27, s3
	s_load_dwordx2 s[2:3], s[0:1], 0x20
	s_mul_i32 s34, s62, s70
	s_mul_hi_u32 s35, s62, s7
	s_add_i32 s34, s35, s34
	s_mul_i32 s35, s63, s7
	s_add_i32 s35, s34, s35
	s_mul_i32 s34, s62, s7
	s_mul_i32 s7, s60, s38
	s_mul_hi_u32 s38, s60, s12
	s_add_i32 s7, s38, s7
	s_mul_i32 s38, s61, s12
	s_add_i32 s39, s7, s38
	s_lshl_b64 s[34:35], s[34:35], 1
	s_mul_i32 s38, s60, s12
	s_waitcnt lgkmcnt(0)
	s_add_u32 s7, s2, s34
	s_addc_u32 s12, s3, s35
	s_lshl_b64 s[2:3], s[38:39], 1
	s_add_u32 s34, s7, s2
	s_addc_u32 s35, s12, s3
	s_cmp_lt_i32 s11, 1
	s_cselect_b64 s[38:39], -1, 0
	s_cmp_gt_i32 s14, 0
	s_cselect_b64 s[56:57], -1, 0
	s_cmp_gt_i32 s15, 0
	;; [unrolled: 2-line block ×3, first 2 shown]
	s_cselect_b64 s[60:61], -1, 0
	s_abs_i32 s12, s13
	v_cvt_f32_u32_e32 v1, s12
	s_abs_i32 s82, s6
	v_cvt_f32_u32_e32 v3, s82
	;; [unrolled: 2-line block ×4, first 2 shown]
	s_abs_i32 s85, s4
	v_rcp_iflag_f32_e32 v1, v1
	v_cvt_f32_u32_e32 v9, s85
	v_rcp_iflag_f32_e32 v3, v3
	v_cmp_neq_f64_e64 s[2:3], s[28:29], 1.0
	v_cmp_neq_f64_e64 s[62:63], s[30:31], 0
	v_rcp_iflag_f32_e32 v5, v5
	s_or_b64 s[62:63], s[2:3], s[62:63]
	s_load_dword s7, s[0:1], 0x11c
	s_nop 0
	s_load_dwordx4 s[0:3], s[0:1], 0xa8
	v_rcp_iflag_f32_e32 v7, v7
	v_mul_f32_e32 v1, 0x4f7ffffe, v1
	v_rcp_iflag_f32_e32 v9, v9
	v_cvt_u32_f32_e32 v1, v1
	v_mul_f32_e32 v3, 0x4f7ffffe, v3
	v_cvt_u32_f32_e32 v3, v3
	v_mul_f32_e32 v5, 0x4f7ffffe, v5
	;; [unrolled: 2-line block ×3, first 2 shown]
	s_waitcnt lgkmcnt(0)
	s_lshl_b64 s[74:75], s[0:1], 1
	s_sub_i32 s0, 0, s12
	v_cvt_u32_f32_e32 v7, v7
	v_mul_f32_e32 v9, 0x4f7ffffe, v9
	v_mul_lo_u32 v2, s0, v1
	s_sub_i32 s0, 0, s82
	v_cvt_u32_f32_e32 v9, v9
	v_mul_lo_u32 v4, s0, v3
	s_sub_i32 s0, 0, s83
	v_mul_hi_u32 v2, v1, v2
	v_mul_lo_u32 v6, s0, v5
	s_sub_i32 s0, 0, s84
	v_add_u32_e32 v1, v1, v2
	v_mul_hi_u32 v2, v3, v4
	v_mul_lo_u32 v8, s0, v7
	s_sub_i32 s0, 0, s85
	v_add_u32_e32 v3, v3, v2
	v_mul_hi_u32 v2, v5, v6
	v_mul_lo_u32 v10, s0, v9
	v_add_u32_e32 v16, v5, v2
	v_mul_hi_u32 v2, v7, v8
	v_add_u32_e32 v17, v7, v2
	v_mul_hi_u32 v2, v9, v10
	s_lshl_b64 s[72:73], s[2:3], 1
	s_and_b32 s86, s7, 0xffff
	s_ashr_i32 s87, s5, 31
	s_ashr_i32 s88, s4, 31
	v_add_u32_e32 v18, v9, v2
	v_mov_b32_e32 v19, 0
	s_ashr_i32 s89, s13, 31
	s_sub_i32 s69, 0, s69
	s_mov_b32 s90, 0x7f800000
	s_mov_b64 s[70:71], 0
	s_lshl_b64 s[66:67], s[66:67], 1
	s_lshl_b64 s[64:65], s[64:65], 1
	s_branch .LBB115_3
.LBB115_2:                              ;   in Loop: Header=BB115_3 Depth=1
	v_add_u32_e32 v0, s86, v0
	v_cmp_le_i32_e32 vcc, s33, v0
	s_or_b64 s[70:71], vcc, s[70:71]
	s_andn2_b64 exec, exec, s[70:71]
	s_cbranch_execz .LBB115_23
.LBB115_3:                              ; =>This Loop Header: Depth=1
                                        ;     Child Loop BB115_8 Depth 2
                                        ;       Child Loop BB115_11 Depth 3
                                        ;         Child Loop BB115_14 Depth 4
                                        ;           Child Loop BB115_17 Depth 5
	v_sub_u32_e32 v4, 0, v0
	v_max_i32_e32 v4, v0, v4
	v_mul_hi_u32 v5, v4, v1
	v_mul_lo_u32 v7, v5, s12
	v_sub_u32_e32 v7, v4, v7
	v_add_u32_e32 v8, 1, v5
	v_cmp_le_u32_e32 vcc, s12, v7
	v_ashrrev_i32_e32 v6, 31, v0
	v_xor_b32_e32 v2, s89, v6
	v_cndmask_b32_e32 v5, v5, v8, vcc
	v_subrev_u32_e32 v8, s12, v7
	v_cndmask_b32_e32 v7, v7, v8, vcc
	v_add_u32_e32 v8, 1, v5
	v_cmp_le_u32_e32 vcc, s12, v7
	v_mul_hi_u32 v9, v4, v16
	v_mul_lo_u32 v10, v9, s83
	v_cndmask_b32_e32 v5, v5, v8, vcc
	v_xor_b32_e32 v5, v5, v2
	v_sub_u32_e32 v7, v5, v2
	v_sub_u32_e32 v5, 0, v7
	v_max_i32_e32 v5, v7, v5
	v_mul_hi_u32 v8, v5, v3
	v_mul_lo_u32 v8, v8, s82
	v_sub_u32_e32 v5, v5, v8
	v_subrev_u32_e32 v8, s82, v5
	v_cmp_le_u32_e32 vcc, s82, v5
	v_sub_u32_e32 v10, v4, v10
	v_add_u32_e32 v11, 1, v9
	v_cndmask_b32_e32 v8, v5, v8, vcc
	v_cmp_le_u32_e32 vcc, s83, v10
	v_xor_b32_e32 v5, s87, v6
	v_mul_lo_u32 v2, v7, s13
	v_cndmask_b32_e32 v9, v9, v11, vcc
	v_subrev_u32_e32 v11, s83, v10
	v_cndmask_b32_e32 v10, v10, v11, vcc
	v_add_u32_e32 v11, 1, v9
	v_cmp_le_u32_e32 vcc, s83, v10
	v_sub_u32_e32 v2, v0, v2
	v_cmp_le_u32_e64 s[0:1], s82, v8
	v_cndmask_b32_e32 v9, v9, v11, vcc
	v_xor_b32_e32 v9, v9, v5
	v_sub_u32_e32 v9, v9, v5
	v_sub_u32_e32 v5, 0, v9
	v_max_i32_e32 v5, v9, v5
	v_mul_hi_u32 v10, v5, v17
	v_mul_lo_u32 v10, v10, s84
	v_sub_u32_e32 v5, v5, v10
	v_subrev_u32_e32 v10, s84, v5
	v_cmp_le_u32_e32 vcc, s84, v5
	s_mov_b64 s[78:79], -1
                                        ; implicit-def: $sgpr76_sgpr77
	s_nop 0
	v_cndmask_b32_e32 v11, v5, v10, vcc
	v_mul_hi_u32 v10, v4, v18
	v_mul_lo_u32 v5, v10, s85
	v_sub_u32_e32 v4, v4, v5
	v_subrev_u32_e32 v5, s85, v4
	v_cmp_le_u32_e64 s[4:5], s85, v4
	v_cmp_le_u32_e64 s[2:3], s84, v11
	s_andn2_b64 vcc, exec, s[38:39]
	v_cndmask_b32_e64 v4, v4, v5, s[4:5]
	v_cmp_le_u32_e64 s[6:7], s85, v4
                                        ; implicit-def: $vgpr4_vgpr5
	s_cbranch_vccnz .LBB115_5
; %bb.4:                                ;   in Loop: Header=BB115_3 Depth=1
	v_ashrrev_i32_e32 v5, 31, v2
	s_mov_b64 s[78:79], 0
	s_mov_b64 s[76:77], 0
.LBB115_5:                              ;   in Loop: Header=BB115_3 Depth=1
	v_ashrrev_i32_e32 v4, 31, v7
	v_subrev_u32_e32 v7, s82, v8
	v_cndmask_b32_e64 v7, v8, v7, s[0:1]
	v_xor_b32_e32 v7, v7, v4
	v_subrev_u32_e32 v8, s84, v11
	v_sub_u32_e32 v4, v7, v4
	v_ashrrev_i32_e32 v7, 31, v9
	v_cndmask_b32_e64 v8, v11, v8, s[2:3]
	v_xor_b32_e32 v8, v8, v7
	v_sub_u32_e32 v20, v8, v7
	v_add_u32_e32 v7, 1, v10
	v_cndmask_b32_e64 v7, v10, v7, s[4:5]
	v_add_u32_e32 v8, 1, v7
	v_xor_b32_e32 v6, s88, v6
	v_cndmask_b32_e64 v7, v7, v8, s[6:7]
	v_xor_b32_e32 v7, v7, v6
	v_sub_u32_e32 v21, v7, v6
	s_andn2_b64 vcc, exec, s[78:79]
	v_mov_b64_e32 v[6:7], s[76:77]
	s_cbranch_vccnz .LBB115_19
; %bb.6:                                ;   in Loop: Header=BB115_3 Depth=1
	v_ashrrev_i32_e32 v5, 31, v2
	v_mul_lo_u32 v8, s37, v2
	v_mul_lo_u32 v9, s36, v5
	v_mad_u64_u32 v[6:7], s[0:1], s36, v2, 0
	v_mul_lo_u32 v10, v4, s22
	v_add3_u32 v7, v7, v9, v8
	v_mul_lo_u32 v22, v21, s20
	v_mul_lo_u32 v23, v20, s21
	v_lshl_add_u64 v[8:9], v[6:7], 1, s[24:25]
	v_add_u32_e32 v24, s69, v10
	s_mov_b32 s91, 0
	v_mov_b64_e32 v[6:7], 0
	s_mov_b64 s[2:3], s[34:35]
	s_branch .LBB115_8
.LBB115_7:                              ;   in Loop: Header=BB115_8 Depth=2
	s_add_i32 s91, s91, 1
	s_add_u32 s2, s2, s72
	s_addc_u32 s3, s3, s73
	s_cmp_eq_u32 s91, s11
	s_cbranch_scc1 .LBB115_19
.LBB115_8:                              ;   Parent Loop BB115_3 Depth=1
                                        ; =>  This Loop Header: Depth=2
                                        ;       Child Loop BB115_11 Depth 3
                                        ;         Child Loop BB115_14 Depth 4
                                        ;           Child Loop BB115_17 Depth 5
	s_andn2_b64 vcc, exec, s[56:57]
	s_cbranch_vccnz .LBB115_7
; %bb.9:                                ;   in Loop: Header=BB115_8 Depth=2
	s_mul_i32 s0, s47, s91
	s_mul_hi_u32 s1, s46, s91
	s_add_i32 s1, s1, s0
	s_mul_i32 s0, s46, s91
	v_lshl_add_u64 v[10:11], s[0:1], 1, v[8:9]
	s_mov_b32 s92, 0
	s_mov_b64 s[4:5], s[2:3]
	s_branch .LBB115_11
.LBB115_10:                             ;   in Loop: Header=BB115_11 Depth=3
	s_add_i32 s92, s92, 1
	s_add_u32 s4, s4, s74
	s_addc_u32 s5, s5, s75
	s_cmp_eq_u32 s92, s14
	s_cbranch_scc1 .LBB115_7
.LBB115_11:                             ;   Parent Loop BB115_3 Depth=1
                                        ;     Parent Loop BB115_8 Depth=2
                                        ; =>    This Loop Header: Depth=3
                                        ;         Child Loop BB115_14 Depth 4
                                        ;           Child Loop BB115_17 Depth 5
	s_andn2_b64 vcc, exec, s[58:59]
	s_cbranch_vccnz .LBB115_10
; %bb.12:                               ;   in Loop: Header=BB115_11 Depth=3
	s_mul_i32 s0, s92, s17
	s_sub_i32 s0, s0, s23
	v_add_u32_e32 v15, s0, v22
	v_cmp_gt_i32_e32 vcc, 0, v15
	v_cmp_le_i32_e64 s[0:1], s8, v15
	s_or_b64 s[6:7], vcc, s[0:1]
	v_mad_u64_u32 v[12:13], s[0:1], s44, v15, 0
	v_mov_b32_e32 v14, v13
	v_mad_u64_u32 v[14:15], s[0:1], s45, v15, v[14:15]
	v_mov_b32_e32 v13, v14
	s_mov_b32 s93, 0
	v_lshl_add_u64 v[12:13], v[12:13], 1, v[10:11]
	s_mov_b64 s[76:77], s[4:5]
	s_branch .LBB115_14
.LBB115_13:                             ;   in Loop: Header=BB115_14 Depth=4
	s_add_i32 s93, s93, 1
	s_add_u32 s76, s76, s66
	s_addc_u32 s77, s77, s67
	s_cmp_eq_u32 s93, s15
	s_cbranch_scc1 .LBB115_10
.LBB115_14:                             ;   Parent Loop BB115_3 Depth=1
                                        ;     Parent Loop BB115_8 Depth=2
                                        ;       Parent Loop BB115_11 Depth=3
                                        ; =>      This Loop Header: Depth=4
                                        ;           Child Loop BB115_17 Depth 5
	s_andn2_b64 vcc, exec, s[60:61]
	s_cbranch_vccnz .LBB115_13
; %bb.15:                               ;   in Loop: Header=BB115_14 Depth=4
	s_mul_i32 s0, s93, s18
	s_sub_i32 s0, s0, s68
	v_add_u32_e32 v25, s0, v23
	v_cmp_gt_i32_e32 vcc, 0, v25
	v_cmp_le_i32_e64 s[0:1], s9, v25
	s_or_b64 s[0:1], vcc, s[0:1]
	s_or_b64 s[78:79], s[6:7], s[0:1]
	v_mad_u64_u32 v[14:15], s[0:1], s42, v25, 0
	v_mov_b32_e32 v26, v15
	v_mad_u64_u32 v[26:27], s[0:1], s43, v25, v[26:27]
	v_mov_b32_e32 v15, v26
	v_lshl_add_u64 v[14:15], v[14:15], 1, v[12:13]
	v_mov_b32_e32 v25, v24
	s_mov_b64 s[80:81], s[76:77]
	s_mov_b32 s94, s16
	s_branch .LBB115_17
.LBB115_16:                             ;   in Loop: Header=BB115_17 Depth=5
	s_or_b64 exec, exec, s[0:1]
	s_add_i32 s94, s94, -1
	s_add_u32 s80, s80, s64
	s_addc_u32 s81, s81, s65
	s_cmp_eq_u32 s94, 0
	v_add_u32_e32 v25, s19, v25
	s_cbranch_scc1 .LBB115_13
.LBB115_17:                             ;   Parent Loop BB115_3 Depth=1
                                        ;     Parent Loop BB115_8 Depth=2
                                        ;       Parent Loop BB115_11 Depth=3
                                        ;         Parent Loop BB115_14 Depth=4
                                        ; =>        This Inner Loop Header: Depth=5
	v_cmp_gt_i32_e32 vcc, 0, v25
	v_cmp_le_i32_e64 s[0:1], s10, v25
	s_or_b64 s[0:1], vcc, s[0:1]
	s_or_b64 s[0:1], s[78:79], s[0:1]
	s_xor_b64 s[96:97], s[0:1], -1
	s_and_saveexec_b64 s[0:1], s[96:97]
	s_cbranch_execz .LBB115_16
; %bb.18:                               ;   in Loop: Header=BB115_17 Depth=5
	v_mad_u64_u32 v[26:27], s[96:97], s40, v25, 0
	v_mov_b32_e32 v28, v27
	v_mad_u64_u32 v[28:29], s[96:97], s41, v25, v[28:29]
	v_mov_b32_e32 v27, v28
	v_lshl_add_u64 v[26:27], v[26:27], 1, v[14:15]
	global_load_ushort v28, v19, s[80:81]
	s_nop 0
	global_load_ushort v26, v[26:27], off
	s_waitcnt vmcnt(1)
	v_lshlrev_b32_e32 v28, 16, v28
	s_waitcnt vmcnt(0)
	v_lshlrev_b32_e32 v26, 16, v26
	v_cvt_f64_f32_e32 v[26:27], v26
	v_cvt_f64_f32_e32 v[28:29], v28
	v_fmac_f64_e32 v[6:7], v[26:27], v[28:29]
	s_branch .LBB115_16
.LBB115_19:                             ;   in Loop: Header=BB115_3 Depth=1
	v_ashrrev_i32_e32 v8, 31, v4
	v_mul_lo_u32 v12, s51, v4
	v_mul_lo_u32 v13, s50, v8
	v_mad_u64_u32 v[8:9], s[0:1], s50, v4, 0
	v_ashrrev_i32_e32 v11, 31, v20
	v_add3_u32 v9, v9, v13, v12
	v_mad_u64_u32 v[8:9], s[0:1], s52, v20, v[8:9]
	v_mul_lo_u32 v4, s53, v20
	v_mul_lo_u32 v11, s52, v11
	v_ashrrev_i32_e32 v10, 31, v21
	v_add3_u32 v9, v4, v9, v11
	v_mad_u64_u32 v[8:9], s[0:1], s54, v21, v[8:9]
	v_mul_lo_u32 v4, s55, v21
	v_mul_lo_u32 v10, s54, v10
	v_add3_u32 v9, v4, v9, v10
	v_mad_u64_u32 v[8:9], s[0:1], v2, s48, v[8:9]
	v_mul_lo_u32 v2, v2, s49
	v_mul_lo_u32 v4, v5, s48
	v_add3_u32 v9, v4, v9, v2
	s_mov_b64 s[0:1], -1
	s_and_b64 vcc, exec, s[62:63]
	s_cbranch_vccz .LBB115_21
; %bb.20:                               ;   in Loop: Header=BB115_3 Depth=1
	v_lshl_add_u64 v[4:5], v[8:9], 1, s[26:27]
	global_load_ushort v2, v[4:5], off
	s_waitcnt vmcnt(0)
	v_lshlrev_b32_e32 v2, 16, v2
	v_cvt_f64_f32_e32 v[10:11], v2
	v_mul_f64 v[10:11], v[10:11], s[30:31]
	v_fmac_f64_e32 v[10:11], s[28:29], v[6:7]
	v_cvt_f32_f64_e32 v2, v[10:11]
	v_and_b32_e32 v10, 0x7f800000, v2
	v_cmp_ne_u32_sdwa s[0:1], v2, v19 src0_sel:WORD_0 src1_sel:DWORD
	v_cmp_eq_u32_e32 vcc, s90, v10
	s_and_b64 s[0:1], vcc, s[0:1]
	v_cndmask_b32_e64 v10, 0, 1, s[0:1]
	v_or_b32_sdwa v2, v2, v10 dst_sel:DWORD dst_unused:UNUSED_PAD src0_sel:WORD_1 src1_sel:DWORD
	global_store_short v[4:5], v2, off
	s_mov_b64 s[0:1], 0
.LBB115_21:                             ;   in Loop: Header=BB115_3 Depth=1
	s_andn2_b64 vcc, exec, s[0:1]
	s_cbranch_vccnz .LBB115_2
; %bb.22:                               ;   in Loop: Header=BB115_3 Depth=1
	v_cvt_f32_f64_e32 v2, v[6:7]
	v_and_b32_e32 v4, 0x7f800000, v2
	v_cmp_eq_u32_e32 vcc, s90, v4
	v_cmp_ne_u32_sdwa s[0:1], v2, v19 src0_sel:WORD_0 src1_sel:DWORD
	s_and_b64 s[0:1], vcc, s[0:1]
	s_nop 0
	v_cndmask_b32_e64 v4, 0, 1, s[0:1]
	v_or_b32_sdwa v2, v2, v4 dst_sel:DWORD dst_unused:UNUSED_PAD src0_sel:WORD_1 src1_sel:DWORD
	v_lshl_add_u64 v[4:5], v[8:9], 1, s[26:27]
	global_store_short v[4:5], v2, off
	s_branch .LBB115_2
.LBB115_23:
	s_endpgm
	.section	.rodata,"a",@progbits
	.p2align	6, 0x0
	.amdhsa_kernel naive_conv_ab_nonpacked_wrw_ndhwc_ushort_double_ushort_0
		.amdhsa_group_segment_fixed_size 0
		.amdhsa_private_segment_fixed_size 0
		.amdhsa_kernarg_size 528
		.amdhsa_user_sgpr_count 2
		.amdhsa_user_sgpr_dispatch_ptr 0
		.amdhsa_user_sgpr_queue_ptr 0
		.amdhsa_user_sgpr_kernarg_segment_ptr 1
		.amdhsa_user_sgpr_dispatch_id 0
		.amdhsa_user_sgpr_kernarg_preload_length 0
		.amdhsa_user_sgpr_kernarg_preload_offset 0
		.amdhsa_user_sgpr_private_segment_size 0
		.amdhsa_uses_dynamic_stack 0
		.amdhsa_enable_private_segment 0
		.amdhsa_system_sgpr_workgroup_id_x 1
		.amdhsa_system_sgpr_workgroup_id_y 0
		.amdhsa_system_sgpr_workgroup_id_z 0
		.amdhsa_system_sgpr_workgroup_info 0
		.amdhsa_system_vgpr_workitem_id 0
		.amdhsa_next_free_vgpr 30
		.amdhsa_next_free_sgpr 98
		.amdhsa_accum_offset 32
		.amdhsa_reserve_vcc 1
		.amdhsa_float_round_mode_32 0
		.amdhsa_float_round_mode_16_64 0
		.amdhsa_float_denorm_mode_32 3
		.amdhsa_float_denorm_mode_16_64 3
		.amdhsa_dx10_clamp 1
		.amdhsa_ieee_mode 1
		.amdhsa_fp16_overflow 0
		.amdhsa_tg_split 0
		.amdhsa_exception_fp_ieee_invalid_op 0
		.amdhsa_exception_fp_denorm_src 0
		.amdhsa_exception_fp_ieee_div_zero 0
		.amdhsa_exception_fp_ieee_overflow 0
		.amdhsa_exception_fp_ieee_underflow 0
		.amdhsa_exception_fp_ieee_inexact 0
		.amdhsa_exception_int_div_zero 0
	.end_amdhsa_kernel
	.text
.Lfunc_end115:
	.size	naive_conv_ab_nonpacked_wrw_ndhwc_ushort_double_ushort_0, .Lfunc_end115-naive_conv_ab_nonpacked_wrw_ndhwc_ushort_double_ushort_0
                                        ; -- End function
	.section	.AMDGPU.csdata,"",@progbits
; Kernel info:
; codeLenInByte = 2052
; NumSgprs: 104
; NumVgprs: 30
; NumAgprs: 0
; TotalNumVgprs: 30
; ScratchSize: 0
; MemoryBound: 0
; FloatMode: 240
; IeeeMode: 1
; LDSByteSize: 0 bytes/workgroup (compile time only)
; SGPRBlocks: 12
; VGPRBlocks: 3
; NumSGPRsForWavesPerEU: 104
; NumVGPRsForWavesPerEU: 30
; AccumOffset: 32
; Occupancy: 7
; WaveLimiterHint : 0
; COMPUTE_PGM_RSRC2:SCRATCH_EN: 0
; COMPUTE_PGM_RSRC2:USER_SGPR: 2
; COMPUTE_PGM_RSRC2:TRAP_HANDLER: 0
; COMPUTE_PGM_RSRC2:TGID_X_EN: 1
; COMPUTE_PGM_RSRC2:TGID_Y_EN: 0
; COMPUTE_PGM_RSRC2:TGID_Z_EN: 0
; COMPUTE_PGM_RSRC2:TIDIG_COMP_CNT: 0
; COMPUTE_PGM_RSRC3_GFX90A:ACCUM_OFFSET: 7
; COMPUTE_PGM_RSRC3_GFX90A:TG_SPLIT: 0
	.text
	.p2alignl 6, 3212836864
	.fill 256, 4, 3212836864
	.type	__hip_cuid_41af319b7e716464,@object ; @__hip_cuid_41af319b7e716464
	.section	.bss,"aw",@nobits
	.globl	__hip_cuid_41af319b7e716464
__hip_cuid_41af319b7e716464:
	.byte	0                               ; 0x0
	.size	__hip_cuid_41af319b7e716464, 1

	.ident	"AMD clang version 19.0.0git (https://github.com/RadeonOpenCompute/llvm-project roc-6.4.0 25133 c7fe45cf4b819c5991fe208aaa96edf142730f1d)"
	.section	".note.GNU-stack","",@progbits
	.addrsig
	.addrsig_sym __hip_cuid_41af319b7e716464
	.amdgpu_metadata
---
amdhsa.kernels:
  - .agpr_count:     0
    .args:
      - .actual_access:  read_only
        .address_space:  global
        .offset:         0
        .size:           8
        .value_kind:     global_buffer
      - .actual_access:  read_only
        .address_space:  global
        .offset:         8
        .size:           8
        .value_kind:     global_buffer
      - .offset:         16
        .size:           8
        .value_kind:     by_value
      - .offset:         24
        .size:           8
        .value_kind:     by_value
      - .address_space:  global
        .offset:         32
        .size:           8
        .value_kind:     global_buffer
      - .offset:         40
        .size:           40
        .value_kind:     by_value
      - .offset:         80
        .size:           40
        .value_kind:     by_value
      - .offset:         120
        .size:           40
        .value_kind:     by_value
      - .offset:         160
        .size:           4
        .value_kind:     by_value
      - .offset:         164
        .size:           4
        .value_kind:     by_value
      - .offset:         168
        .size:           4
        .value_kind:     by_value
      - .offset:         172
        .size:           4
        .value_kind:     by_value
      - .offset:         176
        .size:           4
        .value_kind:     by_value
      - .offset:         180
        .size:           4
        .value_kind:     by_value
      - .offset:         184
        .size:           4
        .value_kind:     by_value
      - .offset:         188
        .size:           4
        .value_kind:     by_value
      - .offset:         192
        .size:           4
        .value_kind:     by_value
      - .offset:         196
        .size:           4
        .value_kind:     by_value
      - .offset:         200
        .size:           4
        .value_kind:     by_value
      - .offset:         204
        .size:           4
        .value_kind:     by_value
      - .offset:         208
        .size:           4
        .value_kind:     by_value
      - .offset:         212
        .size:           4
        .value_kind:     by_value
      - .offset:         216
        .size:           4
        .value_kind:     by_value
      - .offset:         220
        .size:           4
        .value_kind:     by_value
      - .offset:         224
        .size:           4
        .value_kind:     hidden_block_count_x
      - .offset:         228
        .size:           4
        .value_kind:     hidden_block_count_y
      - .offset:         232
        .size:           4
        .value_kind:     hidden_block_count_z
      - .offset:         236
        .size:           2
        .value_kind:     hidden_group_size_x
      - .offset:         238
        .size:           2
        .value_kind:     hidden_group_size_y
      - .offset:         240
        .size:           2
        .value_kind:     hidden_group_size_z
      - .offset:         242
        .size:           2
        .value_kind:     hidden_remainder_x
      - .offset:         244
        .size:           2
        .value_kind:     hidden_remainder_y
      - .offset:         246
        .size:           2
        .value_kind:     hidden_remainder_z
      - .offset:         264
        .size:           8
        .value_kind:     hidden_global_offset_x
      - .offset:         272
        .size:           8
        .value_kind:     hidden_global_offset_y
      - .offset:         280
        .size:           8
        .value_kind:     hidden_global_offset_z
      - .offset:         288
        .size:           2
        .value_kind:     hidden_grid_dims
    .group_segment_fixed_size: 0
    .kernarg_segment_align: 8
    .kernarg_segment_size: 480
    .language:       OpenCL C
    .language_version:
      - 2
      - 0
    .max_flat_workgroup_size: 1024
    .name:           naive_conv_ab_packed_fwd_nchw_float_double_float_0
    .private_segment_fixed_size: 0
    .sgpr_count:     66
    .sgpr_spill_count: 0
    .symbol:         naive_conv_ab_packed_fwd_nchw_float_double_float_0.kd
    .uniform_work_group_size: 1
    .uses_dynamic_stack: false
    .vgpr_count:     16
    .vgpr_spill_count: 0
    .wavefront_size: 64
  - .agpr_count:     0
    .args:
      - .actual_access:  read_only
        .address_space:  global
        .offset:         0
        .size:           8
        .value_kind:     global_buffer
      - .actual_access:  read_only
        .address_space:  global
        .offset:         8
        .size:           8
        .value_kind:     global_buffer
      - .offset:         16
        .size:           8
        .value_kind:     by_value
      - .offset:         24
        .size:           8
        .value_kind:     by_value
      - .address_space:  global
        .offset:         32
        .size:           8
        .value_kind:     global_buffer
      - .offset:         40
        .size:           40
        .value_kind:     by_value
      - .offset:         80
        .size:           40
        .value_kind:     by_value
      - .offset:         120
        .size:           40
        .value_kind:     by_value
      - .offset:         160
        .size:           4
        .value_kind:     by_value
      - .offset:         164
        .size:           4
        .value_kind:     by_value
      - .offset:         168
        .size:           4
        .value_kind:     by_value
      - .offset:         172
        .size:           4
        .value_kind:     by_value
      - .offset:         176
        .size:           4
        .value_kind:     by_value
      - .offset:         180
        .size:           4
        .value_kind:     by_value
      - .offset:         184
        .size:           4
        .value_kind:     by_value
      - .offset:         188
        .size:           4
        .value_kind:     by_value
      - .offset:         192
        .size:           4
        .value_kind:     by_value
      - .offset:         196
        .size:           4
        .value_kind:     by_value
      - .offset:         200
        .size:           4
        .value_kind:     by_value
      - .offset:         204
        .size:           4
        .value_kind:     by_value
      - .offset:         208
        .size:           4
        .value_kind:     by_value
      - .offset:         212
        .size:           4
        .value_kind:     by_value
      - .offset:         216
        .size:           4
        .value_kind:     by_value
      - .offset:         220
        .size:           4
        .value_kind:     by_value
      - .offset:         224
        .size:           4
        .value_kind:     hidden_block_count_x
      - .offset:         228
        .size:           4
        .value_kind:     hidden_block_count_y
      - .offset:         232
        .size:           4
        .value_kind:     hidden_block_count_z
      - .offset:         236
        .size:           2
        .value_kind:     hidden_group_size_x
      - .offset:         238
        .size:           2
        .value_kind:     hidden_group_size_y
      - .offset:         240
        .size:           2
        .value_kind:     hidden_group_size_z
      - .offset:         242
        .size:           2
        .value_kind:     hidden_remainder_x
      - .offset:         244
        .size:           2
        .value_kind:     hidden_remainder_y
      - .offset:         246
        .size:           2
        .value_kind:     hidden_remainder_z
      - .offset:         264
        .size:           8
        .value_kind:     hidden_global_offset_x
      - .offset:         272
        .size:           8
        .value_kind:     hidden_global_offset_y
      - .offset:         280
        .size:           8
        .value_kind:     hidden_global_offset_z
      - .offset:         288
        .size:           2
        .value_kind:     hidden_grid_dims
    .group_segment_fixed_size: 0
    .kernarg_segment_align: 8
    .kernarg_segment_size: 480
    .language:       OpenCL C
    .language_version:
      - 2
      - 0
    .max_flat_workgroup_size: 1024
    .name:           naive_conv_ab_nonpacked_fwd_nchw_float_double_float_0
    .private_segment_fixed_size: 0
    .sgpr_count:     76
    .sgpr_spill_count: 0
    .symbol:         naive_conv_ab_nonpacked_fwd_nchw_float_double_float_0.kd
    .uniform_work_group_size: 1
    .uses_dynamic_stack: false
    .vgpr_count:     16
    .vgpr_spill_count: 0
    .wavefront_size: 64
  - .agpr_count:     0
    .args:
      - .actual_access:  read_only
        .address_space:  global
        .offset:         0
        .size:           8
        .value_kind:     global_buffer
      - .actual_access:  read_only
        .address_space:  global
        .offset:         8
        .size:           8
        .value_kind:     global_buffer
      - .offset:         16
        .size:           8
        .value_kind:     by_value
      - .offset:         24
        .size:           8
        .value_kind:     by_value
      - .address_space:  global
        .offset:         32
        .size:           8
        .value_kind:     global_buffer
      - .offset:         40
        .size:           40
        .value_kind:     by_value
      - .offset:         80
        .size:           40
        .value_kind:     by_value
      - .offset:         120
        .size:           40
        .value_kind:     by_value
      - .offset:         160
        .size:           4
        .value_kind:     by_value
      - .offset:         164
        .size:           4
        .value_kind:     by_value
      - .offset:         168
        .size:           4
        .value_kind:     by_value
      - .offset:         172
        .size:           4
        .value_kind:     by_value
      - .offset:         176
        .size:           4
        .value_kind:     by_value
      - .offset:         180
        .size:           4
        .value_kind:     by_value
      - .offset:         184
        .size:           4
        .value_kind:     by_value
      - .offset:         188
        .size:           4
        .value_kind:     by_value
      - .offset:         192
        .size:           4
        .value_kind:     by_value
      - .offset:         196
        .size:           4
        .value_kind:     by_value
      - .offset:         200
        .size:           4
        .value_kind:     by_value
      - .offset:         204
        .size:           4
        .value_kind:     by_value
      - .offset:         208
        .size:           4
        .value_kind:     by_value
      - .offset:         212
        .size:           4
        .value_kind:     by_value
      - .offset:         216
        .size:           4
        .value_kind:     by_value
      - .offset:         220
        .size:           4
        .value_kind:     by_value
      - .offset:         224
        .size:           4
        .value_kind:     hidden_block_count_x
      - .offset:         228
        .size:           4
        .value_kind:     hidden_block_count_y
      - .offset:         232
        .size:           4
        .value_kind:     hidden_block_count_z
      - .offset:         236
        .size:           2
        .value_kind:     hidden_group_size_x
      - .offset:         238
        .size:           2
        .value_kind:     hidden_group_size_y
      - .offset:         240
        .size:           2
        .value_kind:     hidden_group_size_z
      - .offset:         242
        .size:           2
        .value_kind:     hidden_remainder_x
      - .offset:         244
        .size:           2
        .value_kind:     hidden_remainder_y
      - .offset:         246
        .size:           2
        .value_kind:     hidden_remainder_z
      - .offset:         264
        .size:           8
        .value_kind:     hidden_global_offset_x
      - .offset:         272
        .size:           8
        .value_kind:     hidden_global_offset_y
      - .offset:         280
        .size:           8
        .value_kind:     hidden_global_offset_z
      - .offset:         288
        .size:           2
        .value_kind:     hidden_grid_dims
    .group_segment_fixed_size: 0
    .kernarg_segment_align: 8
    .kernarg_segment_size: 480
    .language:       OpenCL C
    .language_version:
      - 2
      - 0
    .max_flat_workgroup_size: 1024
    .name:           naive_conv_ab_packed_fwd_nchw_float_double_float_1
    .private_segment_fixed_size: 0
    .sgpr_count:     66
    .sgpr_spill_count: 0
    .symbol:         naive_conv_ab_packed_fwd_nchw_float_double_float_1.kd
    .uniform_work_group_size: 1
    .uses_dynamic_stack: false
    .vgpr_count:     16
    .vgpr_spill_count: 0
    .wavefront_size: 64
  - .agpr_count:     0
    .args:
      - .actual_access:  read_only
        .address_space:  global
        .offset:         0
        .size:           8
        .value_kind:     global_buffer
      - .actual_access:  read_only
        .address_space:  global
        .offset:         8
        .size:           8
        .value_kind:     global_buffer
      - .offset:         16
        .size:           8
        .value_kind:     by_value
      - .offset:         24
        .size:           8
        .value_kind:     by_value
      - .address_space:  global
        .offset:         32
        .size:           8
        .value_kind:     global_buffer
      - .offset:         40
        .size:           40
        .value_kind:     by_value
      - .offset:         80
        .size:           40
        .value_kind:     by_value
      - .offset:         120
        .size:           40
        .value_kind:     by_value
      - .offset:         160
        .size:           4
        .value_kind:     by_value
      - .offset:         164
        .size:           4
        .value_kind:     by_value
      - .offset:         168
        .size:           4
        .value_kind:     by_value
      - .offset:         172
        .size:           4
        .value_kind:     by_value
      - .offset:         176
        .size:           4
        .value_kind:     by_value
      - .offset:         180
        .size:           4
        .value_kind:     by_value
      - .offset:         184
        .size:           4
        .value_kind:     by_value
      - .offset:         188
        .size:           4
        .value_kind:     by_value
      - .offset:         192
        .size:           4
        .value_kind:     by_value
      - .offset:         196
        .size:           4
        .value_kind:     by_value
      - .offset:         200
        .size:           4
        .value_kind:     by_value
      - .offset:         204
        .size:           4
        .value_kind:     by_value
      - .offset:         208
        .size:           4
        .value_kind:     by_value
      - .offset:         212
        .size:           4
        .value_kind:     by_value
      - .offset:         216
        .size:           4
        .value_kind:     by_value
      - .offset:         220
        .size:           4
        .value_kind:     by_value
      - .offset:         224
        .size:           4
        .value_kind:     hidden_block_count_x
      - .offset:         228
        .size:           4
        .value_kind:     hidden_block_count_y
      - .offset:         232
        .size:           4
        .value_kind:     hidden_block_count_z
      - .offset:         236
        .size:           2
        .value_kind:     hidden_group_size_x
      - .offset:         238
        .size:           2
        .value_kind:     hidden_group_size_y
      - .offset:         240
        .size:           2
        .value_kind:     hidden_group_size_z
      - .offset:         242
        .size:           2
        .value_kind:     hidden_remainder_x
      - .offset:         244
        .size:           2
        .value_kind:     hidden_remainder_y
      - .offset:         246
        .size:           2
        .value_kind:     hidden_remainder_z
      - .offset:         264
        .size:           8
        .value_kind:     hidden_global_offset_x
      - .offset:         272
        .size:           8
        .value_kind:     hidden_global_offset_y
      - .offset:         280
        .size:           8
        .value_kind:     hidden_global_offset_z
      - .offset:         288
        .size:           2
        .value_kind:     hidden_grid_dims
    .group_segment_fixed_size: 0
    .kernarg_segment_align: 8
    .kernarg_segment_size: 480
    .language:       OpenCL C
    .language_version:
      - 2
      - 0
    .max_flat_workgroup_size: 1024
    .name:           naive_conv_ab_nonpacked_fwd_nchw_float_double_float_1
    .private_segment_fixed_size: 0
    .sgpr_count:     76
    .sgpr_spill_count: 0
    .symbol:         naive_conv_ab_nonpacked_fwd_nchw_float_double_float_1.kd
    .uniform_work_group_size: 1
    .uses_dynamic_stack: false
    .vgpr_count:     16
    .vgpr_spill_count: 0
    .wavefront_size: 64
  - .agpr_count:     0
    .args:
      - .actual_access:  read_only
        .address_space:  global
        .offset:         0
        .size:           8
        .value_kind:     global_buffer
      - .actual_access:  read_only
        .address_space:  global
        .offset:         8
        .size:           8
        .value_kind:     global_buffer
      - .offset:         16
        .size:           8
        .value_kind:     by_value
      - .offset:         24
        .size:           8
        .value_kind:     by_value
      - .address_space:  global
        .offset:         32
        .size:           8
        .value_kind:     global_buffer
      - .offset:         40
        .size:           40
        .value_kind:     by_value
      - .offset:         80
        .size:           40
        .value_kind:     by_value
      - .offset:         120
        .size:           40
        .value_kind:     by_value
      - .offset:         160
        .size:           4
        .value_kind:     by_value
      - .offset:         164
        .size:           4
        .value_kind:     by_value
      - .offset:         168
        .size:           4
        .value_kind:     by_value
      - .offset:         172
        .size:           4
        .value_kind:     by_value
      - .offset:         176
        .size:           4
        .value_kind:     by_value
      - .offset:         180
        .size:           4
        .value_kind:     by_value
      - .offset:         184
        .size:           4
        .value_kind:     by_value
      - .offset:         188
        .size:           4
        .value_kind:     by_value
      - .offset:         192
        .size:           4
        .value_kind:     by_value
      - .offset:         196
        .size:           4
        .value_kind:     by_value
      - .offset:         200
        .size:           4
        .value_kind:     by_value
      - .offset:         204
        .size:           4
        .value_kind:     by_value
      - .offset:         208
        .size:           4
        .value_kind:     by_value
      - .offset:         212
        .size:           4
        .value_kind:     by_value
      - .offset:         216
        .size:           4
        .value_kind:     by_value
      - .offset:         220
        .size:           4
        .value_kind:     by_value
      - .offset:         224
        .size:           4
        .value_kind:     hidden_block_count_x
      - .offset:         228
        .size:           4
        .value_kind:     hidden_block_count_y
      - .offset:         232
        .size:           4
        .value_kind:     hidden_block_count_z
      - .offset:         236
        .size:           2
        .value_kind:     hidden_group_size_x
      - .offset:         238
        .size:           2
        .value_kind:     hidden_group_size_y
      - .offset:         240
        .size:           2
        .value_kind:     hidden_group_size_z
      - .offset:         242
        .size:           2
        .value_kind:     hidden_remainder_x
      - .offset:         244
        .size:           2
        .value_kind:     hidden_remainder_y
      - .offset:         246
        .size:           2
        .value_kind:     hidden_remainder_z
      - .offset:         264
        .size:           8
        .value_kind:     hidden_global_offset_x
      - .offset:         272
        .size:           8
        .value_kind:     hidden_global_offset_y
      - .offset:         280
        .size:           8
        .value_kind:     hidden_global_offset_z
      - .offset:         288
        .size:           2
        .value_kind:     hidden_grid_dims
    .group_segment_fixed_size: 0
    .kernarg_segment_align: 8
    .kernarg_segment_size: 480
    .language:       OpenCL C
    .language_version:
      - 2
      - 0
    .max_flat_workgroup_size: 1024
    .name:           naive_conv_ab_packed_fwd_nchw_half_double_half_0
    .private_segment_fixed_size: 0
    .sgpr_count:     66
    .sgpr_spill_count: 0
    .symbol:         naive_conv_ab_packed_fwd_nchw_half_double_half_0.kd
    .uniform_work_group_size: 1
    .uses_dynamic_stack: false
    .vgpr_count:     16
    .vgpr_spill_count: 0
    .wavefront_size: 64
  - .agpr_count:     0
    .args:
      - .actual_access:  read_only
        .address_space:  global
        .offset:         0
        .size:           8
        .value_kind:     global_buffer
      - .actual_access:  read_only
        .address_space:  global
        .offset:         8
        .size:           8
        .value_kind:     global_buffer
      - .offset:         16
        .size:           8
        .value_kind:     by_value
      - .offset:         24
        .size:           8
        .value_kind:     by_value
      - .address_space:  global
        .offset:         32
        .size:           8
        .value_kind:     global_buffer
      - .offset:         40
        .size:           40
        .value_kind:     by_value
      - .offset:         80
        .size:           40
        .value_kind:     by_value
      - .offset:         120
        .size:           40
        .value_kind:     by_value
      - .offset:         160
        .size:           4
        .value_kind:     by_value
      - .offset:         164
        .size:           4
        .value_kind:     by_value
      - .offset:         168
        .size:           4
        .value_kind:     by_value
      - .offset:         172
        .size:           4
        .value_kind:     by_value
      - .offset:         176
        .size:           4
        .value_kind:     by_value
      - .offset:         180
        .size:           4
        .value_kind:     by_value
      - .offset:         184
        .size:           4
        .value_kind:     by_value
      - .offset:         188
        .size:           4
        .value_kind:     by_value
      - .offset:         192
        .size:           4
        .value_kind:     by_value
      - .offset:         196
        .size:           4
        .value_kind:     by_value
      - .offset:         200
        .size:           4
        .value_kind:     by_value
      - .offset:         204
        .size:           4
        .value_kind:     by_value
      - .offset:         208
        .size:           4
        .value_kind:     by_value
      - .offset:         212
        .size:           4
        .value_kind:     by_value
      - .offset:         216
        .size:           4
        .value_kind:     by_value
      - .offset:         220
        .size:           4
        .value_kind:     by_value
      - .offset:         224
        .size:           4
        .value_kind:     hidden_block_count_x
      - .offset:         228
        .size:           4
        .value_kind:     hidden_block_count_y
      - .offset:         232
        .size:           4
        .value_kind:     hidden_block_count_z
      - .offset:         236
        .size:           2
        .value_kind:     hidden_group_size_x
      - .offset:         238
        .size:           2
        .value_kind:     hidden_group_size_y
      - .offset:         240
        .size:           2
        .value_kind:     hidden_group_size_z
      - .offset:         242
        .size:           2
        .value_kind:     hidden_remainder_x
      - .offset:         244
        .size:           2
        .value_kind:     hidden_remainder_y
      - .offset:         246
        .size:           2
        .value_kind:     hidden_remainder_z
      - .offset:         264
        .size:           8
        .value_kind:     hidden_global_offset_x
      - .offset:         272
        .size:           8
        .value_kind:     hidden_global_offset_y
      - .offset:         280
        .size:           8
        .value_kind:     hidden_global_offset_z
      - .offset:         288
        .size:           2
        .value_kind:     hidden_grid_dims
    .group_segment_fixed_size: 0
    .kernarg_segment_align: 8
    .kernarg_segment_size: 480
    .language:       OpenCL C
    .language_version:
      - 2
      - 0
    .max_flat_workgroup_size: 1024
    .name:           naive_conv_ab_nonpacked_fwd_nchw_half_double_half_0
    .private_segment_fixed_size: 0
    .sgpr_count:     76
    .sgpr_spill_count: 0
    .symbol:         naive_conv_ab_nonpacked_fwd_nchw_half_double_half_0.kd
    .uniform_work_group_size: 1
    .uses_dynamic_stack: false
    .vgpr_count:     16
    .vgpr_spill_count: 0
    .wavefront_size: 64
  - .agpr_count:     0
    .args:
      - .actual_access:  read_only
        .address_space:  global
        .offset:         0
        .size:           8
        .value_kind:     global_buffer
      - .actual_access:  read_only
        .address_space:  global
        .offset:         8
        .size:           8
        .value_kind:     global_buffer
      - .offset:         16
        .size:           8
        .value_kind:     by_value
      - .offset:         24
        .size:           8
        .value_kind:     by_value
      - .address_space:  global
        .offset:         32
        .size:           8
        .value_kind:     global_buffer
      - .offset:         40
        .size:           40
        .value_kind:     by_value
      - .offset:         80
        .size:           40
        .value_kind:     by_value
      - .offset:         120
        .size:           40
        .value_kind:     by_value
      - .offset:         160
        .size:           4
        .value_kind:     by_value
      - .offset:         164
        .size:           4
        .value_kind:     by_value
      - .offset:         168
        .size:           4
        .value_kind:     by_value
      - .offset:         172
        .size:           4
        .value_kind:     by_value
      - .offset:         176
        .size:           4
        .value_kind:     by_value
      - .offset:         180
        .size:           4
        .value_kind:     by_value
      - .offset:         184
        .size:           4
        .value_kind:     by_value
      - .offset:         188
        .size:           4
        .value_kind:     by_value
      - .offset:         192
        .size:           4
        .value_kind:     by_value
      - .offset:         196
        .size:           4
        .value_kind:     by_value
      - .offset:         200
        .size:           4
        .value_kind:     by_value
      - .offset:         204
        .size:           4
        .value_kind:     by_value
      - .offset:         208
        .size:           4
        .value_kind:     by_value
      - .offset:         212
        .size:           4
        .value_kind:     by_value
      - .offset:         216
        .size:           4
        .value_kind:     by_value
      - .offset:         220
        .size:           4
        .value_kind:     by_value
      - .offset:         224
        .size:           4
        .value_kind:     hidden_block_count_x
      - .offset:         228
        .size:           4
        .value_kind:     hidden_block_count_y
      - .offset:         232
        .size:           4
        .value_kind:     hidden_block_count_z
      - .offset:         236
        .size:           2
        .value_kind:     hidden_group_size_x
      - .offset:         238
        .size:           2
        .value_kind:     hidden_group_size_y
      - .offset:         240
        .size:           2
        .value_kind:     hidden_group_size_z
      - .offset:         242
        .size:           2
        .value_kind:     hidden_remainder_x
      - .offset:         244
        .size:           2
        .value_kind:     hidden_remainder_y
      - .offset:         246
        .size:           2
        .value_kind:     hidden_remainder_z
      - .offset:         264
        .size:           8
        .value_kind:     hidden_global_offset_x
      - .offset:         272
        .size:           8
        .value_kind:     hidden_global_offset_y
      - .offset:         280
        .size:           8
        .value_kind:     hidden_global_offset_z
      - .offset:         288
        .size:           2
        .value_kind:     hidden_grid_dims
    .group_segment_fixed_size: 0
    .kernarg_segment_align: 8
    .kernarg_segment_size: 480
    .language:       OpenCL C
    .language_version:
      - 2
      - 0
    .max_flat_workgroup_size: 1024
    .name:           naive_conv_ab_packed_fwd_nchw_ushort_double_ushort_0
    .private_segment_fixed_size: 0
    .sgpr_count:     68
    .sgpr_spill_count: 0
    .symbol:         naive_conv_ab_packed_fwd_nchw_ushort_double_ushort_0.kd
    .uniform_work_group_size: 1
    .uses_dynamic_stack: false
    .vgpr_count:     16
    .vgpr_spill_count: 0
    .wavefront_size: 64
  - .agpr_count:     0
    .args:
      - .actual_access:  read_only
        .address_space:  global
        .offset:         0
        .size:           8
        .value_kind:     global_buffer
      - .actual_access:  read_only
        .address_space:  global
        .offset:         8
        .size:           8
        .value_kind:     global_buffer
      - .offset:         16
        .size:           8
        .value_kind:     by_value
      - .offset:         24
        .size:           8
        .value_kind:     by_value
      - .address_space:  global
        .offset:         32
        .size:           8
        .value_kind:     global_buffer
      - .offset:         40
        .size:           40
        .value_kind:     by_value
      - .offset:         80
        .size:           40
        .value_kind:     by_value
      - .offset:         120
        .size:           40
        .value_kind:     by_value
      - .offset:         160
        .size:           4
        .value_kind:     by_value
      - .offset:         164
        .size:           4
        .value_kind:     by_value
      - .offset:         168
        .size:           4
        .value_kind:     by_value
      - .offset:         172
        .size:           4
        .value_kind:     by_value
      - .offset:         176
        .size:           4
        .value_kind:     by_value
      - .offset:         180
        .size:           4
        .value_kind:     by_value
      - .offset:         184
        .size:           4
        .value_kind:     by_value
      - .offset:         188
        .size:           4
        .value_kind:     by_value
      - .offset:         192
        .size:           4
        .value_kind:     by_value
      - .offset:         196
        .size:           4
        .value_kind:     by_value
      - .offset:         200
        .size:           4
        .value_kind:     by_value
      - .offset:         204
        .size:           4
        .value_kind:     by_value
      - .offset:         208
        .size:           4
        .value_kind:     by_value
      - .offset:         212
        .size:           4
        .value_kind:     by_value
      - .offset:         216
        .size:           4
        .value_kind:     by_value
      - .offset:         220
        .size:           4
        .value_kind:     by_value
      - .offset:         224
        .size:           4
        .value_kind:     hidden_block_count_x
      - .offset:         228
        .size:           4
        .value_kind:     hidden_block_count_y
      - .offset:         232
        .size:           4
        .value_kind:     hidden_block_count_z
      - .offset:         236
        .size:           2
        .value_kind:     hidden_group_size_x
      - .offset:         238
        .size:           2
        .value_kind:     hidden_group_size_y
      - .offset:         240
        .size:           2
        .value_kind:     hidden_group_size_z
      - .offset:         242
        .size:           2
        .value_kind:     hidden_remainder_x
      - .offset:         244
        .size:           2
        .value_kind:     hidden_remainder_y
      - .offset:         246
        .size:           2
        .value_kind:     hidden_remainder_z
      - .offset:         264
        .size:           8
        .value_kind:     hidden_global_offset_x
      - .offset:         272
        .size:           8
        .value_kind:     hidden_global_offset_y
      - .offset:         280
        .size:           8
        .value_kind:     hidden_global_offset_z
      - .offset:         288
        .size:           2
        .value_kind:     hidden_grid_dims
    .group_segment_fixed_size: 0
    .kernarg_segment_align: 8
    .kernarg_segment_size: 480
    .language:       OpenCL C
    .language_version:
      - 2
      - 0
    .max_flat_workgroup_size: 1024
    .name:           naive_conv_ab_nonpacked_fwd_nchw_ushort_double_ushort_0
    .private_segment_fixed_size: 0
    .sgpr_count:     78
    .sgpr_spill_count: 0
    .symbol:         naive_conv_ab_nonpacked_fwd_nchw_ushort_double_ushort_0.kd
    .uniform_work_group_size: 1
    .uses_dynamic_stack: false
    .vgpr_count:     16
    .vgpr_spill_count: 0
    .wavefront_size: 64
  - .agpr_count:     0
    .args:
      - .actual_access:  read_only
        .address_space:  global
        .offset:         0
        .size:           8
        .value_kind:     global_buffer
      - .actual_access:  read_only
        .address_space:  global
        .offset:         8
        .size:           8
        .value_kind:     global_buffer
      - .offset:         16
        .size:           8
        .value_kind:     by_value
      - .offset:         24
        .size:           8
        .value_kind:     by_value
      - .address_space:  global
        .offset:         32
        .size:           8
        .value_kind:     global_buffer
      - .offset:         40
        .size:           40
        .value_kind:     by_value
      - .offset:         80
        .size:           40
        .value_kind:     by_value
      - .offset:         120
        .size:           40
        .value_kind:     by_value
      - .offset:         160
        .size:           4
        .value_kind:     by_value
      - .offset:         164
        .size:           4
        .value_kind:     by_value
      - .offset:         168
        .size:           4
        .value_kind:     by_value
      - .offset:         172
        .size:           4
        .value_kind:     by_value
      - .offset:         176
        .size:           4
        .value_kind:     by_value
      - .offset:         180
        .size:           4
        .value_kind:     by_value
      - .offset:         184
        .size:           4
        .value_kind:     by_value
      - .offset:         188
        .size:           4
        .value_kind:     by_value
      - .offset:         192
        .size:           4
        .value_kind:     by_value
      - .offset:         196
        .size:           4
        .value_kind:     by_value
      - .offset:         200
        .size:           4
        .value_kind:     by_value
      - .offset:         204
        .size:           4
        .value_kind:     by_value
      - .offset:         208
        .size:           4
        .value_kind:     by_value
      - .offset:         212
        .size:           4
        .value_kind:     by_value
      - .offset:         216
        .size:           4
        .value_kind:     by_value
      - .offset:         220
        .size:           4
        .value_kind:     by_value
      - .offset:         224
        .size:           4
        .value_kind:     hidden_block_count_x
      - .offset:         228
        .size:           4
        .value_kind:     hidden_block_count_y
      - .offset:         232
        .size:           4
        .value_kind:     hidden_block_count_z
      - .offset:         236
        .size:           2
        .value_kind:     hidden_group_size_x
      - .offset:         238
        .size:           2
        .value_kind:     hidden_group_size_y
      - .offset:         240
        .size:           2
        .value_kind:     hidden_group_size_z
      - .offset:         242
        .size:           2
        .value_kind:     hidden_remainder_x
      - .offset:         244
        .size:           2
        .value_kind:     hidden_remainder_y
      - .offset:         246
        .size:           2
        .value_kind:     hidden_remainder_z
      - .offset:         264
        .size:           8
        .value_kind:     hidden_global_offset_x
      - .offset:         272
        .size:           8
        .value_kind:     hidden_global_offset_y
      - .offset:         280
        .size:           8
        .value_kind:     hidden_global_offset_z
      - .offset:         288
        .size:           2
        .value_kind:     hidden_grid_dims
    .group_segment_fixed_size: 0
    .kernarg_segment_align: 8
    .kernarg_segment_size: 480
    .language:       OpenCL C
    .language_version:
      - 2
      - 0
    .max_flat_workgroup_size: 1024
    .name:           naive_conv_ab_packed_fwd_nchw_int8_t_int32_t_int8_t_0
    .private_segment_fixed_size: 0
    .sgpr_count:     60
    .sgpr_spill_count: 0
    .symbol:         naive_conv_ab_packed_fwd_nchw_int8_t_int32_t_int8_t_0.kd
    .uniform_work_group_size: 1
    .uses_dynamic_stack: false
    .vgpr_count:     18
    .vgpr_spill_count: 0
    .wavefront_size: 64
  - .agpr_count:     0
    .args:
      - .actual_access:  read_only
        .address_space:  global
        .offset:         0
        .size:           8
        .value_kind:     global_buffer
      - .actual_access:  read_only
        .address_space:  global
        .offset:         8
        .size:           8
        .value_kind:     global_buffer
      - .offset:         16
        .size:           8
        .value_kind:     by_value
      - .offset:         24
        .size:           8
        .value_kind:     by_value
      - .address_space:  global
        .offset:         32
        .size:           8
        .value_kind:     global_buffer
      - .offset:         40
        .size:           40
        .value_kind:     by_value
      - .offset:         80
        .size:           40
        .value_kind:     by_value
      - .offset:         120
        .size:           40
        .value_kind:     by_value
      - .offset:         160
        .size:           4
        .value_kind:     by_value
      - .offset:         164
        .size:           4
        .value_kind:     by_value
      - .offset:         168
        .size:           4
        .value_kind:     by_value
      - .offset:         172
        .size:           4
        .value_kind:     by_value
      - .offset:         176
        .size:           4
        .value_kind:     by_value
      - .offset:         180
        .size:           4
        .value_kind:     by_value
      - .offset:         184
        .size:           4
        .value_kind:     by_value
      - .offset:         188
        .size:           4
        .value_kind:     by_value
      - .offset:         192
        .size:           4
        .value_kind:     by_value
      - .offset:         196
        .size:           4
        .value_kind:     by_value
      - .offset:         200
        .size:           4
        .value_kind:     by_value
      - .offset:         204
        .size:           4
        .value_kind:     by_value
      - .offset:         208
        .size:           4
        .value_kind:     by_value
      - .offset:         212
        .size:           4
        .value_kind:     by_value
      - .offset:         216
        .size:           4
        .value_kind:     by_value
      - .offset:         220
        .size:           4
        .value_kind:     by_value
      - .offset:         224
        .size:           4
        .value_kind:     hidden_block_count_x
      - .offset:         228
        .size:           4
        .value_kind:     hidden_block_count_y
      - .offset:         232
        .size:           4
        .value_kind:     hidden_block_count_z
      - .offset:         236
        .size:           2
        .value_kind:     hidden_group_size_x
      - .offset:         238
        .size:           2
        .value_kind:     hidden_group_size_y
      - .offset:         240
        .size:           2
        .value_kind:     hidden_group_size_z
      - .offset:         242
        .size:           2
        .value_kind:     hidden_remainder_x
      - .offset:         244
        .size:           2
        .value_kind:     hidden_remainder_y
      - .offset:         246
        .size:           2
        .value_kind:     hidden_remainder_z
      - .offset:         264
        .size:           8
        .value_kind:     hidden_global_offset_x
      - .offset:         272
        .size:           8
        .value_kind:     hidden_global_offset_y
      - .offset:         280
        .size:           8
        .value_kind:     hidden_global_offset_z
      - .offset:         288
        .size:           2
        .value_kind:     hidden_grid_dims
    .group_segment_fixed_size: 0
    .kernarg_segment_align: 8
    .kernarg_segment_size: 480
    .language:       OpenCL C
    .language_version:
      - 2
      - 0
    .max_flat_workgroup_size: 1024
    .name:           naive_conv_ab_nonpacked_fwd_nchw_int8_t_int32_t_int8_t_0
    .private_segment_fixed_size: 0
    .sgpr_count:     74
    .sgpr_spill_count: 0
    .symbol:         naive_conv_ab_nonpacked_fwd_nchw_int8_t_int32_t_int8_t_0.kd
    .uniform_work_group_size: 1
    .uses_dynamic_stack: false
    .vgpr_count:     20
    .vgpr_spill_count: 0
    .wavefront_size: 64
  - .agpr_count:     0
    .args:
      - .actual_access:  read_only
        .address_space:  global
        .offset:         0
        .size:           8
        .value_kind:     global_buffer
      - .actual_access:  read_only
        .address_space:  global
        .offset:         8
        .size:           8
        .value_kind:     global_buffer
      - .offset:         16
        .size:           8
        .value_kind:     by_value
      - .offset:         24
        .size:           8
        .value_kind:     by_value
      - .address_space:  global
        .offset:         32
        .size:           8
        .value_kind:     global_buffer
      - .offset:         40
        .size:           40
        .value_kind:     by_value
      - .offset:         80
        .size:           40
        .value_kind:     by_value
      - .offset:         120
        .size:           40
        .value_kind:     by_value
      - .offset:         160
        .size:           4
        .value_kind:     by_value
      - .offset:         164
        .size:           4
        .value_kind:     by_value
      - .offset:         168
        .size:           4
        .value_kind:     by_value
      - .offset:         172
        .size:           4
        .value_kind:     by_value
      - .offset:         176
        .size:           4
        .value_kind:     by_value
      - .offset:         180
        .size:           4
        .value_kind:     by_value
      - .offset:         184
        .size:           4
        .value_kind:     by_value
      - .offset:         188
        .size:           4
        .value_kind:     by_value
      - .offset:         192
        .size:           4
        .value_kind:     by_value
      - .offset:         196
        .size:           4
        .value_kind:     by_value
      - .offset:         200
        .size:           4
        .value_kind:     by_value
      - .offset:         204
        .size:           4
        .value_kind:     by_value
      - .offset:         208
        .size:           4
        .value_kind:     by_value
      - .offset:         212
        .size:           4
        .value_kind:     by_value
      - .offset:         216
        .size:           4
        .value_kind:     by_value
      - .offset:         220
        .size:           4
        .value_kind:     by_value
      - .offset:         224
        .size:           4
        .value_kind:     hidden_block_count_x
      - .offset:         228
        .size:           4
        .value_kind:     hidden_block_count_y
      - .offset:         232
        .size:           4
        .value_kind:     hidden_block_count_z
      - .offset:         236
        .size:           2
        .value_kind:     hidden_group_size_x
      - .offset:         238
        .size:           2
        .value_kind:     hidden_group_size_y
      - .offset:         240
        .size:           2
        .value_kind:     hidden_group_size_z
      - .offset:         242
        .size:           2
        .value_kind:     hidden_remainder_x
      - .offset:         244
        .size:           2
        .value_kind:     hidden_remainder_y
      - .offset:         246
        .size:           2
        .value_kind:     hidden_remainder_z
      - .offset:         264
        .size:           8
        .value_kind:     hidden_global_offset_x
      - .offset:         272
        .size:           8
        .value_kind:     hidden_global_offset_y
      - .offset:         280
        .size:           8
        .value_kind:     hidden_global_offset_z
      - .offset:         288
        .size:           2
        .value_kind:     hidden_grid_dims
    .group_segment_fixed_size: 0
    .kernarg_segment_align: 8
    .kernarg_segment_size: 480
    .language:       OpenCL C
    .language_version:
      - 2
      - 0
    .max_flat_workgroup_size: 1024
    .name:           naive_conv_ab_packed_fwd_nchw_int8_t_int32_t_int32_t_0
    .private_segment_fixed_size: 0
    .sgpr_count:     62
    .sgpr_spill_count: 0
    .symbol:         naive_conv_ab_packed_fwd_nchw_int8_t_int32_t_int32_t_0.kd
    .uniform_work_group_size: 1
    .uses_dynamic_stack: false
    .vgpr_count:     16
    .vgpr_spill_count: 0
    .wavefront_size: 64
  - .agpr_count:     0
    .args:
      - .actual_access:  read_only
        .address_space:  global
        .offset:         0
        .size:           8
        .value_kind:     global_buffer
      - .actual_access:  read_only
        .address_space:  global
        .offset:         8
        .size:           8
        .value_kind:     global_buffer
      - .offset:         16
        .size:           8
        .value_kind:     by_value
      - .offset:         24
        .size:           8
        .value_kind:     by_value
      - .address_space:  global
        .offset:         32
        .size:           8
        .value_kind:     global_buffer
      - .offset:         40
        .size:           40
        .value_kind:     by_value
      - .offset:         80
        .size:           40
        .value_kind:     by_value
      - .offset:         120
        .size:           40
        .value_kind:     by_value
      - .offset:         160
        .size:           4
        .value_kind:     by_value
      - .offset:         164
        .size:           4
        .value_kind:     by_value
      - .offset:         168
        .size:           4
        .value_kind:     by_value
      - .offset:         172
        .size:           4
        .value_kind:     by_value
      - .offset:         176
        .size:           4
        .value_kind:     by_value
      - .offset:         180
        .size:           4
        .value_kind:     by_value
      - .offset:         184
        .size:           4
        .value_kind:     by_value
      - .offset:         188
        .size:           4
        .value_kind:     by_value
      - .offset:         192
        .size:           4
        .value_kind:     by_value
      - .offset:         196
        .size:           4
        .value_kind:     by_value
      - .offset:         200
        .size:           4
        .value_kind:     by_value
      - .offset:         204
        .size:           4
        .value_kind:     by_value
      - .offset:         208
        .size:           4
        .value_kind:     by_value
      - .offset:         212
        .size:           4
        .value_kind:     by_value
      - .offset:         216
        .size:           4
        .value_kind:     by_value
      - .offset:         220
        .size:           4
        .value_kind:     by_value
      - .offset:         224
        .size:           4
        .value_kind:     hidden_block_count_x
      - .offset:         228
        .size:           4
        .value_kind:     hidden_block_count_y
      - .offset:         232
        .size:           4
        .value_kind:     hidden_block_count_z
      - .offset:         236
        .size:           2
        .value_kind:     hidden_group_size_x
      - .offset:         238
        .size:           2
        .value_kind:     hidden_group_size_y
      - .offset:         240
        .size:           2
        .value_kind:     hidden_group_size_z
      - .offset:         242
        .size:           2
        .value_kind:     hidden_remainder_x
      - .offset:         244
        .size:           2
        .value_kind:     hidden_remainder_y
      - .offset:         246
        .size:           2
        .value_kind:     hidden_remainder_z
      - .offset:         264
        .size:           8
        .value_kind:     hidden_global_offset_x
      - .offset:         272
        .size:           8
        .value_kind:     hidden_global_offset_y
      - .offset:         280
        .size:           8
        .value_kind:     hidden_global_offset_z
      - .offset:         288
        .size:           2
        .value_kind:     hidden_grid_dims
    .group_segment_fixed_size: 0
    .kernarg_segment_align: 8
    .kernarg_segment_size: 480
    .language:       OpenCL C
    .language_version:
      - 2
      - 0
    .max_flat_workgroup_size: 1024
    .name:           naive_conv_ab_nonpacked_fwd_nchw_int8_t_int32_t_int32_t_0
    .private_segment_fixed_size: 0
    .sgpr_count:     74
    .sgpr_spill_count: 0
    .symbol:         naive_conv_ab_nonpacked_fwd_nchw_int8_t_int32_t_int32_t_0.kd
    .uniform_work_group_size: 1
    .uses_dynamic_stack: false
    .vgpr_count:     18
    .vgpr_spill_count: 0
    .wavefront_size: 64
  - .agpr_count:     0
    .args:
      - .actual_access:  read_only
        .address_space:  global
        .offset:         0
        .size:           8
        .value_kind:     global_buffer
      - .actual_access:  read_only
        .address_space:  global
        .offset:         8
        .size:           8
        .value_kind:     global_buffer
      - .offset:         16
        .size:           8
        .value_kind:     by_value
      - .offset:         24
        .size:           8
        .value_kind:     by_value
      - .address_space:  global
        .offset:         32
        .size:           8
        .value_kind:     global_buffer
      - .offset:         40
        .size:           40
        .value_kind:     by_value
      - .offset:         80
        .size:           40
        .value_kind:     by_value
      - .offset:         120
        .size:           40
        .value_kind:     by_value
      - .offset:         160
        .size:           4
        .value_kind:     by_value
      - .offset:         164
        .size:           4
        .value_kind:     by_value
      - .offset:         168
        .size:           4
        .value_kind:     by_value
      - .offset:         172
        .size:           4
        .value_kind:     by_value
      - .offset:         176
        .size:           4
        .value_kind:     by_value
      - .offset:         180
        .size:           4
        .value_kind:     by_value
      - .offset:         184
        .size:           4
        .value_kind:     by_value
      - .offset:         188
        .size:           4
        .value_kind:     by_value
      - .offset:         192
        .size:           4
        .value_kind:     by_value
      - .offset:         196
        .size:           4
        .value_kind:     by_value
      - .offset:         200
        .size:           4
        .value_kind:     by_value
      - .offset:         204
        .size:           4
        .value_kind:     by_value
      - .offset:         208
        .size:           4
        .value_kind:     by_value
      - .offset:         212
        .size:           4
        .value_kind:     by_value
      - .offset:         216
        .size:           4
        .value_kind:     by_value
      - .offset:         220
        .size:           4
        .value_kind:     by_value
      - .offset:         224
        .size:           4
        .value_kind:     hidden_block_count_x
      - .offset:         228
        .size:           4
        .value_kind:     hidden_block_count_y
      - .offset:         232
        .size:           4
        .value_kind:     hidden_block_count_z
      - .offset:         236
        .size:           2
        .value_kind:     hidden_group_size_x
      - .offset:         238
        .size:           2
        .value_kind:     hidden_group_size_y
      - .offset:         240
        .size:           2
        .value_kind:     hidden_group_size_z
      - .offset:         242
        .size:           2
        .value_kind:     hidden_remainder_x
      - .offset:         244
        .size:           2
        .value_kind:     hidden_remainder_y
      - .offset:         246
        .size:           2
        .value_kind:     hidden_remainder_z
      - .offset:         264
        .size:           8
        .value_kind:     hidden_global_offset_x
      - .offset:         272
        .size:           8
        .value_kind:     hidden_global_offset_y
      - .offset:         280
        .size:           8
        .value_kind:     hidden_global_offset_z
      - .offset:         288
        .size:           2
        .value_kind:     hidden_grid_dims
    .group_segment_fixed_size: 0
    .kernarg_segment_align: 8
    .kernarg_segment_size: 480
    .language:       OpenCL C
    .language_version:
      - 2
      - 0
    .max_flat_workgroup_size: 1024
    .name:           naive_conv_ab_packed_fwd_nchw_int8_t_int32_t_float_0
    .private_segment_fixed_size: 0
    .sgpr_count:     62
    .sgpr_spill_count: 0
    .symbol:         naive_conv_ab_packed_fwd_nchw_int8_t_int32_t_float_0.kd
    .uniform_work_group_size: 1
    .uses_dynamic_stack: false
    .vgpr_count:     16
    .vgpr_spill_count: 0
    .wavefront_size: 64
  - .agpr_count:     0
    .args:
      - .actual_access:  read_only
        .address_space:  global
        .offset:         0
        .size:           8
        .value_kind:     global_buffer
      - .actual_access:  read_only
        .address_space:  global
        .offset:         8
        .size:           8
        .value_kind:     global_buffer
      - .offset:         16
        .size:           8
        .value_kind:     by_value
      - .offset:         24
        .size:           8
        .value_kind:     by_value
      - .address_space:  global
        .offset:         32
        .size:           8
        .value_kind:     global_buffer
      - .offset:         40
        .size:           40
        .value_kind:     by_value
      - .offset:         80
        .size:           40
        .value_kind:     by_value
      - .offset:         120
        .size:           40
        .value_kind:     by_value
      - .offset:         160
        .size:           4
        .value_kind:     by_value
      - .offset:         164
        .size:           4
        .value_kind:     by_value
      - .offset:         168
        .size:           4
        .value_kind:     by_value
      - .offset:         172
        .size:           4
        .value_kind:     by_value
      - .offset:         176
        .size:           4
        .value_kind:     by_value
      - .offset:         180
        .size:           4
        .value_kind:     by_value
      - .offset:         184
        .size:           4
        .value_kind:     by_value
      - .offset:         188
        .size:           4
        .value_kind:     by_value
      - .offset:         192
        .size:           4
        .value_kind:     by_value
      - .offset:         196
        .size:           4
        .value_kind:     by_value
      - .offset:         200
        .size:           4
        .value_kind:     by_value
      - .offset:         204
        .size:           4
        .value_kind:     by_value
      - .offset:         208
        .size:           4
        .value_kind:     by_value
      - .offset:         212
        .size:           4
        .value_kind:     by_value
      - .offset:         216
        .size:           4
        .value_kind:     by_value
      - .offset:         220
        .size:           4
        .value_kind:     by_value
      - .offset:         224
        .size:           4
        .value_kind:     hidden_block_count_x
      - .offset:         228
        .size:           4
        .value_kind:     hidden_block_count_y
      - .offset:         232
        .size:           4
        .value_kind:     hidden_block_count_z
      - .offset:         236
        .size:           2
        .value_kind:     hidden_group_size_x
      - .offset:         238
        .size:           2
        .value_kind:     hidden_group_size_y
      - .offset:         240
        .size:           2
        .value_kind:     hidden_group_size_z
      - .offset:         242
        .size:           2
        .value_kind:     hidden_remainder_x
      - .offset:         244
        .size:           2
        .value_kind:     hidden_remainder_y
      - .offset:         246
        .size:           2
        .value_kind:     hidden_remainder_z
      - .offset:         264
        .size:           8
        .value_kind:     hidden_global_offset_x
      - .offset:         272
        .size:           8
        .value_kind:     hidden_global_offset_y
      - .offset:         280
        .size:           8
        .value_kind:     hidden_global_offset_z
      - .offset:         288
        .size:           2
        .value_kind:     hidden_grid_dims
    .group_segment_fixed_size: 0
    .kernarg_segment_align: 8
    .kernarg_segment_size: 480
    .language:       OpenCL C
    .language_version:
      - 2
      - 0
    .max_flat_workgroup_size: 1024
    .name:           naive_conv_ab_nonpacked_fwd_nchw_int8_t_int32_t_float_0
    .private_segment_fixed_size: 0
    .sgpr_count:     74
    .sgpr_spill_count: 0
    .symbol:         naive_conv_ab_nonpacked_fwd_nchw_int8_t_int32_t_float_0.kd
    .uniform_work_group_size: 1
    .uses_dynamic_stack: false
    .vgpr_count:     18
    .vgpr_spill_count: 0
    .wavefront_size: 64
  - .agpr_count:     0
    .args:
      - .actual_access:  read_only
        .address_space:  global
        .offset:         0
        .size:           8
        .value_kind:     global_buffer
      - .actual_access:  read_only
        .address_space:  global
        .offset:         8
        .size:           8
        .value_kind:     global_buffer
      - .offset:         16
        .size:           8
        .value_kind:     by_value
      - .offset:         24
        .size:           8
        .value_kind:     by_value
      - .address_space:  global
        .offset:         32
        .size:           8
        .value_kind:     global_buffer
      - .offset:         40
        .size:           40
        .value_kind:     by_value
      - .offset:         80
        .size:           40
        .value_kind:     by_value
      - .offset:         120
        .size:           40
        .value_kind:     by_value
      - .offset:         160
        .size:           4
        .value_kind:     by_value
      - .offset:         164
        .size:           4
        .value_kind:     by_value
      - .offset:         168
        .size:           4
        .value_kind:     by_value
      - .offset:         172
        .size:           4
        .value_kind:     by_value
      - .offset:         176
        .size:           4
        .value_kind:     by_value
      - .offset:         180
        .size:           4
        .value_kind:     by_value
      - .offset:         184
        .size:           4
        .value_kind:     by_value
      - .offset:         188
        .size:           4
        .value_kind:     by_value
      - .offset:         192
        .size:           4
        .value_kind:     by_value
      - .offset:         196
        .size:           4
        .value_kind:     by_value
      - .offset:         200
        .size:           4
        .value_kind:     by_value
      - .offset:         204
        .size:           4
        .value_kind:     by_value
      - .offset:         208
        .size:           4
        .value_kind:     by_value
      - .offset:         212
        .size:           4
        .value_kind:     by_value
      - .offset:         216
        .size:           4
        .value_kind:     by_value
      - .offset:         220
        .size:           4
        .value_kind:     by_value
      - .offset:         224
        .size:           4
        .value_kind:     hidden_block_count_x
      - .offset:         228
        .size:           4
        .value_kind:     hidden_block_count_y
      - .offset:         232
        .size:           4
        .value_kind:     hidden_block_count_z
      - .offset:         236
        .size:           2
        .value_kind:     hidden_group_size_x
      - .offset:         238
        .size:           2
        .value_kind:     hidden_group_size_y
      - .offset:         240
        .size:           2
        .value_kind:     hidden_group_size_z
      - .offset:         242
        .size:           2
        .value_kind:     hidden_remainder_x
      - .offset:         244
        .size:           2
        .value_kind:     hidden_remainder_y
      - .offset:         246
        .size:           2
        .value_kind:     hidden_remainder_z
      - .offset:         264
        .size:           8
        .value_kind:     hidden_global_offset_x
      - .offset:         272
        .size:           8
        .value_kind:     hidden_global_offset_y
      - .offset:         280
        .size:           8
        .value_kind:     hidden_global_offset_z
      - .offset:         288
        .size:           2
        .value_kind:     hidden_grid_dims
    .group_segment_fixed_size: 0
    .kernarg_segment_align: 8
    .kernarg_segment_size: 480
    .language:       OpenCL C
    .language_version:
      - 2
      - 0
    .max_flat_workgroup_size: 1024
    .name:           naive_conv_ab_packed_fwd_nhwc_float_double_float_0
    .private_segment_fixed_size: 0
    .sgpr_count:     69
    .sgpr_spill_count: 0
    .symbol:         naive_conv_ab_packed_fwd_nhwc_float_double_float_0.kd
    .uniform_work_group_size: 1
    .uses_dynamic_stack: false
    .vgpr_count:     28
    .vgpr_spill_count: 0
    .wavefront_size: 64
  - .agpr_count:     0
    .args:
      - .actual_access:  read_only
        .address_space:  global
        .offset:         0
        .size:           8
        .value_kind:     global_buffer
      - .actual_access:  read_only
        .address_space:  global
        .offset:         8
        .size:           8
        .value_kind:     global_buffer
      - .offset:         16
        .size:           8
        .value_kind:     by_value
      - .offset:         24
        .size:           8
        .value_kind:     by_value
      - .address_space:  global
        .offset:         32
        .size:           8
        .value_kind:     global_buffer
      - .offset:         40
        .size:           40
        .value_kind:     by_value
      - .offset:         80
        .size:           40
        .value_kind:     by_value
      - .offset:         120
        .size:           40
        .value_kind:     by_value
      - .offset:         160
        .size:           4
        .value_kind:     by_value
      - .offset:         164
        .size:           4
        .value_kind:     by_value
      - .offset:         168
        .size:           4
        .value_kind:     by_value
      - .offset:         172
        .size:           4
        .value_kind:     by_value
      - .offset:         176
        .size:           4
        .value_kind:     by_value
      - .offset:         180
        .size:           4
        .value_kind:     by_value
      - .offset:         184
        .size:           4
        .value_kind:     by_value
      - .offset:         188
        .size:           4
        .value_kind:     by_value
      - .offset:         192
        .size:           4
        .value_kind:     by_value
      - .offset:         196
        .size:           4
        .value_kind:     by_value
      - .offset:         200
        .size:           4
        .value_kind:     by_value
      - .offset:         204
        .size:           4
        .value_kind:     by_value
      - .offset:         208
        .size:           4
        .value_kind:     by_value
      - .offset:         212
        .size:           4
        .value_kind:     by_value
      - .offset:         216
        .size:           4
        .value_kind:     by_value
      - .offset:         220
        .size:           4
        .value_kind:     by_value
      - .offset:         224
        .size:           4
        .value_kind:     hidden_block_count_x
      - .offset:         228
        .size:           4
        .value_kind:     hidden_block_count_y
      - .offset:         232
        .size:           4
        .value_kind:     hidden_block_count_z
      - .offset:         236
        .size:           2
        .value_kind:     hidden_group_size_x
      - .offset:         238
        .size:           2
        .value_kind:     hidden_group_size_y
      - .offset:         240
        .size:           2
        .value_kind:     hidden_group_size_z
      - .offset:         242
        .size:           2
        .value_kind:     hidden_remainder_x
      - .offset:         244
        .size:           2
        .value_kind:     hidden_remainder_y
      - .offset:         246
        .size:           2
        .value_kind:     hidden_remainder_z
      - .offset:         264
        .size:           8
        .value_kind:     hidden_global_offset_x
      - .offset:         272
        .size:           8
        .value_kind:     hidden_global_offset_y
      - .offset:         280
        .size:           8
        .value_kind:     hidden_global_offset_z
      - .offset:         288
        .size:           2
        .value_kind:     hidden_grid_dims
    .group_segment_fixed_size: 0
    .kernarg_segment_align: 8
    .kernarg_segment_size: 480
    .language:       OpenCL C
    .language_version:
      - 2
      - 0
    .max_flat_workgroup_size: 1024
    .name:           naive_conv_ab_nonpacked_fwd_nhwc_float_double_float_0
    .private_segment_fixed_size: 0
    .sgpr_count:     79
    .sgpr_spill_count: 0
    .symbol:         naive_conv_ab_nonpacked_fwd_nhwc_float_double_float_0.kd
    .uniform_work_group_size: 1
    .uses_dynamic_stack: false
    .vgpr_count:     28
    .vgpr_spill_count: 0
    .wavefront_size: 64
  - .agpr_count:     0
    .args:
      - .actual_access:  read_only
        .address_space:  global
        .offset:         0
        .size:           8
        .value_kind:     global_buffer
      - .actual_access:  read_only
        .address_space:  global
        .offset:         8
        .size:           8
        .value_kind:     global_buffer
      - .offset:         16
        .size:           8
        .value_kind:     by_value
      - .offset:         24
        .size:           8
        .value_kind:     by_value
      - .address_space:  global
        .offset:         32
        .size:           8
        .value_kind:     global_buffer
      - .offset:         40
        .size:           40
        .value_kind:     by_value
      - .offset:         80
        .size:           40
        .value_kind:     by_value
      - .offset:         120
        .size:           40
        .value_kind:     by_value
      - .offset:         160
        .size:           4
        .value_kind:     by_value
      - .offset:         164
        .size:           4
        .value_kind:     by_value
      - .offset:         168
        .size:           4
        .value_kind:     by_value
      - .offset:         172
        .size:           4
        .value_kind:     by_value
      - .offset:         176
        .size:           4
        .value_kind:     by_value
      - .offset:         180
        .size:           4
        .value_kind:     by_value
      - .offset:         184
        .size:           4
        .value_kind:     by_value
      - .offset:         188
        .size:           4
        .value_kind:     by_value
      - .offset:         192
        .size:           4
        .value_kind:     by_value
      - .offset:         196
        .size:           4
        .value_kind:     by_value
      - .offset:         200
        .size:           4
        .value_kind:     by_value
      - .offset:         204
        .size:           4
        .value_kind:     by_value
      - .offset:         208
        .size:           4
        .value_kind:     by_value
      - .offset:         212
        .size:           4
        .value_kind:     by_value
      - .offset:         216
        .size:           4
        .value_kind:     by_value
      - .offset:         220
        .size:           4
        .value_kind:     by_value
      - .offset:         224
        .size:           4
        .value_kind:     hidden_block_count_x
      - .offset:         228
        .size:           4
        .value_kind:     hidden_block_count_y
      - .offset:         232
        .size:           4
        .value_kind:     hidden_block_count_z
      - .offset:         236
        .size:           2
        .value_kind:     hidden_group_size_x
      - .offset:         238
        .size:           2
        .value_kind:     hidden_group_size_y
      - .offset:         240
        .size:           2
        .value_kind:     hidden_group_size_z
      - .offset:         242
        .size:           2
        .value_kind:     hidden_remainder_x
      - .offset:         244
        .size:           2
        .value_kind:     hidden_remainder_y
      - .offset:         246
        .size:           2
        .value_kind:     hidden_remainder_z
      - .offset:         264
        .size:           8
        .value_kind:     hidden_global_offset_x
      - .offset:         272
        .size:           8
        .value_kind:     hidden_global_offset_y
      - .offset:         280
        .size:           8
        .value_kind:     hidden_global_offset_z
      - .offset:         288
        .size:           2
        .value_kind:     hidden_grid_dims
    .group_segment_fixed_size: 0
    .kernarg_segment_align: 8
    .kernarg_segment_size: 480
    .language:       OpenCL C
    .language_version:
      - 2
      - 0
    .max_flat_workgroup_size: 1024
    .name:           naive_conv_ab_packed_fwd_nhwc_float_double_float_1
    .private_segment_fixed_size: 0
    .sgpr_count:     69
    .sgpr_spill_count: 0
    .symbol:         naive_conv_ab_packed_fwd_nhwc_float_double_float_1.kd
    .uniform_work_group_size: 1
    .uses_dynamic_stack: false
    .vgpr_count:     28
    .vgpr_spill_count: 0
    .wavefront_size: 64
  - .agpr_count:     0
    .args:
      - .actual_access:  read_only
        .address_space:  global
        .offset:         0
        .size:           8
        .value_kind:     global_buffer
      - .actual_access:  read_only
        .address_space:  global
        .offset:         8
        .size:           8
        .value_kind:     global_buffer
      - .offset:         16
        .size:           8
        .value_kind:     by_value
      - .offset:         24
        .size:           8
        .value_kind:     by_value
      - .address_space:  global
        .offset:         32
        .size:           8
        .value_kind:     global_buffer
      - .offset:         40
        .size:           40
        .value_kind:     by_value
      - .offset:         80
        .size:           40
        .value_kind:     by_value
      - .offset:         120
        .size:           40
        .value_kind:     by_value
      - .offset:         160
        .size:           4
        .value_kind:     by_value
      - .offset:         164
        .size:           4
        .value_kind:     by_value
      - .offset:         168
        .size:           4
        .value_kind:     by_value
      - .offset:         172
        .size:           4
        .value_kind:     by_value
      - .offset:         176
        .size:           4
        .value_kind:     by_value
      - .offset:         180
        .size:           4
        .value_kind:     by_value
      - .offset:         184
        .size:           4
        .value_kind:     by_value
      - .offset:         188
        .size:           4
        .value_kind:     by_value
      - .offset:         192
        .size:           4
        .value_kind:     by_value
      - .offset:         196
        .size:           4
        .value_kind:     by_value
      - .offset:         200
        .size:           4
        .value_kind:     by_value
      - .offset:         204
        .size:           4
        .value_kind:     by_value
      - .offset:         208
        .size:           4
        .value_kind:     by_value
      - .offset:         212
        .size:           4
        .value_kind:     by_value
      - .offset:         216
        .size:           4
        .value_kind:     by_value
      - .offset:         220
        .size:           4
        .value_kind:     by_value
      - .offset:         224
        .size:           4
        .value_kind:     hidden_block_count_x
      - .offset:         228
        .size:           4
        .value_kind:     hidden_block_count_y
      - .offset:         232
        .size:           4
        .value_kind:     hidden_block_count_z
      - .offset:         236
        .size:           2
        .value_kind:     hidden_group_size_x
      - .offset:         238
        .size:           2
        .value_kind:     hidden_group_size_y
      - .offset:         240
        .size:           2
        .value_kind:     hidden_group_size_z
      - .offset:         242
        .size:           2
        .value_kind:     hidden_remainder_x
      - .offset:         244
        .size:           2
        .value_kind:     hidden_remainder_y
      - .offset:         246
        .size:           2
        .value_kind:     hidden_remainder_z
      - .offset:         264
        .size:           8
        .value_kind:     hidden_global_offset_x
      - .offset:         272
        .size:           8
        .value_kind:     hidden_global_offset_y
      - .offset:         280
        .size:           8
        .value_kind:     hidden_global_offset_z
      - .offset:         288
        .size:           2
        .value_kind:     hidden_grid_dims
    .group_segment_fixed_size: 0
    .kernarg_segment_align: 8
    .kernarg_segment_size: 480
    .language:       OpenCL C
    .language_version:
      - 2
      - 0
    .max_flat_workgroup_size: 1024
    .name:           naive_conv_ab_nonpacked_fwd_nhwc_float_double_float_1
    .private_segment_fixed_size: 0
    .sgpr_count:     79
    .sgpr_spill_count: 0
    .symbol:         naive_conv_ab_nonpacked_fwd_nhwc_float_double_float_1.kd
    .uniform_work_group_size: 1
    .uses_dynamic_stack: false
    .vgpr_count:     28
    .vgpr_spill_count: 0
    .wavefront_size: 64
  - .agpr_count:     0
    .args:
      - .actual_access:  read_only
        .address_space:  global
        .offset:         0
        .size:           8
        .value_kind:     global_buffer
      - .actual_access:  read_only
        .address_space:  global
        .offset:         8
        .size:           8
        .value_kind:     global_buffer
      - .offset:         16
        .size:           8
        .value_kind:     by_value
      - .offset:         24
        .size:           8
        .value_kind:     by_value
      - .address_space:  global
        .offset:         32
        .size:           8
        .value_kind:     global_buffer
      - .offset:         40
        .size:           40
        .value_kind:     by_value
      - .offset:         80
        .size:           40
        .value_kind:     by_value
      - .offset:         120
        .size:           40
        .value_kind:     by_value
      - .offset:         160
        .size:           4
        .value_kind:     by_value
      - .offset:         164
        .size:           4
        .value_kind:     by_value
      - .offset:         168
        .size:           4
        .value_kind:     by_value
      - .offset:         172
        .size:           4
        .value_kind:     by_value
      - .offset:         176
        .size:           4
        .value_kind:     by_value
      - .offset:         180
        .size:           4
        .value_kind:     by_value
      - .offset:         184
        .size:           4
        .value_kind:     by_value
      - .offset:         188
        .size:           4
        .value_kind:     by_value
      - .offset:         192
        .size:           4
        .value_kind:     by_value
      - .offset:         196
        .size:           4
        .value_kind:     by_value
      - .offset:         200
        .size:           4
        .value_kind:     by_value
      - .offset:         204
        .size:           4
        .value_kind:     by_value
      - .offset:         208
        .size:           4
        .value_kind:     by_value
      - .offset:         212
        .size:           4
        .value_kind:     by_value
      - .offset:         216
        .size:           4
        .value_kind:     by_value
      - .offset:         220
        .size:           4
        .value_kind:     by_value
      - .offset:         224
        .size:           4
        .value_kind:     hidden_block_count_x
      - .offset:         228
        .size:           4
        .value_kind:     hidden_block_count_y
      - .offset:         232
        .size:           4
        .value_kind:     hidden_block_count_z
      - .offset:         236
        .size:           2
        .value_kind:     hidden_group_size_x
      - .offset:         238
        .size:           2
        .value_kind:     hidden_group_size_y
      - .offset:         240
        .size:           2
        .value_kind:     hidden_group_size_z
      - .offset:         242
        .size:           2
        .value_kind:     hidden_remainder_x
      - .offset:         244
        .size:           2
        .value_kind:     hidden_remainder_y
      - .offset:         246
        .size:           2
        .value_kind:     hidden_remainder_z
      - .offset:         264
        .size:           8
        .value_kind:     hidden_global_offset_x
      - .offset:         272
        .size:           8
        .value_kind:     hidden_global_offset_y
      - .offset:         280
        .size:           8
        .value_kind:     hidden_global_offset_z
      - .offset:         288
        .size:           2
        .value_kind:     hidden_grid_dims
    .group_segment_fixed_size: 0
    .kernarg_segment_align: 8
    .kernarg_segment_size: 480
    .language:       OpenCL C
    .language_version:
      - 2
      - 0
    .max_flat_workgroup_size: 1024
    .name:           naive_conv_ab_packed_fwd_nhwc_half_double_half_0
    .private_segment_fixed_size: 0
    .sgpr_count:     69
    .sgpr_spill_count: 0
    .symbol:         naive_conv_ab_packed_fwd_nhwc_half_double_half_0.kd
    .uniform_work_group_size: 1
    .uses_dynamic_stack: false
    .vgpr_count:     28
    .vgpr_spill_count: 0
    .wavefront_size: 64
  - .agpr_count:     0
    .args:
      - .actual_access:  read_only
        .address_space:  global
        .offset:         0
        .size:           8
        .value_kind:     global_buffer
      - .actual_access:  read_only
        .address_space:  global
        .offset:         8
        .size:           8
        .value_kind:     global_buffer
      - .offset:         16
        .size:           8
        .value_kind:     by_value
      - .offset:         24
        .size:           8
        .value_kind:     by_value
      - .address_space:  global
        .offset:         32
        .size:           8
        .value_kind:     global_buffer
      - .offset:         40
        .size:           40
        .value_kind:     by_value
      - .offset:         80
        .size:           40
        .value_kind:     by_value
      - .offset:         120
        .size:           40
        .value_kind:     by_value
      - .offset:         160
        .size:           4
        .value_kind:     by_value
      - .offset:         164
        .size:           4
        .value_kind:     by_value
      - .offset:         168
        .size:           4
        .value_kind:     by_value
      - .offset:         172
        .size:           4
        .value_kind:     by_value
      - .offset:         176
        .size:           4
        .value_kind:     by_value
      - .offset:         180
        .size:           4
        .value_kind:     by_value
      - .offset:         184
        .size:           4
        .value_kind:     by_value
      - .offset:         188
        .size:           4
        .value_kind:     by_value
      - .offset:         192
        .size:           4
        .value_kind:     by_value
      - .offset:         196
        .size:           4
        .value_kind:     by_value
      - .offset:         200
        .size:           4
        .value_kind:     by_value
      - .offset:         204
        .size:           4
        .value_kind:     by_value
      - .offset:         208
        .size:           4
        .value_kind:     by_value
      - .offset:         212
        .size:           4
        .value_kind:     by_value
      - .offset:         216
        .size:           4
        .value_kind:     by_value
      - .offset:         220
        .size:           4
        .value_kind:     by_value
      - .offset:         224
        .size:           4
        .value_kind:     hidden_block_count_x
      - .offset:         228
        .size:           4
        .value_kind:     hidden_block_count_y
      - .offset:         232
        .size:           4
        .value_kind:     hidden_block_count_z
      - .offset:         236
        .size:           2
        .value_kind:     hidden_group_size_x
      - .offset:         238
        .size:           2
        .value_kind:     hidden_group_size_y
      - .offset:         240
        .size:           2
        .value_kind:     hidden_group_size_z
      - .offset:         242
        .size:           2
        .value_kind:     hidden_remainder_x
      - .offset:         244
        .size:           2
        .value_kind:     hidden_remainder_y
      - .offset:         246
        .size:           2
        .value_kind:     hidden_remainder_z
      - .offset:         264
        .size:           8
        .value_kind:     hidden_global_offset_x
      - .offset:         272
        .size:           8
        .value_kind:     hidden_global_offset_y
      - .offset:         280
        .size:           8
        .value_kind:     hidden_global_offset_z
      - .offset:         288
        .size:           2
        .value_kind:     hidden_grid_dims
    .group_segment_fixed_size: 0
    .kernarg_segment_align: 8
    .kernarg_segment_size: 480
    .language:       OpenCL C
    .language_version:
      - 2
      - 0
    .max_flat_workgroup_size: 1024
    .name:           naive_conv_ab_nonpacked_fwd_nhwc_half_double_half_0
    .private_segment_fixed_size: 0
    .sgpr_count:     79
    .sgpr_spill_count: 0
    .symbol:         naive_conv_ab_nonpacked_fwd_nhwc_half_double_half_0.kd
    .uniform_work_group_size: 1
    .uses_dynamic_stack: false
    .vgpr_count:     28
    .vgpr_spill_count: 0
    .wavefront_size: 64
  - .agpr_count:     0
    .args:
      - .actual_access:  read_only
        .address_space:  global
        .offset:         0
        .size:           8
        .value_kind:     global_buffer
      - .actual_access:  read_only
        .address_space:  global
        .offset:         8
        .size:           8
        .value_kind:     global_buffer
      - .offset:         16
        .size:           8
        .value_kind:     by_value
      - .offset:         24
        .size:           8
        .value_kind:     by_value
      - .address_space:  global
        .offset:         32
        .size:           8
        .value_kind:     global_buffer
      - .offset:         40
        .size:           40
        .value_kind:     by_value
      - .offset:         80
        .size:           40
        .value_kind:     by_value
      - .offset:         120
        .size:           40
        .value_kind:     by_value
      - .offset:         160
        .size:           4
        .value_kind:     by_value
      - .offset:         164
        .size:           4
        .value_kind:     by_value
      - .offset:         168
        .size:           4
        .value_kind:     by_value
      - .offset:         172
        .size:           4
        .value_kind:     by_value
      - .offset:         176
        .size:           4
        .value_kind:     by_value
      - .offset:         180
        .size:           4
        .value_kind:     by_value
      - .offset:         184
        .size:           4
        .value_kind:     by_value
      - .offset:         188
        .size:           4
        .value_kind:     by_value
      - .offset:         192
        .size:           4
        .value_kind:     by_value
      - .offset:         196
        .size:           4
        .value_kind:     by_value
      - .offset:         200
        .size:           4
        .value_kind:     by_value
      - .offset:         204
        .size:           4
        .value_kind:     by_value
      - .offset:         208
        .size:           4
        .value_kind:     by_value
      - .offset:         212
        .size:           4
        .value_kind:     by_value
      - .offset:         216
        .size:           4
        .value_kind:     by_value
      - .offset:         220
        .size:           4
        .value_kind:     by_value
      - .offset:         224
        .size:           4
        .value_kind:     hidden_block_count_x
      - .offset:         228
        .size:           4
        .value_kind:     hidden_block_count_y
      - .offset:         232
        .size:           4
        .value_kind:     hidden_block_count_z
      - .offset:         236
        .size:           2
        .value_kind:     hidden_group_size_x
      - .offset:         238
        .size:           2
        .value_kind:     hidden_group_size_y
      - .offset:         240
        .size:           2
        .value_kind:     hidden_group_size_z
      - .offset:         242
        .size:           2
        .value_kind:     hidden_remainder_x
      - .offset:         244
        .size:           2
        .value_kind:     hidden_remainder_y
      - .offset:         246
        .size:           2
        .value_kind:     hidden_remainder_z
      - .offset:         264
        .size:           8
        .value_kind:     hidden_global_offset_x
      - .offset:         272
        .size:           8
        .value_kind:     hidden_global_offset_y
      - .offset:         280
        .size:           8
        .value_kind:     hidden_global_offset_z
      - .offset:         288
        .size:           2
        .value_kind:     hidden_grid_dims
    .group_segment_fixed_size: 0
    .kernarg_segment_align: 8
    .kernarg_segment_size: 480
    .language:       OpenCL C
    .language_version:
      - 2
      - 0
    .max_flat_workgroup_size: 1024
    .name:           naive_conv_ab_packed_fwd_nhwc_ushort_double_ushort_0
    .private_segment_fixed_size: 0
    .sgpr_count:     70
    .sgpr_spill_count: 0
    .symbol:         naive_conv_ab_packed_fwd_nhwc_ushort_double_ushort_0.kd
    .uniform_work_group_size: 1
    .uses_dynamic_stack: false
    .vgpr_count:     28
    .vgpr_spill_count: 0
    .wavefront_size: 64
  - .agpr_count:     0
    .args:
      - .actual_access:  read_only
        .address_space:  global
        .offset:         0
        .size:           8
        .value_kind:     global_buffer
      - .actual_access:  read_only
        .address_space:  global
        .offset:         8
        .size:           8
        .value_kind:     global_buffer
      - .offset:         16
        .size:           8
        .value_kind:     by_value
      - .offset:         24
        .size:           8
        .value_kind:     by_value
      - .address_space:  global
        .offset:         32
        .size:           8
        .value_kind:     global_buffer
      - .offset:         40
        .size:           40
        .value_kind:     by_value
      - .offset:         80
        .size:           40
        .value_kind:     by_value
      - .offset:         120
        .size:           40
        .value_kind:     by_value
      - .offset:         160
        .size:           4
        .value_kind:     by_value
      - .offset:         164
        .size:           4
        .value_kind:     by_value
      - .offset:         168
        .size:           4
        .value_kind:     by_value
      - .offset:         172
        .size:           4
        .value_kind:     by_value
      - .offset:         176
        .size:           4
        .value_kind:     by_value
      - .offset:         180
        .size:           4
        .value_kind:     by_value
      - .offset:         184
        .size:           4
        .value_kind:     by_value
      - .offset:         188
        .size:           4
        .value_kind:     by_value
      - .offset:         192
        .size:           4
        .value_kind:     by_value
      - .offset:         196
        .size:           4
        .value_kind:     by_value
      - .offset:         200
        .size:           4
        .value_kind:     by_value
      - .offset:         204
        .size:           4
        .value_kind:     by_value
      - .offset:         208
        .size:           4
        .value_kind:     by_value
      - .offset:         212
        .size:           4
        .value_kind:     by_value
      - .offset:         216
        .size:           4
        .value_kind:     by_value
      - .offset:         220
        .size:           4
        .value_kind:     by_value
      - .offset:         224
        .size:           4
        .value_kind:     hidden_block_count_x
      - .offset:         228
        .size:           4
        .value_kind:     hidden_block_count_y
      - .offset:         232
        .size:           4
        .value_kind:     hidden_block_count_z
      - .offset:         236
        .size:           2
        .value_kind:     hidden_group_size_x
      - .offset:         238
        .size:           2
        .value_kind:     hidden_group_size_y
      - .offset:         240
        .size:           2
        .value_kind:     hidden_group_size_z
      - .offset:         242
        .size:           2
        .value_kind:     hidden_remainder_x
      - .offset:         244
        .size:           2
        .value_kind:     hidden_remainder_y
      - .offset:         246
        .size:           2
        .value_kind:     hidden_remainder_z
      - .offset:         264
        .size:           8
        .value_kind:     hidden_global_offset_x
      - .offset:         272
        .size:           8
        .value_kind:     hidden_global_offset_y
      - .offset:         280
        .size:           8
        .value_kind:     hidden_global_offset_z
      - .offset:         288
        .size:           2
        .value_kind:     hidden_grid_dims
    .group_segment_fixed_size: 0
    .kernarg_segment_align: 8
    .kernarg_segment_size: 480
    .language:       OpenCL C
    .language_version:
      - 2
      - 0
    .max_flat_workgroup_size: 1024
    .name:           naive_conv_ab_nonpacked_fwd_nhwc_ushort_double_ushort_0
    .private_segment_fixed_size: 0
    .sgpr_count:     80
    .sgpr_spill_count: 0
    .symbol:         naive_conv_ab_nonpacked_fwd_nhwc_ushort_double_ushort_0.kd
    .uniform_work_group_size: 1
    .uses_dynamic_stack: false
    .vgpr_count:     30
    .vgpr_spill_count: 0
    .wavefront_size: 64
  - .agpr_count:     0
    .args:
      - .actual_access:  read_only
        .address_space:  global
        .offset:         0
        .size:           8
        .value_kind:     global_buffer
      - .actual_access:  read_only
        .address_space:  global
        .offset:         8
        .size:           8
        .value_kind:     global_buffer
      - .offset:         16
        .size:           8
        .value_kind:     by_value
      - .offset:         24
        .size:           8
        .value_kind:     by_value
      - .address_space:  global
        .offset:         32
        .size:           8
        .value_kind:     global_buffer
      - .offset:         40
        .size:           40
        .value_kind:     by_value
      - .offset:         80
        .size:           40
        .value_kind:     by_value
      - .offset:         120
        .size:           40
        .value_kind:     by_value
      - .offset:         160
        .size:           4
        .value_kind:     by_value
      - .offset:         164
        .size:           4
        .value_kind:     by_value
      - .offset:         168
        .size:           4
        .value_kind:     by_value
      - .offset:         172
        .size:           4
        .value_kind:     by_value
      - .offset:         176
        .size:           4
        .value_kind:     by_value
      - .offset:         180
        .size:           4
        .value_kind:     by_value
      - .offset:         184
        .size:           4
        .value_kind:     by_value
      - .offset:         188
        .size:           4
        .value_kind:     by_value
      - .offset:         192
        .size:           4
        .value_kind:     by_value
      - .offset:         196
        .size:           4
        .value_kind:     by_value
      - .offset:         200
        .size:           4
        .value_kind:     by_value
      - .offset:         204
        .size:           4
        .value_kind:     by_value
      - .offset:         208
        .size:           4
        .value_kind:     by_value
      - .offset:         212
        .size:           4
        .value_kind:     by_value
      - .offset:         216
        .size:           4
        .value_kind:     by_value
      - .offset:         220
        .size:           4
        .value_kind:     by_value
      - .offset:         224
        .size:           4
        .value_kind:     hidden_block_count_x
      - .offset:         228
        .size:           4
        .value_kind:     hidden_block_count_y
      - .offset:         232
        .size:           4
        .value_kind:     hidden_block_count_z
      - .offset:         236
        .size:           2
        .value_kind:     hidden_group_size_x
      - .offset:         238
        .size:           2
        .value_kind:     hidden_group_size_y
      - .offset:         240
        .size:           2
        .value_kind:     hidden_group_size_z
      - .offset:         242
        .size:           2
        .value_kind:     hidden_remainder_x
      - .offset:         244
        .size:           2
        .value_kind:     hidden_remainder_y
      - .offset:         246
        .size:           2
        .value_kind:     hidden_remainder_z
      - .offset:         264
        .size:           8
        .value_kind:     hidden_global_offset_x
      - .offset:         272
        .size:           8
        .value_kind:     hidden_global_offset_y
      - .offset:         280
        .size:           8
        .value_kind:     hidden_global_offset_z
      - .offset:         288
        .size:           2
        .value_kind:     hidden_grid_dims
    .group_segment_fixed_size: 0
    .kernarg_segment_align: 8
    .kernarg_segment_size: 480
    .language:       OpenCL C
    .language_version:
      - 2
      - 0
    .max_flat_workgroup_size: 1024
    .name:           naive_conv_ab_packed_fwd_nhwc_int8_t_int32_t_int8_t_0
    .private_segment_fixed_size: 0
    .sgpr_count:     64
    .sgpr_spill_count: 0
    .symbol:         naive_conv_ab_packed_fwd_nhwc_int8_t_int32_t_int8_t_0.kd
    .uniform_work_group_size: 1
    .uses_dynamic_stack: false
    .vgpr_count:     26
    .vgpr_spill_count: 0
    .wavefront_size: 64
  - .agpr_count:     0
    .args:
      - .actual_access:  read_only
        .address_space:  global
        .offset:         0
        .size:           8
        .value_kind:     global_buffer
      - .actual_access:  read_only
        .address_space:  global
        .offset:         8
        .size:           8
        .value_kind:     global_buffer
      - .offset:         16
        .size:           8
        .value_kind:     by_value
      - .offset:         24
        .size:           8
        .value_kind:     by_value
      - .address_space:  global
        .offset:         32
        .size:           8
        .value_kind:     global_buffer
      - .offset:         40
        .size:           40
        .value_kind:     by_value
      - .offset:         80
        .size:           40
        .value_kind:     by_value
      - .offset:         120
        .size:           40
        .value_kind:     by_value
      - .offset:         160
        .size:           4
        .value_kind:     by_value
      - .offset:         164
        .size:           4
        .value_kind:     by_value
      - .offset:         168
        .size:           4
        .value_kind:     by_value
      - .offset:         172
        .size:           4
        .value_kind:     by_value
      - .offset:         176
        .size:           4
        .value_kind:     by_value
      - .offset:         180
        .size:           4
        .value_kind:     by_value
      - .offset:         184
        .size:           4
        .value_kind:     by_value
      - .offset:         188
        .size:           4
        .value_kind:     by_value
      - .offset:         192
        .size:           4
        .value_kind:     by_value
      - .offset:         196
        .size:           4
        .value_kind:     by_value
      - .offset:         200
        .size:           4
        .value_kind:     by_value
      - .offset:         204
        .size:           4
        .value_kind:     by_value
      - .offset:         208
        .size:           4
        .value_kind:     by_value
      - .offset:         212
        .size:           4
        .value_kind:     by_value
      - .offset:         216
        .size:           4
        .value_kind:     by_value
      - .offset:         220
        .size:           4
        .value_kind:     by_value
      - .offset:         224
        .size:           4
        .value_kind:     hidden_block_count_x
      - .offset:         228
        .size:           4
        .value_kind:     hidden_block_count_y
      - .offset:         232
        .size:           4
        .value_kind:     hidden_block_count_z
      - .offset:         236
        .size:           2
        .value_kind:     hidden_group_size_x
      - .offset:         238
        .size:           2
        .value_kind:     hidden_group_size_y
      - .offset:         240
        .size:           2
        .value_kind:     hidden_group_size_z
      - .offset:         242
        .size:           2
        .value_kind:     hidden_remainder_x
      - .offset:         244
        .size:           2
        .value_kind:     hidden_remainder_y
      - .offset:         246
        .size:           2
        .value_kind:     hidden_remainder_z
      - .offset:         264
        .size:           8
        .value_kind:     hidden_global_offset_x
      - .offset:         272
        .size:           8
        .value_kind:     hidden_global_offset_y
      - .offset:         280
        .size:           8
        .value_kind:     hidden_global_offset_z
      - .offset:         288
        .size:           2
        .value_kind:     hidden_grid_dims
    .group_segment_fixed_size: 0
    .kernarg_segment_align: 8
    .kernarg_segment_size: 480
    .language:       OpenCL C
    .language_version:
      - 2
      - 0
    .max_flat_workgroup_size: 1024
    .name:           naive_conv_ab_nonpacked_fwd_nhwc_int8_t_int32_t_int8_t_0
    .private_segment_fixed_size: 0
    .sgpr_count:     75
    .sgpr_spill_count: 0
    .symbol:         naive_conv_ab_nonpacked_fwd_nhwc_int8_t_int32_t_int8_t_0.kd
    .uniform_work_group_size: 1
    .uses_dynamic_stack: false
    .vgpr_count:     27
    .vgpr_spill_count: 0
    .wavefront_size: 64
  - .agpr_count:     0
    .args:
      - .actual_access:  read_only
        .address_space:  global
        .offset:         0
        .size:           8
        .value_kind:     global_buffer
      - .actual_access:  read_only
        .address_space:  global
        .offset:         8
        .size:           8
        .value_kind:     global_buffer
      - .offset:         16
        .size:           8
        .value_kind:     by_value
      - .offset:         24
        .size:           8
        .value_kind:     by_value
      - .address_space:  global
        .offset:         32
        .size:           8
        .value_kind:     global_buffer
      - .offset:         40
        .size:           40
        .value_kind:     by_value
      - .offset:         80
        .size:           40
        .value_kind:     by_value
      - .offset:         120
        .size:           40
        .value_kind:     by_value
      - .offset:         160
        .size:           4
        .value_kind:     by_value
      - .offset:         164
        .size:           4
        .value_kind:     by_value
      - .offset:         168
        .size:           4
        .value_kind:     by_value
      - .offset:         172
        .size:           4
        .value_kind:     by_value
      - .offset:         176
        .size:           4
        .value_kind:     by_value
      - .offset:         180
        .size:           4
        .value_kind:     by_value
      - .offset:         184
        .size:           4
        .value_kind:     by_value
      - .offset:         188
        .size:           4
        .value_kind:     by_value
      - .offset:         192
        .size:           4
        .value_kind:     by_value
      - .offset:         196
        .size:           4
        .value_kind:     by_value
      - .offset:         200
        .size:           4
        .value_kind:     by_value
      - .offset:         204
        .size:           4
        .value_kind:     by_value
      - .offset:         208
        .size:           4
        .value_kind:     by_value
      - .offset:         212
        .size:           4
        .value_kind:     by_value
      - .offset:         216
        .size:           4
        .value_kind:     by_value
      - .offset:         220
        .size:           4
        .value_kind:     by_value
      - .offset:         224
        .size:           4
        .value_kind:     hidden_block_count_x
      - .offset:         228
        .size:           4
        .value_kind:     hidden_block_count_y
      - .offset:         232
        .size:           4
        .value_kind:     hidden_block_count_z
      - .offset:         236
        .size:           2
        .value_kind:     hidden_group_size_x
      - .offset:         238
        .size:           2
        .value_kind:     hidden_group_size_y
      - .offset:         240
        .size:           2
        .value_kind:     hidden_group_size_z
      - .offset:         242
        .size:           2
        .value_kind:     hidden_remainder_x
      - .offset:         244
        .size:           2
        .value_kind:     hidden_remainder_y
      - .offset:         246
        .size:           2
        .value_kind:     hidden_remainder_z
      - .offset:         264
        .size:           8
        .value_kind:     hidden_global_offset_x
      - .offset:         272
        .size:           8
        .value_kind:     hidden_global_offset_y
      - .offset:         280
        .size:           8
        .value_kind:     hidden_global_offset_z
      - .offset:         288
        .size:           2
        .value_kind:     hidden_grid_dims
    .group_segment_fixed_size: 0
    .kernarg_segment_align: 8
    .kernarg_segment_size: 480
    .language:       OpenCL C
    .language_version:
      - 2
      - 0
    .max_flat_workgroup_size: 1024
    .name:           naive_conv_ab_packed_fwd_nhwc_int8_t_int32_t_int32_t_0
    .private_segment_fixed_size: 0
    .sgpr_count:     64
    .sgpr_spill_count: 0
    .symbol:         naive_conv_ab_packed_fwd_nhwc_int8_t_int32_t_int32_t_0.kd
    .uniform_work_group_size: 1
    .uses_dynamic_stack: false
    .vgpr_count:     26
    .vgpr_spill_count: 0
    .wavefront_size: 64
  - .agpr_count:     0
    .args:
      - .actual_access:  read_only
        .address_space:  global
        .offset:         0
        .size:           8
        .value_kind:     global_buffer
      - .actual_access:  read_only
        .address_space:  global
        .offset:         8
        .size:           8
        .value_kind:     global_buffer
      - .offset:         16
        .size:           8
        .value_kind:     by_value
      - .offset:         24
        .size:           8
        .value_kind:     by_value
      - .address_space:  global
        .offset:         32
        .size:           8
        .value_kind:     global_buffer
      - .offset:         40
        .size:           40
        .value_kind:     by_value
      - .offset:         80
        .size:           40
        .value_kind:     by_value
      - .offset:         120
        .size:           40
        .value_kind:     by_value
      - .offset:         160
        .size:           4
        .value_kind:     by_value
      - .offset:         164
        .size:           4
        .value_kind:     by_value
      - .offset:         168
        .size:           4
        .value_kind:     by_value
      - .offset:         172
        .size:           4
        .value_kind:     by_value
      - .offset:         176
        .size:           4
        .value_kind:     by_value
      - .offset:         180
        .size:           4
        .value_kind:     by_value
      - .offset:         184
        .size:           4
        .value_kind:     by_value
      - .offset:         188
        .size:           4
        .value_kind:     by_value
      - .offset:         192
        .size:           4
        .value_kind:     by_value
      - .offset:         196
        .size:           4
        .value_kind:     by_value
      - .offset:         200
        .size:           4
        .value_kind:     by_value
      - .offset:         204
        .size:           4
        .value_kind:     by_value
      - .offset:         208
        .size:           4
        .value_kind:     by_value
      - .offset:         212
        .size:           4
        .value_kind:     by_value
      - .offset:         216
        .size:           4
        .value_kind:     by_value
      - .offset:         220
        .size:           4
        .value_kind:     by_value
      - .offset:         224
        .size:           4
        .value_kind:     hidden_block_count_x
      - .offset:         228
        .size:           4
        .value_kind:     hidden_block_count_y
      - .offset:         232
        .size:           4
        .value_kind:     hidden_block_count_z
      - .offset:         236
        .size:           2
        .value_kind:     hidden_group_size_x
      - .offset:         238
        .size:           2
        .value_kind:     hidden_group_size_y
      - .offset:         240
        .size:           2
        .value_kind:     hidden_group_size_z
      - .offset:         242
        .size:           2
        .value_kind:     hidden_remainder_x
      - .offset:         244
        .size:           2
        .value_kind:     hidden_remainder_y
      - .offset:         246
        .size:           2
        .value_kind:     hidden_remainder_z
      - .offset:         264
        .size:           8
        .value_kind:     hidden_global_offset_x
      - .offset:         272
        .size:           8
        .value_kind:     hidden_global_offset_y
      - .offset:         280
        .size:           8
        .value_kind:     hidden_global_offset_z
      - .offset:         288
        .size:           2
        .value_kind:     hidden_grid_dims
    .group_segment_fixed_size: 0
    .kernarg_segment_align: 8
    .kernarg_segment_size: 480
    .language:       OpenCL C
    .language_version:
      - 2
      - 0
    .max_flat_workgroup_size: 1024
    .name:           naive_conv_ab_nonpacked_fwd_nhwc_int8_t_int32_t_int32_t_0
    .private_segment_fixed_size: 0
    .sgpr_count:     75
    .sgpr_spill_count: 0
    .symbol:         naive_conv_ab_nonpacked_fwd_nhwc_int8_t_int32_t_int32_t_0.kd
    .uniform_work_group_size: 1
    .uses_dynamic_stack: false
    .vgpr_count:     27
    .vgpr_spill_count: 0
    .wavefront_size: 64
  - .agpr_count:     0
    .args:
      - .actual_access:  read_only
        .address_space:  global
        .offset:         0
        .size:           8
        .value_kind:     global_buffer
      - .actual_access:  read_only
        .address_space:  global
        .offset:         8
        .size:           8
        .value_kind:     global_buffer
      - .offset:         16
        .size:           8
        .value_kind:     by_value
      - .offset:         24
        .size:           8
        .value_kind:     by_value
      - .address_space:  global
        .offset:         32
        .size:           8
        .value_kind:     global_buffer
      - .offset:         40
        .size:           40
        .value_kind:     by_value
      - .offset:         80
        .size:           40
        .value_kind:     by_value
      - .offset:         120
        .size:           40
        .value_kind:     by_value
      - .offset:         160
        .size:           4
        .value_kind:     by_value
      - .offset:         164
        .size:           4
        .value_kind:     by_value
      - .offset:         168
        .size:           4
        .value_kind:     by_value
      - .offset:         172
        .size:           4
        .value_kind:     by_value
      - .offset:         176
        .size:           4
        .value_kind:     by_value
      - .offset:         180
        .size:           4
        .value_kind:     by_value
      - .offset:         184
        .size:           4
        .value_kind:     by_value
      - .offset:         188
        .size:           4
        .value_kind:     by_value
      - .offset:         192
        .size:           4
        .value_kind:     by_value
      - .offset:         196
        .size:           4
        .value_kind:     by_value
      - .offset:         200
        .size:           4
        .value_kind:     by_value
      - .offset:         204
        .size:           4
        .value_kind:     by_value
      - .offset:         208
        .size:           4
        .value_kind:     by_value
      - .offset:         212
        .size:           4
        .value_kind:     by_value
      - .offset:         216
        .size:           4
        .value_kind:     by_value
      - .offset:         220
        .size:           4
        .value_kind:     by_value
      - .offset:         224
        .size:           4
        .value_kind:     hidden_block_count_x
      - .offset:         228
        .size:           4
        .value_kind:     hidden_block_count_y
      - .offset:         232
        .size:           4
        .value_kind:     hidden_block_count_z
      - .offset:         236
        .size:           2
        .value_kind:     hidden_group_size_x
      - .offset:         238
        .size:           2
        .value_kind:     hidden_group_size_y
      - .offset:         240
        .size:           2
        .value_kind:     hidden_group_size_z
      - .offset:         242
        .size:           2
        .value_kind:     hidden_remainder_x
      - .offset:         244
        .size:           2
        .value_kind:     hidden_remainder_y
      - .offset:         246
        .size:           2
        .value_kind:     hidden_remainder_z
      - .offset:         264
        .size:           8
        .value_kind:     hidden_global_offset_x
      - .offset:         272
        .size:           8
        .value_kind:     hidden_global_offset_y
      - .offset:         280
        .size:           8
        .value_kind:     hidden_global_offset_z
      - .offset:         288
        .size:           2
        .value_kind:     hidden_grid_dims
    .group_segment_fixed_size: 0
    .kernarg_segment_align: 8
    .kernarg_segment_size: 480
    .language:       OpenCL C
    .language_version:
      - 2
      - 0
    .max_flat_workgroup_size: 1024
    .name:           naive_conv_ab_packed_fwd_nhwc_int8_t_int32_t_float_0
    .private_segment_fixed_size: 0
    .sgpr_count:     64
    .sgpr_spill_count: 0
    .symbol:         naive_conv_ab_packed_fwd_nhwc_int8_t_int32_t_float_0.kd
    .uniform_work_group_size: 1
    .uses_dynamic_stack: false
    .vgpr_count:     26
    .vgpr_spill_count: 0
    .wavefront_size: 64
  - .agpr_count:     0
    .args:
      - .actual_access:  read_only
        .address_space:  global
        .offset:         0
        .size:           8
        .value_kind:     global_buffer
      - .actual_access:  read_only
        .address_space:  global
        .offset:         8
        .size:           8
        .value_kind:     global_buffer
      - .offset:         16
        .size:           8
        .value_kind:     by_value
      - .offset:         24
        .size:           8
        .value_kind:     by_value
      - .address_space:  global
        .offset:         32
        .size:           8
        .value_kind:     global_buffer
      - .offset:         40
        .size:           40
        .value_kind:     by_value
      - .offset:         80
        .size:           40
        .value_kind:     by_value
      - .offset:         120
        .size:           40
        .value_kind:     by_value
      - .offset:         160
        .size:           4
        .value_kind:     by_value
      - .offset:         164
        .size:           4
        .value_kind:     by_value
      - .offset:         168
        .size:           4
        .value_kind:     by_value
      - .offset:         172
        .size:           4
        .value_kind:     by_value
      - .offset:         176
        .size:           4
        .value_kind:     by_value
      - .offset:         180
        .size:           4
        .value_kind:     by_value
      - .offset:         184
        .size:           4
        .value_kind:     by_value
      - .offset:         188
        .size:           4
        .value_kind:     by_value
      - .offset:         192
        .size:           4
        .value_kind:     by_value
      - .offset:         196
        .size:           4
        .value_kind:     by_value
      - .offset:         200
        .size:           4
        .value_kind:     by_value
      - .offset:         204
        .size:           4
        .value_kind:     by_value
      - .offset:         208
        .size:           4
        .value_kind:     by_value
      - .offset:         212
        .size:           4
        .value_kind:     by_value
      - .offset:         216
        .size:           4
        .value_kind:     by_value
      - .offset:         220
        .size:           4
        .value_kind:     by_value
      - .offset:         224
        .size:           4
        .value_kind:     hidden_block_count_x
      - .offset:         228
        .size:           4
        .value_kind:     hidden_block_count_y
      - .offset:         232
        .size:           4
        .value_kind:     hidden_block_count_z
      - .offset:         236
        .size:           2
        .value_kind:     hidden_group_size_x
      - .offset:         238
        .size:           2
        .value_kind:     hidden_group_size_y
      - .offset:         240
        .size:           2
        .value_kind:     hidden_group_size_z
      - .offset:         242
        .size:           2
        .value_kind:     hidden_remainder_x
      - .offset:         244
        .size:           2
        .value_kind:     hidden_remainder_y
      - .offset:         246
        .size:           2
        .value_kind:     hidden_remainder_z
      - .offset:         264
        .size:           8
        .value_kind:     hidden_global_offset_x
      - .offset:         272
        .size:           8
        .value_kind:     hidden_global_offset_y
      - .offset:         280
        .size:           8
        .value_kind:     hidden_global_offset_z
      - .offset:         288
        .size:           2
        .value_kind:     hidden_grid_dims
    .group_segment_fixed_size: 0
    .kernarg_segment_align: 8
    .kernarg_segment_size: 480
    .language:       OpenCL C
    .language_version:
      - 2
      - 0
    .max_flat_workgroup_size: 1024
    .name:           naive_conv_ab_nonpacked_fwd_nhwc_int8_t_int32_t_float_0
    .private_segment_fixed_size: 0
    .sgpr_count:     75
    .sgpr_spill_count: 0
    .symbol:         naive_conv_ab_nonpacked_fwd_nhwc_int8_t_int32_t_float_0.kd
    .uniform_work_group_size: 1
    .uses_dynamic_stack: false
    .vgpr_count:     27
    .vgpr_spill_count: 0
    .wavefront_size: 64
  - .agpr_count:     0
    .args:
      - .address_space:  global
        .offset:         0
        .size:           8
        .value_kind:     global_buffer
      - .actual_access:  read_only
        .address_space:  global
        .offset:         8
        .size:           8
        .value_kind:     global_buffer
      - .offset:         16
        .size:           8
        .value_kind:     by_value
      - .offset:         24
        .size:           8
        .value_kind:     by_value
      - .actual_access:  read_only
        .address_space:  global
        .offset:         32
        .size:           8
        .value_kind:     global_buffer
      - .offset:         40
        .size:           40
        .value_kind:     by_value
      - .offset:         80
        .size:           40
        .value_kind:     by_value
      - .offset:         120
        .size:           40
        .value_kind:     by_value
      - .offset:         160
        .size:           4
        .value_kind:     by_value
      - .offset:         164
        .size:           4
        .value_kind:     by_value
      - .offset:         168
        .size:           4
        .value_kind:     by_value
      - .offset:         172
        .size:           4
        .value_kind:     by_value
      - .offset:         176
        .size:           4
        .value_kind:     by_value
      - .offset:         180
        .size:           4
        .value_kind:     by_value
      - .offset:         184
        .size:           4
        .value_kind:     by_value
      - .offset:         188
        .size:           4
        .value_kind:     by_value
      - .offset:         192
        .size:           4
        .value_kind:     by_value
      - .offset:         196
        .size:           4
        .value_kind:     by_value
      - .offset:         200
        .size:           4
        .value_kind:     by_value
      - .offset:         204
        .size:           4
        .value_kind:     by_value
      - .offset:         208
        .size:           4
        .value_kind:     by_value
      - .offset:         212
        .size:           4
        .value_kind:     by_value
      - .offset:         216
        .size:           4
        .value_kind:     by_value
      - .offset:         220
        .size:           4
        .value_kind:     by_value
      - .offset:         224
        .size:           4
        .value_kind:     hidden_block_count_x
      - .offset:         228
        .size:           4
        .value_kind:     hidden_block_count_y
      - .offset:         232
        .size:           4
        .value_kind:     hidden_block_count_z
      - .offset:         236
        .size:           2
        .value_kind:     hidden_group_size_x
      - .offset:         238
        .size:           2
        .value_kind:     hidden_group_size_y
      - .offset:         240
        .size:           2
        .value_kind:     hidden_group_size_z
      - .offset:         242
        .size:           2
        .value_kind:     hidden_remainder_x
      - .offset:         244
        .size:           2
        .value_kind:     hidden_remainder_y
      - .offset:         246
        .size:           2
        .value_kind:     hidden_remainder_z
      - .offset:         264
        .size:           8
        .value_kind:     hidden_global_offset_x
      - .offset:         272
        .size:           8
        .value_kind:     hidden_global_offset_y
      - .offset:         280
        .size:           8
        .value_kind:     hidden_global_offset_z
      - .offset:         288
        .size:           2
        .value_kind:     hidden_grid_dims
    .group_segment_fixed_size: 0
    .kernarg_segment_align: 8
    .kernarg_segment_size: 480
    .language:       OpenCL C
    .language_version:
      - 2
      - 0
    .max_flat_workgroup_size: 1024
    .name:           naive_conv_ab_packed_bwd_nchw_float_double_float_0
    .private_segment_fixed_size: 0
    .sgpr_count:     67
    .sgpr_spill_count: 0
    .symbol:         naive_conv_ab_packed_bwd_nchw_float_double_float_0.kd
    .uniform_work_group_size: 1
    .uses_dynamic_stack: false
    .vgpr_count:     20
    .vgpr_spill_count: 0
    .wavefront_size: 64
  - .agpr_count:     0
    .args:
      - .address_space:  global
        .offset:         0
        .size:           8
        .value_kind:     global_buffer
      - .actual_access:  read_only
        .address_space:  global
        .offset:         8
        .size:           8
        .value_kind:     global_buffer
      - .offset:         16
        .size:           8
        .value_kind:     by_value
      - .offset:         24
        .size:           8
        .value_kind:     by_value
      - .actual_access:  read_only
        .address_space:  global
        .offset:         32
        .size:           8
        .value_kind:     global_buffer
      - .offset:         40
        .size:           40
        .value_kind:     by_value
      - .offset:         80
        .size:           40
        .value_kind:     by_value
      - .offset:         120
        .size:           40
        .value_kind:     by_value
      - .offset:         160
        .size:           4
        .value_kind:     by_value
      - .offset:         164
        .size:           4
        .value_kind:     by_value
      - .offset:         168
        .size:           4
        .value_kind:     by_value
      - .offset:         172
        .size:           4
        .value_kind:     by_value
      - .offset:         176
        .size:           4
        .value_kind:     by_value
      - .offset:         180
        .size:           4
        .value_kind:     by_value
      - .offset:         184
        .size:           4
        .value_kind:     by_value
      - .offset:         188
        .size:           4
        .value_kind:     by_value
      - .offset:         192
        .size:           4
        .value_kind:     by_value
      - .offset:         196
        .size:           4
        .value_kind:     by_value
      - .offset:         200
        .size:           4
        .value_kind:     by_value
      - .offset:         204
        .size:           4
        .value_kind:     by_value
      - .offset:         208
        .size:           4
        .value_kind:     by_value
      - .offset:         212
        .size:           4
        .value_kind:     by_value
      - .offset:         216
        .size:           4
        .value_kind:     by_value
      - .offset:         220
        .size:           4
        .value_kind:     by_value
      - .offset:         224
        .size:           4
        .value_kind:     hidden_block_count_x
      - .offset:         228
        .size:           4
        .value_kind:     hidden_block_count_y
      - .offset:         232
        .size:           4
        .value_kind:     hidden_block_count_z
      - .offset:         236
        .size:           2
        .value_kind:     hidden_group_size_x
      - .offset:         238
        .size:           2
        .value_kind:     hidden_group_size_y
      - .offset:         240
        .size:           2
        .value_kind:     hidden_group_size_z
      - .offset:         242
        .size:           2
        .value_kind:     hidden_remainder_x
      - .offset:         244
        .size:           2
        .value_kind:     hidden_remainder_y
      - .offset:         246
        .size:           2
        .value_kind:     hidden_remainder_z
      - .offset:         264
        .size:           8
        .value_kind:     hidden_global_offset_x
      - .offset:         272
        .size:           8
        .value_kind:     hidden_global_offset_y
      - .offset:         280
        .size:           8
        .value_kind:     hidden_global_offset_z
      - .offset:         288
        .size:           2
        .value_kind:     hidden_grid_dims
    .group_segment_fixed_size: 0
    .kernarg_segment_align: 8
    .kernarg_segment_size: 480
    .language:       OpenCL C
    .language_version:
      - 2
      - 0
    .max_flat_workgroup_size: 1024
    .name:           naive_conv_ab_nonpacked_bwd_nchw_float_double_float_0
    .private_segment_fixed_size: 0
    .sgpr_count:     77
    .sgpr_spill_count: 0
    .symbol:         naive_conv_ab_nonpacked_bwd_nchw_float_double_float_0.kd
    .uniform_work_group_size: 1
    .uses_dynamic_stack: false
    .vgpr_count:     20
    .vgpr_spill_count: 0
    .wavefront_size: 64
  - .agpr_count:     0
    .args:
      - .address_space:  global
        .offset:         0
        .size:           8
        .value_kind:     global_buffer
      - .actual_access:  read_only
        .address_space:  global
        .offset:         8
        .size:           8
        .value_kind:     global_buffer
      - .offset:         16
        .size:           8
        .value_kind:     by_value
      - .offset:         24
        .size:           8
        .value_kind:     by_value
      - .actual_access:  read_only
        .address_space:  global
        .offset:         32
        .size:           8
        .value_kind:     global_buffer
      - .offset:         40
        .size:           40
        .value_kind:     by_value
      - .offset:         80
        .size:           40
        .value_kind:     by_value
      - .offset:         120
        .size:           40
        .value_kind:     by_value
      - .offset:         160
        .size:           4
        .value_kind:     by_value
      - .offset:         164
        .size:           4
        .value_kind:     by_value
      - .offset:         168
        .size:           4
        .value_kind:     by_value
      - .offset:         172
        .size:           4
        .value_kind:     by_value
      - .offset:         176
        .size:           4
        .value_kind:     by_value
      - .offset:         180
        .size:           4
        .value_kind:     by_value
      - .offset:         184
        .size:           4
        .value_kind:     by_value
      - .offset:         188
        .size:           4
        .value_kind:     by_value
      - .offset:         192
        .size:           4
        .value_kind:     by_value
      - .offset:         196
        .size:           4
        .value_kind:     by_value
      - .offset:         200
        .size:           4
        .value_kind:     by_value
      - .offset:         204
        .size:           4
        .value_kind:     by_value
      - .offset:         208
        .size:           4
        .value_kind:     by_value
      - .offset:         212
        .size:           4
        .value_kind:     by_value
      - .offset:         216
        .size:           4
        .value_kind:     by_value
      - .offset:         220
        .size:           4
        .value_kind:     by_value
      - .offset:         224
        .size:           4
        .value_kind:     hidden_block_count_x
      - .offset:         228
        .size:           4
        .value_kind:     hidden_block_count_y
      - .offset:         232
        .size:           4
        .value_kind:     hidden_block_count_z
      - .offset:         236
        .size:           2
        .value_kind:     hidden_group_size_x
      - .offset:         238
        .size:           2
        .value_kind:     hidden_group_size_y
      - .offset:         240
        .size:           2
        .value_kind:     hidden_group_size_z
      - .offset:         242
        .size:           2
        .value_kind:     hidden_remainder_x
      - .offset:         244
        .size:           2
        .value_kind:     hidden_remainder_y
      - .offset:         246
        .size:           2
        .value_kind:     hidden_remainder_z
      - .offset:         264
        .size:           8
        .value_kind:     hidden_global_offset_x
      - .offset:         272
        .size:           8
        .value_kind:     hidden_global_offset_y
      - .offset:         280
        .size:           8
        .value_kind:     hidden_global_offset_z
      - .offset:         288
        .size:           2
        .value_kind:     hidden_grid_dims
    .group_segment_fixed_size: 0
    .kernarg_segment_align: 8
    .kernarg_segment_size: 480
    .language:       OpenCL C
    .language_version:
      - 2
      - 0
    .max_flat_workgroup_size: 1024
    .name:           naive_conv_ab_packed_bwd_nchw_float_double_float_1
    .private_segment_fixed_size: 0
    .sgpr_count:     67
    .sgpr_spill_count: 0
    .symbol:         naive_conv_ab_packed_bwd_nchw_float_double_float_1.kd
    .uniform_work_group_size: 1
    .uses_dynamic_stack: false
    .vgpr_count:     20
    .vgpr_spill_count: 0
    .wavefront_size: 64
  - .agpr_count:     0
    .args:
      - .address_space:  global
        .offset:         0
        .size:           8
        .value_kind:     global_buffer
      - .actual_access:  read_only
        .address_space:  global
        .offset:         8
        .size:           8
        .value_kind:     global_buffer
      - .offset:         16
        .size:           8
        .value_kind:     by_value
      - .offset:         24
        .size:           8
        .value_kind:     by_value
      - .actual_access:  read_only
        .address_space:  global
        .offset:         32
        .size:           8
        .value_kind:     global_buffer
      - .offset:         40
        .size:           40
        .value_kind:     by_value
      - .offset:         80
        .size:           40
        .value_kind:     by_value
      - .offset:         120
        .size:           40
        .value_kind:     by_value
      - .offset:         160
        .size:           4
        .value_kind:     by_value
      - .offset:         164
        .size:           4
        .value_kind:     by_value
      - .offset:         168
        .size:           4
        .value_kind:     by_value
      - .offset:         172
        .size:           4
        .value_kind:     by_value
      - .offset:         176
        .size:           4
        .value_kind:     by_value
      - .offset:         180
        .size:           4
        .value_kind:     by_value
      - .offset:         184
        .size:           4
        .value_kind:     by_value
      - .offset:         188
        .size:           4
        .value_kind:     by_value
      - .offset:         192
        .size:           4
        .value_kind:     by_value
      - .offset:         196
        .size:           4
        .value_kind:     by_value
      - .offset:         200
        .size:           4
        .value_kind:     by_value
      - .offset:         204
        .size:           4
        .value_kind:     by_value
      - .offset:         208
        .size:           4
        .value_kind:     by_value
      - .offset:         212
        .size:           4
        .value_kind:     by_value
      - .offset:         216
        .size:           4
        .value_kind:     by_value
      - .offset:         220
        .size:           4
        .value_kind:     by_value
      - .offset:         224
        .size:           4
        .value_kind:     hidden_block_count_x
      - .offset:         228
        .size:           4
        .value_kind:     hidden_block_count_y
      - .offset:         232
        .size:           4
        .value_kind:     hidden_block_count_z
      - .offset:         236
        .size:           2
        .value_kind:     hidden_group_size_x
      - .offset:         238
        .size:           2
        .value_kind:     hidden_group_size_y
      - .offset:         240
        .size:           2
        .value_kind:     hidden_group_size_z
      - .offset:         242
        .size:           2
        .value_kind:     hidden_remainder_x
      - .offset:         244
        .size:           2
        .value_kind:     hidden_remainder_y
      - .offset:         246
        .size:           2
        .value_kind:     hidden_remainder_z
      - .offset:         264
        .size:           8
        .value_kind:     hidden_global_offset_x
      - .offset:         272
        .size:           8
        .value_kind:     hidden_global_offset_y
      - .offset:         280
        .size:           8
        .value_kind:     hidden_global_offset_z
      - .offset:         288
        .size:           2
        .value_kind:     hidden_grid_dims
    .group_segment_fixed_size: 0
    .kernarg_segment_align: 8
    .kernarg_segment_size: 480
    .language:       OpenCL C
    .language_version:
      - 2
      - 0
    .max_flat_workgroup_size: 1024
    .name:           naive_conv_ab_nonpacked_bwd_nchw_float_double_float_1
    .private_segment_fixed_size: 0
    .sgpr_count:     77
    .sgpr_spill_count: 0
    .symbol:         naive_conv_ab_nonpacked_bwd_nchw_float_double_float_1.kd
    .uniform_work_group_size: 1
    .uses_dynamic_stack: false
    .vgpr_count:     20
    .vgpr_spill_count: 0
    .wavefront_size: 64
  - .agpr_count:     0
    .args:
      - .address_space:  global
        .offset:         0
        .size:           8
        .value_kind:     global_buffer
      - .actual_access:  read_only
        .address_space:  global
        .offset:         8
        .size:           8
        .value_kind:     global_buffer
      - .offset:         16
        .size:           8
        .value_kind:     by_value
      - .offset:         24
        .size:           8
        .value_kind:     by_value
      - .actual_access:  read_only
        .address_space:  global
        .offset:         32
        .size:           8
        .value_kind:     global_buffer
      - .offset:         40
        .size:           40
        .value_kind:     by_value
      - .offset:         80
        .size:           40
        .value_kind:     by_value
      - .offset:         120
        .size:           40
        .value_kind:     by_value
      - .offset:         160
        .size:           4
        .value_kind:     by_value
      - .offset:         164
        .size:           4
        .value_kind:     by_value
      - .offset:         168
        .size:           4
        .value_kind:     by_value
      - .offset:         172
        .size:           4
        .value_kind:     by_value
      - .offset:         176
        .size:           4
        .value_kind:     by_value
      - .offset:         180
        .size:           4
        .value_kind:     by_value
      - .offset:         184
        .size:           4
        .value_kind:     by_value
      - .offset:         188
        .size:           4
        .value_kind:     by_value
      - .offset:         192
        .size:           4
        .value_kind:     by_value
      - .offset:         196
        .size:           4
        .value_kind:     by_value
      - .offset:         200
        .size:           4
        .value_kind:     by_value
      - .offset:         204
        .size:           4
        .value_kind:     by_value
      - .offset:         208
        .size:           4
        .value_kind:     by_value
      - .offset:         212
        .size:           4
        .value_kind:     by_value
      - .offset:         216
        .size:           4
        .value_kind:     by_value
      - .offset:         220
        .size:           4
        .value_kind:     by_value
      - .offset:         224
        .size:           4
        .value_kind:     hidden_block_count_x
      - .offset:         228
        .size:           4
        .value_kind:     hidden_block_count_y
      - .offset:         232
        .size:           4
        .value_kind:     hidden_block_count_z
      - .offset:         236
        .size:           2
        .value_kind:     hidden_group_size_x
      - .offset:         238
        .size:           2
        .value_kind:     hidden_group_size_y
      - .offset:         240
        .size:           2
        .value_kind:     hidden_group_size_z
      - .offset:         242
        .size:           2
        .value_kind:     hidden_remainder_x
      - .offset:         244
        .size:           2
        .value_kind:     hidden_remainder_y
      - .offset:         246
        .size:           2
        .value_kind:     hidden_remainder_z
      - .offset:         264
        .size:           8
        .value_kind:     hidden_global_offset_x
      - .offset:         272
        .size:           8
        .value_kind:     hidden_global_offset_y
      - .offset:         280
        .size:           8
        .value_kind:     hidden_global_offset_z
      - .offset:         288
        .size:           2
        .value_kind:     hidden_grid_dims
    .group_segment_fixed_size: 0
    .kernarg_segment_align: 8
    .kernarg_segment_size: 480
    .language:       OpenCL C
    .language_version:
      - 2
      - 0
    .max_flat_workgroup_size: 1024
    .name:           naive_conv_ab_packed_bwd_nchw_half_double_half_0
    .private_segment_fixed_size: 0
    .sgpr_count:     67
    .sgpr_spill_count: 0
    .symbol:         naive_conv_ab_packed_bwd_nchw_half_double_half_0.kd
    .uniform_work_group_size: 1
    .uses_dynamic_stack: false
    .vgpr_count:     21
    .vgpr_spill_count: 0
    .wavefront_size: 64
  - .agpr_count:     0
    .args:
      - .address_space:  global
        .offset:         0
        .size:           8
        .value_kind:     global_buffer
      - .actual_access:  read_only
        .address_space:  global
        .offset:         8
        .size:           8
        .value_kind:     global_buffer
      - .offset:         16
        .size:           8
        .value_kind:     by_value
      - .offset:         24
        .size:           8
        .value_kind:     by_value
      - .actual_access:  read_only
        .address_space:  global
        .offset:         32
        .size:           8
        .value_kind:     global_buffer
      - .offset:         40
        .size:           40
        .value_kind:     by_value
      - .offset:         80
        .size:           40
        .value_kind:     by_value
      - .offset:         120
        .size:           40
        .value_kind:     by_value
      - .offset:         160
        .size:           4
        .value_kind:     by_value
      - .offset:         164
        .size:           4
        .value_kind:     by_value
      - .offset:         168
        .size:           4
        .value_kind:     by_value
      - .offset:         172
        .size:           4
        .value_kind:     by_value
      - .offset:         176
        .size:           4
        .value_kind:     by_value
      - .offset:         180
        .size:           4
        .value_kind:     by_value
      - .offset:         184
        .size:           4
        .value_kind:     by_value
      - .offset:         188
        .size:           4
        .value_kind:     by_value
      - .offset:         192
        .size:           4
        .value_kind:     by_value
      - .offset:         196
        .size:           4
        .value_kind:     by_value
      - .offset:         200
        .size:           4
        .value_kind:     by_value
      - .offset:         204
        .size:           4
        .value_kind:     by_value
      - .offset:         208
        .size:           4
        .value_kind:     by_value
      - .offset:         212
        .size:           4
        .value_kind:     by_value
      - .offset:         216
        .size:           4
        .value_kind:     by_value
      - .offset:         220
        .size:           4
        .value_kind:     by_value
      - .offset:         224
        .size:           4
        .value_kind:     hidden_block_count_x
      - .offset:         228
        .size:           4
        .value_kind:     hidden_block_count_y
      - .offset:         232
        .size:           4
        .value_kind:     hidden_block_count_z
      - .offset:         236
        .size:           2
        .value_kind:     hidden_group_size_x
      - .offset:         238
        .size:           2
        .value_kind:     hidden_group_size_y
      - .offset:         240
        .size:           2
        .value_kind:     hidden_group_size_z
      - .offset:         242
        .size:           2
        .value_kind:     hidden_remainder_x
      - .offset:         244
        .size:           2
        .value_kind:     hidden_remainder_y
      - .offset:         246
        .size:           2
        .value_kind:     hidden_remainder_z
      - .offset:         264
        .size:           8
        .value_kind:     hidden_global_offset_x
      - .offset:         272
        .size:           8
        .value_kind:     hidden_global_offset_y
      - .offset:         280
        .size:           8
        .value_kind:     hidden_global_offset_z
      - .offset:         288
        .size:           2
        .value_kind:     hidden_grid_dims
    .group_segment_fixed_size: 0
    .kernarg_segment_align: 8
    .kernarg_segment_size: 480
    .language:       OpenCL C
    .language_version:
      - 2
      - 0
    .max_flat_workgroup_size: 1024
    .name:           naive_conv_ab_nonpacked_bwd_nchw_half_double_half_0
    .private_segment_fixed_size: 0
    .sgpr_count:     77
    .sgpr_spill_count: 0
    .symbol:         naive_conv_ab_nonpacked_bwd_nchw_half_double_half_0.kd
    .uniform_work_group_size: 1
    .uses_dynamic_stack: false
    .vgpr_count:     21
    .vgpr_spill_count: 0
    .wavefront_size: 64
  - .agpr_count:     0
    .args:
      - .address_space:  global
        .offset:         0
        .size:           8
        .value_kind:     global_buffer
      - .actual_access:  read_only
        .address_space:  global
        .offset:         8
        .size:           8
        .value_kind:     global_buffer
      - .offset:         16
        .size:           8
        .value_kind:     by_value
      - .offset:         24
        .size:           8
        .value_kind:     by_value
      - .actual_access:  read_only
        .address_space:  global
        .offset:         32
        .size:           8
        .value_kind:     global_buffer
      - .offset:         40
        .size:           40
        .value_kind:     by_value
      - .offset:         80
        .size:           40
        .value_kind:     by_value
      - .offset:         120
        .size:           40
        .value_kind:     by_value
      - .offset:         160
        .size:           4
        .value_kind:     by_value
      - .offset:         164
        .size:           4
        .value_kind:     by_value
      - .offset:         168
        .size:           4
        .value_kind:     by_value
      - .offset:         172
        .size:           4
        .value_kind:     by_value
      - .offset:         176
        .size:           4
        .value_kind:     by_value
      - .offset:         180
        .size:           4
        .value_kind:     by_value
      - .offset:         184
        .size:           4
        .value_kind:     by_value
      - .offset:         188
        .size:           4
        .value_kind:     by_value
      - .offset:         192
        .size:           4
        .value_kind:     by_value
      - .offset:         196
        .size:           4
        .value_kind:     by_value
      - .offset:         200
        .size:           4
        .value_kind:     by_value
      - .offset:         204
        .size:           4
        .value_kind:     by_value
      - .offset:         208
        .size:           4
        .value_kind:     by_value
      - .offset:         212
        .size:           4
        .value_kind:     by_value
      - .offset:         216
        .size:           4
        .value_kind:     by_value
      - .offset:         220
        .size:           4
        .value_kind:     by_value
      - .offset:         224
        .size:           4
        .value_kind:     hidden_block_count_x
      - .offset:         228
        .size:           4
        .value_kind:     hidden_block_count_y
      - .offset:         232
        .size:           4
        .value_kind:     hidden_block_count_z
      - .offset:         236
        .size:           2
        .value_kind:     hidden_group_size_x
      - .offset:         238
        .size:           2
        .value_kind:     hidden_group_size_y
      - .offset:         240
        .size:           2
        .value_kind:     hidden_group_size_z
      - .offset:         242
        .size:           2
        .value_kind:     hidden_remainder_x
      - .offset:         244
        .size:           2
        .value_kind:     hidden_remainder_y
      - .offset:         246
        .size:           2
        .value_kind:     hidden_remainder_z
      - .offset:         264
        .size:           8
        .value_kind:     hidden_global_offset_x
      - .offset:         272
        .size:           8
        .value_kind:     hidden_global_offset_y
      - .offset:         280
        .size:           8
        .value_kind:     hidden_global_offset_z
      - .offset:         288
        .size:           2
        .value_kind:     hidden_grid_dims
    .group_segment_fixed_size: 0
    .kernarg_segment_align: 8
    .kernarg_segment_size: 480
    .language:       OpenCL C
    .language_version:
      - 2
      - 0
    .max_flat_workgroup_size: 1024
    .name:           naive_conv_ab_packed_bwd_nchw_ushort_double_ushort_0
    .private_segment_fixed_size: 0
    .sgpr_count:     68
    .sgpr_spill_count: 0
    .symbol:         naive_conv_ab_packed_bwd_nchw_ushort_double_ushort_0.kd
    .uniform_work_group_size: 1
    .uses_dynamic_stack: false
    .vgpr_count:     21
    .vgpr_spill_count: 0
    .wavefront_size: 64
  - .agpr_count:     0
    .args:
      - .address_space:  global
        .offset:         0
        .size:           8
        .value_kind:     global_buffer
      - .actual_access:  read_only
        .address_space:  global
        .offset:         8
        .size:           8
        .value_kind:     global_buffer
      - .offset:         16
        .size:           8
        .value_kind:     by_value
      - .offset:         24
        .size:           8
        .value_kind:     by_value
      - .actual_access:  read_only
        .address_space:  global
        .offset:         32
        .size:           8
        .value_kind:     global_buffer
      - .offset:         40
        .size:           40
        .value_kind:     by_value
      - .offset:         80
        .size:           40
        .value_kind:     by_value
      - .offset:         120
        .size:           40
        .value_kind:     by_value
      - .offset:         160
        .size:           4
        .value_kind:     by_value
      - .offset:         164
        .size:           4
        .value_kind:     by_value
      - .offset:         168
        .size:           4
        .value_kind:     by_value
      - .offset:         172
        .size:           4
        .value_kind:     by_value
      - .offset:         176
        .size:           4
        .value_kind:     by_value
      - .offset:         180
        .size:           4
        .value_kind:     by_value
      - .offset:         184
        .size:           4
        .value_kind:     by_value
      - .offset:         188
        .size:           4
        .value_kind:     by_value
      - .offset:         192
        .size:           4
        .value_kind:     by_value
      - .offset:         196
        .size:           4
        .value_kind:     by_value
      - .offset:         200
        .size:           4
        .value_kind:     by_value
      - .offset:         204
        .size:           4
        .value_kind:     by_value
      - .offset:         208
        .size:           4
        .value_kind:     by_value
      - .offset:         212
        .size:           4
        .value_kind:     by_value
      - .offset:         216
        .size:           4
        .value_kind:     by_value
      - .offset:         220
        .size:           4
        .value_kind:     by_value
      - .offset:         224
        .size:           4
        .value_kind:     hidden_block_count_x
      - .offset:         228
        .size:           4
        .value_kind:     hidden_block_count_y
      - .offset:         232
        .size:           4
        .value_kind:     hidden_block_count_z
      - .offset:         236
        .size:           2
        .value_kind:     hidden_group_size_x
      - .offset:         238
        .size:           2
        .value_kind:     hidden_group_size_y
      - .offset:         240
        .size:           2
        .value_kind:     hidden_group_size_z
      - .offset:         242
        .size:           2
        .value_kind:     hidden_remainder_x
      - .offset:         244
        .size:           2
        .value_kind:     hidden_remainder_y
      - .offset:         246
        .size:           2
        .value_kind:     hidden_remainder_z
      - .offset:         264
        .size:           8
        .value_kind:     hidden_global_offset_x
      - .offset:         272
        .size:           8
        .value_kind:     hidden_global_offset_y
      - .offset:         280
        .size:           8
        .value_kind:     hidden_global_offset_z
      - .offset:         288
        .size:           2
        .value_kind:     hidden_grid_dims
    .group_segment_fixed_size: 0
    .kernarg_segment_align: 8
    .kernarg_segment_size: 480
    .language:       OpenCL C
    .language_version:
      - 2
      - 0
    .max_flat_workgroup_size: 1024
    .name:           naive_conv_ab_nonpacked_bwd_nchw_ushort_double_ushort_0
    .private_segment_fixed_size: 0
    .sgpr_count:     78
    .sgpr_spill_count: 0
    .symbol:         naive_conv_ab_nonpacked_bwd_nchw_ushort_double_ushort_0.kd
    .uniform_work_group_size: 1
    .uses_dynamic_stack: false
    .vgpr_count:     21
    .vgpr_spill_count: 0
    .wavefront_size: 64
  - .agpr_count:     0
    .args:
      - .address_space:  global
        .offset:         0
        .size:           8
        .value_kind:     global_buffer
      - .actual_access:  read_only
        .address_space:  global
        .offset:         8
        .size:           8
        .value_kind:     global_buffer
      - .offset:         16
        .size:           8
        .value_kind:     by_value
      - .offset:         24
        .size:           8
        .value_kind:     by_value
      - .actual_access:  read_only
        .address_space:  global
        .offset:         32
        .size:           8
        .value_kind:     global_buffer
      - .offset:         40
        .size:           40
        .value_kind:     by_value
      - .offset:         80
        .size:           40
        .value_kind:     by_value
      - .offset:         120
        .size:           40
        .value_kind:     by_value
      - .offset:         160
        .size:           4
        .value_kind:     by_value
      - .offset:         164
        .size:           4
        .value_kind:     by_value
      - .offset:         168
        .size:           4
        .value_kind:     by_value
      - .offset:         172
        .size:           4
        .value_kind:     by_value
      - .offset:         176
        .size:           4
        .value_kind:     by_value
      - .offset:         180
        .size:           4
        .value_kind:     by_value
      - .offset:         184
        .size:           4
        .value_kind:     by_value
      - .offset:         188
        .size:           4
        .value_kind:     by_value
      - .offset:         192
        .size:           4
        .value_kind:     by_value
      - .offset:         196
        .size:           4
        .value_kind:     by_value
      - .offset:         200
        .size:           4
        .value_kind:     by_value
      - .offset:         204
        .size:           4
        .value_kind:     by_value
      - .offset:         208
        .size:           4
        .value_kind:     by_value
      - .offset:         212
        .size:           4
        .value_kind:     by_value
      - .offset:         216
        .size:           4
        .value_kind:     by_value
      - .offset:         220
        .size:           4
        .value_kind:     by_value
      - .offset:         224
        .size:           4
        .value_kind:     hidden_block_count_x
      - .offset:         228
        .size:           4
        .value_kind:     hidden_block_count_y
      - .offset:         232
        .size:           4
        .value_kind:     hidden_block_count_z
      - .offset:         236
        .size:           2
        .value_kind:     hidden_group_size_x
      - .offset:         238
        .size:           2
        .value_kind:     hidden_group_size_y
      - .offset:         240
        .size:           2
        .value_kind:     hidden_group_size_z
      - .offset:         242
        .size:           2
        .value_kind:     hidden_remainder_x
      - .offset:         244
        .size:           2
        .value_kind:     hidden_remainder_y
      - .offset:         246
        .size:           2
        .value_kind:     hidden_remainder_z
      - .offset:         264
        .size:           8
        .value_kind:     hidden_global_offset_x
      - .offset:         272
        .size:           8
        .value_kind:     hidden_global_offset_y
      - .offset:         280
        .size:           8
        .value_kind:     hidden_global_offset_z
      - .offset:         288
        .size:           2
        .value_kind:     hidden_grid_dims
    .group_segment_fixed_size: 0
    .kernarg_segment_align: 8
    .kernarg_segment_size: 480
    .language:       OpenCL C
    .language_version:
      - 2
      - 0
    .max_flat_workgroup_size: 1024
    .name:           naive_conv_ab_packed_bwd_nhwc_float_double_float_0
    .private_segment_fixed_size: 0
    .sgpr_count:     76
    .sgpr_spill_count: 0
    .symbol:         naive_conv_ab_packed_bwd_nhwc_float_double_float_0.kd
    .uniform_work_group_size: 1
    .uses_dynamic_stack: false
    .vgpr_count:     26
    .vgpr_spill_count: 0
    .wavefront_size: 64
  - .agpr_count:     0
    .args:
      - .address_space:  global
        .offset:         0
        .size:           8
        .value_kind:     global_buffer
      - .actual_access:  read_only
        .address_space:  global
        .offset:         8
        .size:           8
        .value_kind:     global_buffer
      - .offset:         16
        .size:           8
        .value_kind:     by_value
      - .offset:         24
        .size:           8
        .value_kind:     by_value
      - .actual_access:  read_only
        .address_space:  global
        .offset:         32
        .size:           8
        .value_kind:     global_buffer
      - .offset:         40
        .size:           40
        .value_kind:     by_value
      - .offset:         80
        .size:           40
        .value_kind:     by_value
      - .offset:         120
        .size:           40
        .value_kind:     by_value
      - .offset:         160
        .size:           4
        .value_kind:     by_value
      - .offset:         164
        .size:           4
        .value_kind:     by_value
      - .offset:         168
        .size:           4
        .value_kind:     by_value
      - .offset:         172
        .size:           4
        .value_kind:     by_value
      - .offset:         176
        .size:           4
        .value_kind:     by_value
      - .offset:         180
        .size:           4
        .value_kind:     by_value
      - .offset:         184
        .size:           4
        .value_kind:     by_value
      - .offset:         188
        .size:           4
        .value_kind:     by_value
      - .offset:         192
        .size:           4
        .value_kind:     by_value
      - .offset:         196
        .size:           4
        .value_kind:     by_value
      - .offset:         200
        .size:           4
        .value_kind:     by_value
      - .offset:         204
        .size:           4
        .value_kind:     by_value
      - .offset:         208
        .size:           4
        .value_kind:     by_value
      - .offset:         212
        .size:           4
        .value_kind:     by_value
      - .offset:         216
        .size:           4
        .value_kind:     by_value
      - .offset:         220
        .size:           4
        .value_kind:     by_value
      - .offset:         224
        .size:           4
        .value_kind:     hidden_block_count_x
      - .offset:         228
        .size:           4
        .value_kind:     hidden_block_count_y
      - .offset:         232
        .size:           4
        .value_kind:     hidden_block_count_z
      - .offset:         236
        .size:           2
        .value_kind:     hidden_group_size_x
      - .offset:         238
        .size:           2
        .value_kind:     hidden_group_size_y
      - .offset:         240
        .size:           2
        .value_kind:     hidden_group_size_z
      - .offset:         242
        .size:           2
        .value_kind:     hidden_remainder_x
      - .offset:         244
        .size:           2
        .value_kind:     hidden_remainder_y
      - .offset:         246
        .size:           2
        .value_kind:     hidden_remainder_z
      - .offset:         264
        .size:           8
        .value_kind:     hidden_global_offset_x
      - .offset:         272
        .size:           8
        .value_kind:     hidden_global_offset_y
      - .offset:         280
        .size:           8
        .value_kind:     hidden_global_offset_z
      - .offset:         288
        .size:           2
        .value_kind:     hidden_grid_dims
    .group_segment_fixed_size: 0
    .kernarg_segment_align: 8
    .kernarg_segment_size: 480
    .language:       OpenCL C
    .language_version:
      - 2
      - 0
    .max_flat_workgroup_size: 1024
    .name:           naive_conv_ab_nonpacked_bwd_nhwc_float_double_float_0
    .private_segment_fixed_size: 0
    .sgpr_count:     84
    .sgpr_spill_count: 0
    .symbol:         naive_conv_ab_nonpacked_bwd_nhwc_float_double_float_0.kd
    .uniform_work_group_size: 1
    .uses_dynamic_stack: false
    .vgpr_count:     28
    .vgpr_spill_count: 0
    .wavefront_size: 64
  - .agpr_count:     0
    .args:
      - .address_space:  global
        .offset:         0
        .size:           8
        .value_kind:     global_buffer
      - .actual_access:  read_only
        .address_space:  global
        .offset:         8
        .size:           8
        .value_kind:     global_buffer
      - .offset:         16
        .size:           8
        .value_kind:     by_value
      - .offset:         24
        .size:           8
        .value_kind:     by_value
      - .actual_access:  read_only
        .address_space:  global
        .offset:         32
        .size:           8
        .value_kind:     global_buffer
      - .offset:         40
        .size:           40
        .value_kind:     by_value
      - .offset:         80
        .size:           40
        .value_kind:     by_value
      - .offset:         120
        .size:           40
        .value_kind:     by_value
      - .offset:         160
        .size:           4
        .value_kind:     by_value
      - .offset:         164
        .size:           4
        .value_kind:     by_value
      - .offset:         168
        .size:           4
        .value_kind:     by_value
      - .offset:         172
        .size:           4
        .value_kind:     by_value
      - .offset:         176
        .size:           4
        .value_kind:     by_value
      - .offset:         180
        .size:           4
        .value_kind:     by_value
      - .offset:         184
        .size:           4
        .value_kind:     by_value
      - .offset:         188
        .size:           4
        .value_kind:     by_value
      - .offset:         192
        .size:           4
        .value_kind:     by_value
      - .offset:         196
        .size:           4
        .value_kind:     by_value
      - .offset:         200
        .size:           4
        .value_kind:     by_value
      - .offset:         204
        .size:           4
        .value_kind:     by_value
      - .offset:         208
        .size:           4
        .value_kind:     by_value
      - .offset:         212
        .size:           4
        .value_kind:     by_value
      - .offset:         216
        .size:           4
        .value_kind:     by_value
      - .offset:         220
        .size:           4
        .value_kind:     by_value
      - .offset:         224
        .size:           4
        .value_kind:     hidden_block_count_x
      - .offset:         228
        .size:           4
        .value_kind:     hidden_block_count_y
      - .offset:         232
        .size:           4
        .value_kind:     hidden_block_count_z
      - .offset:         236
        .size:           2
        .value_kind:     hidden_group_size_x
      - .offset:         238
        .size:           2
        .value_kind:     hidden_group_size_y
      - .offset:         240
        .size:           2
        .value_kind:     hidden_group_size_z
      - .offset:         242
        .size:           2
        .value_kind:     hidden_remainder_x
      - .offset:         244
        .size:           2
        .value_kind:     hidden_remainder_y
      - .offset:         246
        .size:           2
        .value_kind:     hidden_remainder_z
      - .offset:         264
        .size:           8
        .value_kind:     hidden_global_offset_x
      - .offset:         272
        .size:           8
        .value_kind:     hidden_global_offset_y
      - .offset:         280
        .size:           8
        .value_kind:     hidden_global_offset_z
      - .offset:         288
        .size:           2
        .value_kind:     hidden_grid_dims
    .group_segment_fixed_size: 0
    .kernarg_segment_align: 8
    .kernarg_segment_size: 480
    .language:       OpenCL C
    .language_version:
      - 2
      - 0
    .max_flat_workgroup_size: 1024
    .name:           naive_conv_ab_packed_bwd_nhwc_float_double_float_1
    .private_segment_fixed_size: 0
    .sgpr_count:     76
    .sgpr_spill_count: 0
    .symbol:         naive_conv_ab_packed_bwd_nhwc_float_double_float_1.kd
    .uniform_work_group_size: 1
    .uses_dynamic_stack: false
    .vgpr_count:     26
    .vgpr_spill_count: 0
    .wavefront_size: 64
  - .agpr_count:     0
    .args:
      - .address_space:  global
        .offset:         0
        .size:           8
        .value_kind:     global_buffer
      - .actual_access:  read_only
        .address_space:  global
        .offset:         8
        .size:           8
        .value_kind:     global_buffer
      - .offset:         16
        .size:           8
        .value_kind:     by_value
      - .offset:         24
        .size:           8
        .value_kind:     by_value
      - .actual_access:  read_only
        .address_space:  global
        .offset:         32
        .size:           8
        .value_kind:     global_buffer
      - .offset:         40
        .size:           40
        .value_kind:     by_value
      - .offset:         80
        .size:           40
        .value_kind:     by_value
      - .offset:         120
        .size:           40
        .value_kind:     by_value
      - .offset:         160
        .size:           4
        .value_kind:     by_value
      - .offset:         164
        .size:           4
        .value_kind:     by_value
      - .offset:         168
        .size:           4
        .value_kind:     by_value
      - .offset:         172
        .size:           4
        .value_kind:     by_value
      - .offset:         176
        .size:           4
        .value_kind:     by_value
      - .offset:         180
        .size:           4
        .value_kind:     by_value
      - .offset:         184
        .size:           4
        .value_kind:     by_value
      - .offset:         188
        .size:           4
        .value_kind:     by_value
      - .offset:         192
        .size:           4
        .value_kind:     by_value
      - .offset:         196
        .size:           4
        .value_kind:     by_value
      - .offset:         200
        .size:           4
        .value_kind:     by_value
      - .offset:         204
        .size:           4
        .value_kind:     by_value
      - .offset:         208
        .size:           4
        .value_kind:     by_value
      - .offset:         212
        .size:           4
        .value_kind:     by_value
      - .offset:         216
        .size:           4
        .value_kind:     by_value
      - .offset:         220
        .size:           4
        .value_kind:     by_value
      - .offset:         224
        .size:           4
        .value_kind:     hidden_block_count_x
      - .offset:         228
        .size:           4
        .value_kind:     hidden_block_count_y
      - .offset:         232
        .size:           4
        .value_kind:     hidden_block_count_z
      - .offset:         236
        .size:           2
        .value_kind:     hidden_group_size_x
      - .offset:         238
        .size:           2
        .value_kind:     hidden_group_size_y
      - .offset:         240
        .size:           2
        .value_kind:     hidden_group_size_z
      - .offset:         242
        .size:           2
        .value_kind:     hidden_remainder_x
      - .offset:         244
        .size:           2
        .value_kind:     hidden_remainder_y
      - .offset:         246
        .size:           2
        .value_kind:     hidden_remainder_z
      - .offset:         264
        .size:           8
        .value_kind:     hidden_global_offset_x
      - .offset:         272
        .size:           8
        .value_kind:     hidden_global_offset_y
      - .offset:         280
        .size:           8
        .value_kind:     hidden_global_offset_z
      - .offset:         288
        .size:           2
        .value_kind:     hidden_grid_dims
    .group_segment_fixed_size: 0
    .kernarg_segment_align: 8
    .kernarg_segment_size: 480
    .language:       OpenCL C
    .language_version:
      - 2
      - 0
    .max_flat_workgroup_size: 1024
    .name:           naive_conv_ab_nonpacked_bwd_nhwc_float_double_float_1
    .private_segment_fixed_size: 0
    .sgpr_count:     84
    .sgpr_spill_count: 0
    .symbol:         naive_conv_ab_nonpacked_bwd_nhwc_float_double_float_1.kd
    .uniform_work_group_size: 1
    .uses_dynamic_stack: false
    .vgpr_count:     28
    .vgpr_spill_count: 0
    .wavefront_size: 64
  - .agpr_count:     0
    .args:
      - .address_space:  global
        .offset:         0
        .size:           8
        .value_kind:     global_buffer
      - .actual_access:  read_only
        .address_space:  global
        .offset:         8
        .size:           8
        .value_kind:     global_buffer
      - .offset:         16
        .size:           8
        .value_kind:     by_value
      - .offset:         24
        .size:           8
        .value_kind:     by_value
      - .actual_access:  read_only
        .address_space:  global
        .offset:         32
        .size:           8
        .value_kind:     global_buffer
      - .offset:         40
        .size:           40
        .value_kind:     by_value
      - .offset:         80
        .size:           40
        .value_kind:     by_value
      - .offset:         120
        .size:           40
        .value_kind:     by_value
      - .offset:         160
        .size:           4
        .value_kind:     by_value
      - .offset:         164
        .size:           4
        .value_kind:     by_value
      - .offset:         168
        .size:           4
        .value_kind:     by_value
      - .offset:         172
        .size:           4
        .value_kind:     by_value
      - .offset:         176
        .size:           4
        .value_kind:     by_value
      - .offset:         180
        .size:           4
        .value_kind:     by_value
      - .offset:         184
        .size:           4
        .value_kind:     by_value
      - .offset:         188
        .size:           4
        .value_kind:     by_value
      - .offset:         192
        .size:           4
        .value_kind:     by_value
      - .offset:         196
        .size:           4
        .value_kind:     by_value
      - .offset:         200
        .size:           4
        .value_kind:     by_value
      - .offset:         204
        .size:           4
        .value_kind:     by_value
      - .offset:         208
        .size:           4
        .value_kind:     by_value
      - .offset:         212
        .size:           4
        .value_kind:     by_value
      - .offset:         216
        .size:           4
        .value_kind:     by_value
      - .offset:         220
        .size:           4
        .value_kind:     by_value
      - .offset:         224
        .size:           4
        .value_kind:     hidden_block_count_x
      - .offset:         228
        .size:           4
        .value_kind:     hidden_block_count_y
      - .offset:         232
        .size:           4
        .value_kind:     hidden_block_count_z
      - .offset:         236
        .size:           2
        .value_kind:     hidden_group_size_x
      - .offset:         238
        .size:           2
        .value_kind:     hidden_group_size_y
      - .offset:         240
        .size:           2
        .value_kind:     hidden_group_size_z
      - .offset:         242
        .size:           2
        .value_kind:     hidden_remainder_x
      - .offset:         244
        .size:           2
        .value_kind:     hidden_remainder_y
      - .offset:         246
        .size:           2
        .value_kind:     hidden_remainder_z
      - .offset:         264
        .size:           8
        .value_kind:     hidden_global_offset_x
      - .offset:         272
        .size:           8
        .value_kind:     hidden_global_offset_y
      - .offset:         280
        .size:           8
        .value_kind:     hidden_global_offset_z
      - .offset:         288
        .size:           2
        .value_kind:     hidden_grid_dims
    .group_segment_fixed_size: 0
    .kernarg_segment_align: 8
    .kernarg_segment_size: 480
    .language:       OpenCL C
    .language_version:
      - 2
      - 0
    .max_flat_workgroup_size: 1024
    .name:           naive_conv_ab_packed_bwd_nhwc_half_double_half_0
    .private_segment_fixed_size: 0
    .sgpr_count:     76
    .sgpr_spill_count: 0
    .symbol:         naive_conv_ab_packed_bwd_nhwc_half_double_half_0.kd
    .uniform_work_group_size: 1
    .uses_dynamic_stack: false
    .vgpr_count:     26
    .vgpr_spill_count: 0
    .wavefront_size: 64
  - .agpr_count:     0
    .args:
      - .address_space:  global
        .offset:         0
        .size:           8
        .value_kind:     global_buffer
      - .actual_access:  read_only
        .address_space:  global
        .offset:         8
        .size:           8
        .value_kind:     global_buffer
      - .offset:         16
        .size:           8
        .value_kind:     by_value
      - .offset:         24
        .size:           8
        .value_kind:     by_value
      - .actual_access:  read_only
        .address_space:  global
        .offset:         32
        .size:           8
        .value_kind:     global_buffer
      - .offset:         40
        .size:           40
        .value_kind:     by_value
      - .offset:         80
        .size:           40
        .value_kind:     by_value
      - .offset:         120
        .size:           40
        .value_kind:     by_value
      - .offset:         160
        .size:           4
        .value_kind:     by_value
      - .offset:         164
        .size:           4
        .value_kind:     by_value
      - .offset:         168
        .size:           4
        .value_kind:     by_value
      - .offset:         172
        .size:           4
        .value_kind:     by_value
      - .offset:         176
        .size:           4
        .value_kind:     by_value
      - .offset:         180
        .size:           4
        .value_kind:     by_value
      - .offset:         184
        .size:           4
        .value_kind:     by_value
      - .offset:         188
        .size:           4
        .value_kind:     by_value
      - .offset:         192
        .size:           4
        .value_kind:     by_value
      - .offset:         196
        .size:           4
        .value_kind:     by_value
      - .offset:         200
        .size:           4
        .value_kind:     by_value
      - .offset:         204
        .size:           4
        .value_kind:     by_value
      - .offset:         208
        .size:           4
        .value_kind:     by_value
      - .offset:         212
        .size:           4
        .value_kind:     by_value
      - .offset:         216
        .size:           4
        .value_kind:     by_value
      - .offset:         220
        .size:           4
        .value_kind:     by_value
      - .offset:         224
        .size:           4
        .value_kind:     hidden_block_count_x
      - .offset:         228
        .size:           4
        .value_kind:     hidden_block_count_y
      - .offset:         232
        .size:           4
        .value_kind:     hidden_block_count_z
      - .offset:         236
        .size:           2
        .value_kind:     hidden_group_size_x
      - .offset:         238
        .size:           2
        .value_kind:     hidden_group_size_y
      - .offset:         240
        .size:           2
        .value_kind:     hidden_group_size_z
      - .offset:         242
        .size:           2
        .value_kind:     hidden_remainder_x
      - .offset:         244
        .size:           2
        .value_kind:     hidden_remainder_y
      - .offset:         246
        .size:           2
        .value_kind:     hidden_remainder_z
      - .offset:         264
        .size:           8
        .value_kind:     hidden_global_offset_x
      - .offset:         272
        .size:           8
        .value_kind:     hidden_global_offset_y
      - .offset:         280
        .size:           8
        .value_kind:     hidden_global_offset_z
      - .offset:         288
        .size:           2
        .value_kind:     hidden_grid_dims
    .group_segment_fixed_size: 0
    .kernarg_segment_align: 8
    .kernarg_segment_size: 480
    .language:       OpenCL C
    .language_version:
      - 2
      - 0
    .max_flat_workgroup_size: 1024
    .name:           naive_conv_ab_nonpacked_bwd_nhwc_half_double_half_0
    .private_segment_fixed_size: 0
    .sgpr_count:     84
    .sgpr_spill_count: 0
    .symbol:         naive_conv_ab_nonpacked_bwd_nhwc_half_double_half_0.kd
    .uniform_work_group_size: 1
    .uses_dynamic_stack: false
    .vgpr_count:     28
    .vgpr_spill_count: 0
    .wavefront_size: 64
  - .agpr_count:     0
    .args:
      - .address_space:  global
        .offset:         0
        .size:           8
        .value_kind:     global_buffer
      - .actual_access:  read_only
        .address_space:  global
        .offset:         8
        .size:           8
        .value_kind:     global_buffer
      - .offset:         16
        .size:           8
        .value_kind:     by_value
      - .offset:         24
        .size:           8
        .value_kind:     by_value
      - .actual_access:  read_only
        .address_space:  global
        .offset:         32
        .size:           8
        .value_kind:     global_buffer
      - .offset:         40
        .size:           40
        .value_kind:     by_value
      - .offset:         80
        .size:           40
        .value_kind:     by_value
      - .offset:         120
        .size:           40
        .value_kind:     by_value
      - .offset:         160
        .size:           4
        .value_kind:     by_value
      - .offset:         164
        .size:           4
        .value_kind:     by_value
      - .offset:         168
        .size:           4
        .value_kind:     by_value
      - .offset:         172
        .size:           4
        .value_kind:     by_value
      - .offset:         176
        .size:           4
        .value_kind:     by_value
      - .offset:         180
        .size:           4
        .value_kind:     by_value
      - .offset:         184
        .size:           4
        .value_kind:     by_value
      - .offset:         188
        .size:           4
        .value_kind:     by_value
      - .offset:         192
        .size:           4
        .value_kind:     by_value
      - .offset:         196
        .size:           4
        .value_kind:     by_value
      - .offset:         200
        .size:           4
        .value_kind:     by_value
      - .offset:         204
        .size:           4
        .value_kind:     by_value
      - .offset:         208
        .size:           4
        .value_kind:     by_value
      - .offset:         212
        .size:           4
        .value_kind:     by_value
      - .offset:         216
        .size:           4
        .value_kind:     by_value
      - .offset:         220
        .size:           4
        .value_kind:     by_value
      - .offset:         224
        .size:           4
        .value_kind:     hidden_block_count_x
      - .offset:         228
        .size:           4
        .value_kind:     hidden_block_count_y
      - .offset:         232
        .size:           4
        .value_kind:     hidden_block_count_z
      - .offset:         236
        .size:           2
        .value_kind:     hidden_group_size_x
      - .offset:         238
        .size:           2
        .value_kind:     hidden_group_size_y
      - .offset:         240
        .size:           2
        .value_kind:     hidden_group_size_z
      - .offset:         242
        .size:           2
        .value_kind:     hidden_remainder_x
      - .offset:         244
        .size:           2
        .value_kind:     hidden_remainder_y
      - .offset:         246
        .size:           2
        .value_kind:     hidden_remainder_z
      - .offset:         264
        .size:           8
        .value_kind:     hidden_global_offset_x
      - .offset:         272
        .size:           8
        .value_kind:     hidden_global_offset_y
      - .offset:         280
        .size:           8
        .value_kind:     hidden_global_offset_z
      - .offset:         288
        .size:           2
        .value_kind:     hidden_grid_dims
    .group_segment_fixed_size: 0
    .kernarg_segment_align: 8
    .kernarg_segment_size: 480
    .language:       OpenCL C
    .language_version:
      - 2
      - 0
    .max_flat_workgroup_size: 1024
    .name:           naive_conv_ab_packed_bwd_nhwc_ushort_double_ushort_0
    .private_segment_fixed_size: 0
    .sgpr_count:     78
    .sgpr_spill_count: 0
    .symbol:         naive_conv_ab_packed_bwd_nhwc_ushort_double_ushort_0.kd
    .uniform_work_group_size: 1
    .uses_dynamic_stack: false
    .vgpr_count:     28
    .vgpr_spill_count: 0
    .wavefront_size: 64
  - .agpr_count:     0
    .args:
      - .address_space:  global
        .offset:         0
        .size:           8
        .value_kind:     global_buffer
      - .actual_access:  read_only
        .address_space:  global
        .offset:         8
        .size:           8
        .value_kind:     global_buffer
      - .offset:         16
        .size:           8
        .value_kind:     by_value
      - .offset:         24
        .size:           8
        .value_kind:     by_value
      - .actual_access:  read_only
        .address_space:  global
        .offset:         32
        .size:           8
        .value_kind:     global_buffer
      - .offset:         40
        .size:           40
        .value_kind:     by_value
      - .offset:         80
        .size:           40
        .value_kind:     by_value
      - .offset:         120
        .size:           40
        .value_kind:     by_value
      - .offset:         160
        .size:           4
        .value_kind:     by_value
      - .offset:         164
        .size:           4
        .value_kind:     by_value
      - .offset:         168
        .size:           4
        .value_kind:     by_value
      - .offset:         172
        .size:           4
        .value_kind:     by_value
      - .offset:         176
        .size:           4
        .value_kind:     by_value
      - .offset:         180
        .size:           4
        .value_kind:     by_value
      - .offset:         184
        .size:           4
        .value_kind:     by_value
      - .offset:         188
        .size:           4
        .value_kind:     by_value
      - .offset:         192
        .size:           4
        .value_kind:     by_value
      - .offset:         196
        .size:           4
        .value_kind:     by_value
      - .offset:         200
        .size:           4
        .value_kind:     by_value
      - .offset:         204
        .size:           4
        .value_kind:     by_value
      - .offset:         208
        .size:           4
        .value_kind:     by_value
      - .offset:         212
        .size:           4
        .value_kind:     by_value
      - .offset:         216
        .size:           4
        .value_kind:     by_value
      - .offset:         220
        .size:           4
        .value_kind:     by_value
      - .offset:         224
        .size:           4
        .value_kind:     hidden_block_count_x
      - .offset:         228
        .size:           4
        .value_kind:     hidden_block_count_y
      - .offset:         232
        .size:           4
        .value_kind:     hidden_block_count_z
      - .offset:         236
        .size:           2
        .value_kind:     hidden_group_size_x
      - .offset:         238
        .size:           2
        .value_kind:     hidden_group_size_y
      - .offset:         240
        .size:           2
        .value_kind:     hidden_group_size_z
      - .offset:         242
        .size:           2
        .value_kind:     hidden_remainder_x
      - .offset:         244
        .size:           2
        .value_kind:     hidden_remainder_y
      - .offset:         246
        .size:           2
        .value_kind:     hidden_remainder_z
      - .offset:         264
        .size:           8
        .value_kind:     hidden_global_offset_x
      - .offset:         272
        .size:           8
        .value_kind:     hidden_global_offset_y
      - .offset:         280
        .size:           8
        .value_kind:     hidden_global_offset_z
      - .offset:         288
        .size:           2
        .value_kind:     hidden_grid_dims
    .group_segment_fixed_size: 0
    .kernarg_segment_align: 8
    .kernarg_segment_size: 480
    .language:       OpenCL C
    .language_version:
      - 2
      - 0
    .max_flat_workgroup_size: 1024
    .name:           naive_conv_ab_nonpacked_bwd_nhwc_ushort_double_ushort_0
    .private_segment_fixed_size: 0
    .sgpr_count:     85
    .sgpr_spill_count: 0
    .symbol:         naive_conv_ab_nonpacked_bwd_nhwc_ushort_double_ushort_0.kd
    .uniform_work_group_size: 1
    .uses_dynamic_stack: false
    .vgpr_count:     30
    .vgpr_spill_count: 0
    .wavefront_size: 64
  - .agpr_count:     0
    .args:
      - .actual_access:  read_only
        .address_space:  global
        .offset:         0
        .size:           8
        .value_kind:     global_buffer
      - .address_space:  global
        .offset:         8
        .size:           8
        .value_kind:     global_buffer
      - .offset:         16
        .size:           8
        .value_kind:     by_value
      - .offset:         24
        .size:           8
        .value_kind:     by_value
      - .actual_access:  read_only
        .address_space:  global
        .offset:         32
        .size:           8
        .value_kind:     global_buffer
      - .offset:         40
        .size:           40
        .value_kind:     by_value
      - .offset:         80
        .size:           40
        .value_kind:     by_value
      - .offset:         120
        .size:           40
        .value_kind:     by_value
      - .offset:         160
        .size:           4
        .value_kind:     by_value
      - .offset:         164
        .size:           4
        .value_kind:     by_value
      - .offset:         168
        .size:           4
        .value_kind:     by_value
      - .offset:         172
        .size:           4
        .value_kind:     by_value
      - .offset:         176
        .size:           4
        .value_kind:     by_value
      - .offset:         180
        .size:           4
        .value_kind:     by_value
      - .offset:         184
        .size:           4
        .value_kind:     by_value
      - .offset:         188
        .size:           4
        .value_kind:     by_value
      - .offset:         192
        .size:           4
        .value_kind:     by_value
      - .offset:         196
        .size:           4
        .value_kind:     by_value
      - .offset:         200
        .size:           4
        .value_kind:     by_value
      - .offset:         204
        .size:           4
        .value_kind:     by_value
      - .offset:         208
        .size:           4
        .value_kind:     by_value
      - .offset:         212
        .size:           4
        .value_kind:     by_value
      - .offset:         216
        .size:           4
        .value_kind:     by_value
      - .offset:         220
        .size:           4
        .value_kind:     by_value
      - .offset:         224
        .size:           4
        .value_kind:     hidden_block_count_x
      - .offset:         228
        .size:           4
        .value_kind:     hidden_block_count_y
      - .offset:         232
        .size:           4
        .value_kind:     hidden_block_count_z
      - .offset:         236
        .size:           2
        .value_kind:     hidden_group_size_x
      - .offset:         238
        .size:           2
        .value_kind:     hidden_group_size_y
      - .offset:         240
        .size:           2
        .value_kind:     hidden_group_size_z
      - .offset:         242
        .size:           2
        .value_kind:     hidden_remainder_x
      - .offset:         244
        .size:           2
        .value_kind:     hidden_remainder_y
      - .offset:         246
        .size:           2
        .value_kind:     hidden_remainder_z
      - .offset:         264
        .size:           8
        .value_kind:     hidden_global_offset_x
      - .offset:         272
        .size:           8
        .value_kind:     hidden_global_offset_y
      - .offset:         280
        .size:           8
        .value_kind:     hidden_global_offset_z
      - .offset:         288
        .size:           2
        .value_kind:     hidden_grid_dims
    .group_segment_fixed_size: 0
    .kernarg_segment_align: 8
    .kernarg_segment_size: 480
    .language:       OpenCL C
    .language_version:
      - 2
      - 0
    .max_flat_workgroup_size: 1024
    .name:           naive_conv_ab_packed_wrw_nchw_float_double_float_0
    .private_segment_fixed_size: 0
    .sgpr_count:     72
    .sgpr_spill_count: 0
    .symbol:         naive_conv_ab_packed_wrw_nchw_float_double_float_0.kd
    .uniform_work_group_size: 1
    .uses_dynamic_stack: false
    .vgpr_count:     22
    .vgpr_spill_count: 0
    .wavefront_size: 64
  - .agpr_count:     0
    .args:
      - .actual_access:  read_only
        .address_space:  global
        .offset:         0
        .size:           8
        .value_kind:     global_buffer
      - .address_space:  global
        .offset:         8
        .size:           8
        .value_kind:     global_buffer
      - .offset:         16
        .size:           8
        .value_kind:     by_value
      - .offset:         24
        .size:           8
        .value_kind:     by_value
      - .actual_access:  read_only
        .address_space:  global
        .offset:         32
        .size:           8
        .value_kind:     global_buffer
      - .offset:         40
        .size:           40
        .value_kind:     by_value
      - .offset:         80
        .size:           40
        .value_kind:     by_value
      - .offset:         120
        .size:           40
        .value_kind:     by_value
      - .offset:         160
        .size:           4
        .value_kind:     by_value
      - .offset:         164
        .size:           4
        .value_kind:     by_value
      - .offset:         168
        .size:           4
        .value_kind:     by_value
      - .offset:         172
        .size:           4
        .value_kind:     by_value
      - .offset:         176
        .size:           4
        .value_kind:     by_value
      - .offset:         180
        .size:           4
        .value_kind:     by_value
      - .offset:         184
        .size:           4
        .value_kind:     by_value
      - .offset:         188
        .size:           4
        .value_kind:     by_value
      - .offset:         192
        .size:           4
        .value_kind:     by_value
      - .offset:         196
        .size:           4
        .value_kind:     by_value
      - .offset:         200
        .size:           4
        .value_kind:     by_value
      - .offset:         204
        .size:           4
        .value_kind:     by_value
      - .offset:         208
        .size:           4
        .value_kind:     by_value
      - .offset:         212
        .size:           4
        .value_kind:     by_value
      - .offset:         216
        .size:           4
        .value_kind:     by_value
      - .offset:         220
        .size:           4
        .value_kind:     by_value
      - .offset:         224
        .size:           4
        .value_kind:     hidden_block_count_x
      - .offset:         228
        .size:           4
        .value_kind:     hidden_block_count_y
      - .offset:         232
        .size:           4
        .value_kind:     hidden_block_count_z
      - .offset:         236
        .size:           2
        .value_kind:     hidden_group_size_x
      - .offset:         238
        .size:           2
        .value_kind:     hidden_group_size_y
      - .offset:         240
        .size:           2
        .value_kind:     hidden_group_size_z
      - .offset:         242
        .size:           2
        .value_kind:     hidden_remainder_x
      - .offset:         244
        .size:           2
        .value_kind:     hidden_remainder_y
      - .offset:         246
        .size:           2
        .value_kind:     hidden_remainder_z
      - .offset:         264
        .size:           8
        .value_kind:     hidden_global_offset_x
      - .offset:         272
        .size:           8
        .value_kind:     hidden_global_offset_y
      - .offset:         280
        .size:           8
        .value_kind:     hidden_global_offset_z
      - .offset:         288
        .size:           2
        .value_kind:     hidden_grid_dims
    .group_segment_fixed_size: 0
    .kernarg_segment_align: 8
    .kernarg_segment_size: 480
    .language:       OpenCL C
    .language_version:
      - 2
      - 0
    .max_flat_workgroup_size: 1024
    .name:           naive_conv_ab_nonpacked_wrw_nchw_float_double_float_0
    .private_segment_fixed_size: 0
    .sgpr_count:     82
    .sgpr_spill_count: 0
    .symbol:         naive_conv_ab_nonpacked_wrw_nchw_float_double_float_0.kd
    .uniform_work_group_size: 1
    .uses_dynamic_stack: false
    .vgpr_count:     24
    .vgpr_spill_count: 0
    .wavefront_size: 64
  - .agpr_count:     0
    .args:
      - .actual_access:  read_only
        .address_space:  global
        .offset:         0
        .size:           8
        .value_kind:     global_buffer
      - .address_space:  global
        .offset:         8
        .size:           8
        .value_kind:     global_buffer
      - .offset:         16
        .size:           8
        .value_kind:     by_value
      - .offset:         24
        .size:           8
        .value_kind:     by_value
      - .actual_access:  read_only
        .address_space:  global
        .offset:         32
        .size:           8
        .value_kind:     global_buffer
      - .offset:         40
        .size:           40
        .value_kind:     by_value
      - .offset:         80
        .size:           40
        .value_kind:     by_value
      - .offset:         120
        .size:           40
        .value_kind:     by_value
      - .offset:         160
        .size:           4
        .value_kind:     by_value
      - .offset:         164
        .size:           4
        .value_kind:     by_value
      - .offset:         168
        .size:           4
        .value_kind:     by_value
      - .offset:         172
        .size:           4
        .value_kind:     by_value
      - .offset:         176
        .size:           4
        .value_kind:     by_value
      - .offset:         180
        .size:           4
        .value_kind:     by_value
      - .offset:         184
        .size:           4
        .value_kind:     by_value
      - .offset:         188
        .size:           4
        .value_kind:     by_value
      - .offset:         192
        .size:           4
        .value_kind:     by_value
      - .offset:         196
        .size:           4
        .value_kind:     by_value
      - .offset:         200
        .size:           4
        .value_kind:     by_value
      - .offset:         204
        .size:           4
        .value_kind:     by_value
      - .offset:         208
        .size:           4
        .value_kind:     by_value
      - .offset:         212
        .size:           4
        .value_kind:     by_value
      - .offset:         216
        .size:           4
        .value_kind:     by_value
      - .offset:         220
        .size:           4
        .value_kind:     by_value
      - .offset:         224
        .size:           4
        .value_kind:     hidden_block_count_x
      - .offset:         228
        .size:           4
        .value_kind:     hidden_block_count_y
      - .offset:         232
        .size:           4
        .value_kind:     hidden_block_count_z
      - .offset:         236
        .size:           2
        .value_kind:     hidden_group_size_x
      - .offset:         238
        .size:           2
        .value_kind:     hidden_group_size_y
      - .offset:         240
        .size:           2
        .value_kind:     hidden_group_size_z
      - .offset:         242
        .size:           2
        .value_kind:     hidden_remainder_x
      - .offset:         244
        .size:           2
        .value_kind:     hidden_remainder_y
      - .offset:         246
        .size:           2
        .value_kind:     hidden_remainder_z
      - .offset:         264
        .size:           8
        .value_kind:     hidden_global_offset_x
      - .offset:         272
        .size:           8
        .value_kind:     hidden_global_offset_y
      - .offset:         280
        .size:           8
        .value_kind:     hidden_global_offset_z
      - .offset:         288
        .size:           2
        .value_kind:     hidden_grid_dims
    .group_segment_fixed_size: 0
    .kernarg_segment_align: 8
    .kernarg_segment_size: 480
    .language:       OpenCL C
    .language_version:
      - 2
      - 0
    .max_flat_workgroup_size: 1024
    .name:           naive_conv_ab_packed_wrw_nchw_float_double_float_1
    .private_segment_fixed_size: 0
    .sgpr_count:     72
    .sgpr_spill_count: 0
    .symbol:         naive_conv_ab_packed_wrw_nchw_float_double_float_1.kd
    .uniform_work_group_size: 1
    .uses_dynamic_stack: false
    .vgpr_count:     22
    .vgpr_spill_count: 0
    .wavefront_size: 64
  - .agpr_count:     0
    .args:
      - .actual_access:  read_only
        .address_space:  global
        .offset:         0
        .size:           8
        .value_kind:     global_buffer
      - .address_space:  global
        .offset:         8
        .size:           8
        .value_kind:     global_buffer
      - .offset:         16
        .size:           8
        .value_kind:     by_value
      - .offset:         24
        .size:           8
        .value_kind:     by_value
      - .actual_access:  read_only
        .address_space:  global
        .offset:         32
        .size:           8
        .value_kind:     global_buffer
      - .offset:         40
        .size:           40
        .value_kind:     by_value
      - .offset:         80
        .size:           40
        .value_kind:     by_value
      - .offset:         120
        .size:           40
        .value_kind:     by_value
      - .offset:         160
        .size:           4
        .value_kind:     by_value
      - .offset:         164
        .size:           4
        .value_kind:     by_value
      - .offset:         168
        .size:           4
        .value_kind:     by_value
      - .offset:         172
        .size:           4
        .value_kind:     by_value
      - .offset:         176
        .size:           4
        .value_kind:     by_value
      - .offset:         180
        .size:           4
        .value_kind:     by_value
      - .offset:         184
        .size:           4
        .value_kind:     by_value
      - .offset:         188
        .size:           4
        .value_kind:     by_value
      - .offset:         192
        .size:           4
        .value_kind:     by_value
      - .offset:         196
        .size:           4
        .value_kind:     by_value
      - .offset:         200
        .size:           4
        .value_kind:     by_value
      - .offset:         204
        .size:           4
        .value_kind:     by_value
      - .offset:         208
        .size:           4
        .value_kind:     by_value
      - .offset:         212
        .size:           4
        .value_kind:     by_value
      - .offset:         216
        .size:           4
        .value_kind:     by_value
      - .offset:         220
        .size:           4
        .value_kind:     by_value
      - .offset:         224
        .size:           4
        .value_kind:     hidden_block_count_x
      - .offset:         228
        .size:           4
        .value_kind:     hidden_block_count_y
      - .offset:         232
        .size:           4
        .value_kind:     hidden_block_count_z
      - .offset:         236
        .size:           2
        .value_kind:     hidden_group_size_x
      - .offset:         238
        .size:           2
        .value_kind:     hidden_group_size_y
      - .offset:         240
        .size:           2
        .value_kind:     hidden_group_size_z
      - .offset:         242
        .size:           2
        .value_kind:     hidden_remainder_x
      - .offset:         244
        .size:           2
        .value_kind:     hidden_remainder_y
      - .offset:         246
        .size:           2
        .value_kind:     hidden_remainder_z
      - .offset:         264
        .size:           8
        .value_kind:     hidden_global_offset_x
      - .offset:         272
        .size:           8
        .value_kind:     hidden_global_offset_y
      - .offset:         280
        .size:           8
        .value_kind:     hidden_global_offset_z
      - .offset:         288
        .size:           2
        .value_kind:     hidden_grid_dims
    .group_segment_fixed_size: 0
    .kernarg_segment_align: 8
    .kernarg_segment_size: 480
    .language:       OpenCL C
    .language_version:
      - 2
      - 0
    .max_flat_workgroup_size: 1024
    .name:           naive_conv_ab_nonpacked_wrw_nchw_float_double_float_1
    .private_segment_fixed_size: 0
    .sgpr_count:     82
    .sgpr_spill_count: 0
    .symbol:         naive_conv_ab_nonpacked_wrw_nchw_float_double_float_1.kd
    .uniform_work_group_size: 1
    .uses_dynamic_stack: false
    .vgpr_count:     24
    .vgpr_spill_count: 0
    .wavefront_size: 64
  - .agpr_count:     0
    .args:
      - .actual_access:  read_only
        .address_space:  global
        .offset:         0
        .size:           8
        .value_kind:     global_buffer
      - .address_space:  global
        .offset:         8
        .size:           8
        .value_kind:     global_buffer
      - .offset:         16
        .size:           8
        .value_kind:     by_value
      - .offset:         24
        .size:           8
        .value_kind:     by_value
      - .actual_access:  read_only
        .address_space:  global
        .offset:         32
        .size:           8
        .value_kind:     global_buffer
      - .offset:         40
        .size:           40
        .value_kind:     by_value
      - .offset:         80
        .size:           40
        .value_kind:     by_value
      - .offset:         120
        .size:           40
        .value_kind:     by_value
      - .offset:         160
        .size:           4
        .value_kind:     by_value
      - .offset:         164
        .size:           4
        .value_kind:     by_value
      - .offset:         168
        .size:           4
        .value_kind:     by_value
      - .offset:         172
        .size:           4
        .value_kind:     by_value
      - .offset:         176
        .size:           4
        .value_kind:     by_value
      - .offset:         180
        .size:           4
        .value_kind:     by_value
      - .offset:         184
        .size:           4
        .value_kind:     by_value
      - .offset:         188
        .size:           4
        .value_kind:     by_value
      - .offset:         192
        .size:           4
        .value_kind:     by_value
      - .offset:         196
        .size:           4
        .value_kind:     by_value
      - .offset:         200
        .size:           4
        .value_kind:     by_value
      - .offset:         204
        .size:           4
        .value_kind:     by_value
      - .offset:         208
        .size:           4
        .value_kind:     by_value
      - .offset:         212
        .size:           4
        .value_kind:     by_value
      - .offset:         216
        .size:           4
        .value_kind:     by_value
      - .offset:         220
        .size:           4
        .value_kind:     by_value
      - .offset:         224
        .size:           4
        .value_kind:     hidden_block_count_x
      - .offset:         228
        .size:           4
        .value_kind:     hidden_block_count_y
      - .offset:         232
        .size:           4
        .value_kind:     hidden_block_count_z
      - .offset:         236
        .size:           2
        .value_kind:     hidden_group_size_x
      - .offset:         238
        .size:           2
        .value_kind:     hidden_group_size_y
      - .offset:         240
        .size:           2
        .value_kind:     hidden_group_size_z
      - .offset:         242
        .size:           2
        .value_kind:     hidden_remainder_x
      - .offset:         244
        .size:           2
        .value_kind:     hidden_remainder_y
      - .offset:         246
        .size:           2
        .value_kind:     hidden_remainder_z
      - .offset:         264
        .size:           8
        .value_kind:     hidden_global_offset_x
      - .offset:         272
        .size:           8
        .value_kind:     hidden_global_offset_y
      - .offset:         280
        .size:           8
        .value_kind:     hidden_global_offset_z
      - .offset:         288
        .size:           2
        .value_kind:     hidden_grid_dims
    .group_segment_fixed_size: 0
    .kernarg_segment_align: 8
    .kernarg_segment_size: 480
    .language:       OpenCL C
    .language_version:
      - 2
      - 0
    .max_flat_workgroup_size: 1024
    .name:           naive_conv_ab_packed_wrw_nchw_half_double_half_0
    .private_segment_fixed_size: 0
    .sgpr_count:     72
    .sgpr_spill_count: 0
    .symbol:         naive_conv_ab_packed_wrw_nchw_half_double_half_0.kd
    .uniform_work_group_size: 1
    .uses_dynamic_stack: false
    .vgpr_count:     22
    .vgpr_spill_count: 0
    .wavefront_size: 64
  - .agpr_count:     0
    .args:
      - .actual_access:  read_only
        .address_space:  global
        .offset:         0
        .size:           8
        .value_kind:     global_buffer
      - .address_space:  global
        .offset:         8
        .size:           8
        .value_kind:     global_buffer
      - .offset:         16
        .size:           8
        .value_kind:     by_value
      - .offset:         24
        .size:           8
        .value_kind:     by_value
      - .actual_access:  read_only
        .address_space:  global
        .offset:         32
        .size:           8
        .value_kind:     global_buffer
      - .offset:         40
        .size:           40
        .value_kind:     by_value
      - .offset:         80
        .size:           40
        .value_kind:     by_value
      - .offset:         120
        .size:           40
        .value_kind:     by_value
      - .offset:         160
        .size:           4
        .value_kind:     by_value
      - .offset:         164
        .size:           4
        .value_kind:     by_value
      - .offset:         168
        .size:           4
        .value_kind:     by_value
      - .offset:         172
        .size:           4
        .value_kind:     by_value
      - .offset:         176
        .size:           4
        .value_kind:     by_value
      - .offset:         180
        .size:           4
        .value_kind:     by_value
      - .offset:         184
        .size:           4
        .value_kind:     by_value
      - .offset:         188
        .size:           4
        .value_kind:     by_value
      - .offset:         192
        .size:           4
        .value_kind:     by_value
      - .offset:         196
        .size:           4
        .value_kind:     by_value
      - .offset:         200
        .size:           4
        .value_kind:     by_value
      - .offset:         204
        .size:           4
        .value_kind:     by_value
      - .offset:         208
        .size:           4
        .value_kind:     by_value
      - .offset:         212
        .size:           4
        .value_kind:     by_value
      - .offset:         216
        .size:           4
        .value_kind:     by_value
      - .offset:         220
        .size:           4
        .value_kind:     by_value
      - .offset:         224
        .size:           4
        .value_kind:     hidden_block_count_x
      - .offset:         228
        .size:           4
        .value_kind:     hidden_block_count_y
      - .offset:         232
        .size:           4
        .value_kind:     hidden_block_count_z
      - .offset:         236
        .size:           2
        .value_kind:     hidden_group_size_x
      - .offset:         238
        .size:           2
        .value_kind:     hidden_group_size_y
      - .offset:         240
        .size:           2
        .value_kind:     hidden_group_size_z
      - .offset:         242
        .size:           2
        .value_kind:     hidden_remainder_x
      - .offset:         244
        .size:           2
        .value_kind:     hidden_remainder_y
      - .offset:         246
        .size:           2
        .value_kind:     hidden_remainder_z
      - .offset:         264
        .size:           8
        .value_kind:     hidden_global_offset_x
      - .offset:         272
        .size:           8
        .value_kind:     hidden_global_offset_y
      - .offset:         280
        .size:           8
        .value_kind:     hidden_global_offset_z
      - .offset:         288
        .size:           2
        .value_kind:     hidden_grid_dims
    .group_segment_fixed_size: 0
    .kernarg_segment_align: 8
    .kernarg_segment_size: 480
    .language:       OpenCL C
    .language_version:
      - 2
      - 0
    .max_flat_workgroup_size: 1024
    .name:           naive_conv_ab_nonpacked_wrw_nchw_half_double_half_0
    .private_segment_fixed_size: 0
    .sgpr_count:     82
    .sgpr_spill_count: 0
    .symbol:         naive_conv_ab_nonpacked_wrw_nchw_half_double_half_0.kd
    .uniform_work_group_size: 1
    .uses_dynamic_stack: false
    .vgpr_count:     24
    .vgpr_spill_count: 0
    .wavefront_size: 64
  - .agpr_count:     0
    .args:
      - .actual_access:  read_only
        .address_space:  global
        .offset:         0
        .size:           8
        .value_kind:     global_buffer
      - .address_space:  global
        .offset:         8
        .size:           8
        .value_kind:     global_buffer
      - .offset:         16
        .size:           8
        .value_kind:     by_value
      - .offset:         24
        .size:           8
        .value_kind:     by_value
      - .actual_access:  read_only
        .address_space:  global
        .offset:         32
        .size:           8
        .value_kind:     global_buffer
      - .offset:         40
        .size:           40
        .value_kind:     by_value
      - .offset:         80
        .size:           40
        .value_kind:     by_value
      - .offset:         120
        .size:           40
        .value_kind:     by_value
      - .offset:         160
        .size:           4
        .value_kind:     by_value
      - .offset:         164
        .size:           4
        .value_kind:     by_value
      - .offset:         168
        .size:           4
        .value_kind:     by_value
      - .offset:         172
        .size:           4
        .value_kind:     by_value
      - .offset:         176
        .size:           4
        .value_kind:     by_value
      - .offset:         180
        .size:           4
        .value_kind:     by_value
      - .offset:         184
        .size:           4
        .value_kind:     by_value
      - .offset:         188
        .size:           4
        .value_kind:     by_value
      - .offset:         192
        .size:           4
        .value_kind:     by_value
      - .offset:         196
        .size:           4
        .value_kind:     by_value
      - .offset:         200
        .size:           4
        .value_kind:     by_value
      - .offset:         204
        .size:           4
        .value_kind:     by_value
      - .offset:         208
        .size:           4
        .value_kind:     by_value
      - .offset:         212
        .size:           4
        .value_kind:     by_value
      - .offset:         216
        .size:           4
        .value_kind:     by_value
      - .offset:         220
        .size:           4
        .value_kind:     by_value
      - .offset:         224
        .size:           4
        .value_kind:     hidden_block_count_x
      - .offset:         228
        .size:           4
        .value_kind:     hidden_block_count_y
      - .offset:         232
        .size:           4
        .value_kind:     hidden_block_count_z
      - .offset:         236
        .size:           2
        .value_kind:     hidden_group_size_x
      - .offset:         238
        .size:           2
        .value_kind:     hidden_group_size_y
      - .offset:         240
        .size:           2
        .value_kind:     hidden_group_size_z
      - .offset:         242
        .size:           2
        .value_kind:     hidden_remainder_x
      - .offset:         244
        .size:           2
        .value_kind:     hidden_remainder_y
      - .offset:         246
        .size:           2
        .value_kind:     hidden_remainder_z
      - .offset:         264
        .size:           8
        .value_kind:     hidden_global_offset_x
      - .offset:         272
        .size:           8
        .value_kind:     hidden_global_offset_y
      - .offset:         280
        .size:           8
        .value_kind:     hidden_global_offset_z
      - .offset:         288
        .size:           2
        .value_kind:     hidden_grid_dims
    .group_segment_fixed_size: 0
    .kernarg_segment_align: 8
    .kernarg_segment_size: 480
    .language:       OpenCL C
    .language_version:
      - 2
      - 0
    .max_flat_workgroup_size: 1024
    .name:           naive_conv_ab_packed_wrw_nchw_ushort_double_ushort_0
    .private_segment_fixed_size: 0
    .sgpr_count:     72
    .sgpr_spill_count: 0
    .symbol:         naive_conv_ab_packed_wrw_nchw_ushort_double_ushort_0.kd
    .uniform_work_group_size: 1
    .uses_dynamic_stack: false
    .vgpr_count:     22
    .vgpr_spill_count: 0
    .wavefront_size: 64
  - .agpr_count:     0
    .args:
      - .actual_access:  read_only
        .address_space:  global
        .offset:         0
        .size:           8
        .value_kind:     global_buffer
      - .address_space:  global
        .offset:         8
        .size:           8
        .value_kind:     global_buffer
      - .offset:         16
        .size:           8
        .value_kind:     by_value
      - .offset:         24
        .size:           8
        .value_kind:     by_value
      - .actual_access:  read_only
        .address_space:  global
        .offset:         32
        .size:           8
        .value_kind:     global_buffer
      - .offset:         40
        .size:           40
        .value_kind:     by_value
      - .offset:         80
        .size:           40
        .value_kind:     by_value
      - .offset:         120
        .size:           40
        .value_kind:     by_value
      - .offset:         160
        .size:           4
        .value_kind:     by_value
      - .offset:         164
        .size:           4
        .value_kind:     by_value
      - .offset:         168
        .size:           4
        .value_kind:     by_value
      - .offset:         172
        .size:           4
        .value_kind:     by_value
      - .offset:         176
        .size:           4
        .value_kind:     by_value
      - .offset:         180
        .size:           4
        .value_kind:     by_value
      - .offset:         184
        .size:           4
        .value_kind:     by_value
      - .offset:         188
        .size:           4
        .value_kind:     by_value
      - .offset:         192
        .size:           4
        .value_kind:     by_value
      - .offset:         196
        .size:           4
        .value_kind:     by_value
      - .offset:         200
        .size:           4
        .value_kind:     by_value
      - .offset:         204
        .size:           4
        .value_kind:     by_value
      - .offset:         208
        .size:           4
        .value_kind:     by_value
      - .offset:         212
        .size:           4
        .value_kind:     by_value
      - .offset:         216
        .size:           4
        .value_kind:     by_value
      - .offset:         220
        .size:           4
        .value_kind:     by_value
      - .offset:         224
        .size:           4
        .value_kind:     hidden_block_count_x
      - .offset:         228
        .size:           4
        .value_kind:     hidden_block_count_y
      - .offset:         232
        .size:           4
        .value_kind:     hidden_block_count_z
      - .offset:         236
        .size:           2
        .value_kind:     hidden_group_size_x
      - .offset:         238
        .size:           2
        .value_kind:     hidden_group_size_y
      - .offset:         240
        .size:           2
        .value_kind:     hidden_group_size_z
      - .offset:         242
        .size:           2
        .value_kind:     hidden_remainder_x
      - .offset:         244
        .size:           2
        .value_kind:     hidden_remainder_y
      - .offset:         246
        .size:           2
        .value_kind:     hidden_remainder_z
      - .offset:         264
        .size:           8
        .value_kind:     hidden_global_offset_x
      - .offset:         272
        .size:           8
        .value_kind:     hidden_global_offset_y
      - .offset:         280
        .size:           8
        .value_kind:     hidden_global_offset_z
      - .offset:         288
        .size:           2
        .value_kind:     hidden_grid_dims
    .group_segment_fixed_size: 0
    .kernarg_segment_align: 8
    .kernarg_segment_size: 480
    .language:       OpenCL C
    .language_version:
      - 2
      - 0
    .max_flat_workgroup_size: 1024
    .name:           naive_conv_ab_nonpacked_wrw_nchw_ushort_double_ushort_0
    .private_segment_fixed_size: 0
    .sgpr_count:     82
    .sgpr_spill_count: 0
    .symbol:         naive_conv_ab_nonpacked_wrw_nchw_ushort_double_ushort_0.kd
    .uniform_work_group_size: 1
    .uses_dynamic_stack: false
    .vgpr_count:     24
    .vgpr_spill_count: 0
    .wavefront_size: 64
  - .agpr_count:     0
    .args:
      - .actual_access:  read_only
        .address_space:  global
        .offset:         0
        .size:           8
        .value_kind:     global_buffer
      - .address_space:  global
        .offset:         8
        .size:           8
        .value_kind:     global_buffer
      - .offset:         16
        .size:           8
        .value_kind:     by_value
      - .offset:         24
        .size:           8
        .value_kind:     by_value
      - .actual_access:  read_only
        .address_space:  global
        .offset:         32
        .size:           8
        .value_kind:     global_buffer
      - .offset:         40
        .size:           40
        .value_kind:     by_value
      - .offset:         80
        .size:           40
        .value_kind:     by_value
      - .offset:         120
        .size:           40
        .value_kind:     by_value
      - .offset:         160
        .size:           4
        .value_kind:     by_value
      - .offset:         164
        .size:           4
        .value_kind:     by_value
      - .offset:         168
        .size:           4
        .value_kind:     by_value
      - .offset:         172
        .size:           4
        .value_kind:     by_value
      - .offset:         176
        .size:           4
        .value_kind:     by_value
      - .offset:         180
        .size:           4
        .value_kind:     by_value
      - .offset:         184
        .size:           4
        .value_kind:     by_value
      - .offset:         188
        .size:           4
        .value_kind:     by_value
      - .offset:         192
        .size:           4
        .value_kind:     by_value
      - .offset:         196
        .size:           4
        .value_kind:     by_value
      - .offset:         200
        .size:           4
        .value_kind:     by_value
      - .offset:         204
        .size:           4
        .value_kind:     by_value
      - .offset:         208
        .size:           4
        .value_kind:     by_value
      - .offset:         212
        .size:           4
        .value_kind:     by_value
      - .offset:         216
        .size:           4
        .value_kind:     by_value
      - .offset:         220
        .size:           4
        .value_kind:     by_value
      - .offset:         224
        .size:           4
        .value_kind:     hidden_block_count_x
      - .offset:         228
        .size:           4
        .value_kind:     hidden_block_count_y
      - .offset:         232
        .size:           4
        .value_kind:     hidden_block_count_z
      - .offset:         236
        .size:           2
        .value_kind:     hidden_group_size_x
      - .offset:         238
        .size:           2
        .value_kind:     hidden_group_size_y
      - .offset:         240
        .size:           2
        .value_kind:     hidden_group_size_z
      - .offset:         242
        .size:           2
        .value_kind:     hidden_remainder_x
      - .offset:         244
        .size:           2
        .value_kind:     hidden_remainder_y
      - .offset:         246
        .size:           2
        .value_kind:     hidden_remainder_z
      - .offset:         264
        .size:           8
        .value_kind:     hidden_global_offset_x
      - .offset:         272
        .size:           8
        .value_kind:     hidden_global_offset_y
      - .offset:         280
        .size:           8
        .value_kind:     hidden_global_offset_z
      - .offset:         288
        .size:           2
        .value_kind:     hidden_grid_dims
    .group_segment_fixed_size: 0
    .kernarg_segment_align: 8
    .kernarg_segment_size: 480
    .language:       OpenCL C
    .language_version:
      - 2
      - 0
    .max_flat_workgroup_size: 1024
    .name:           naive_conv_ab_packed_wrw_nhwc_float_double_float_0
    .private_segment_fixed_size: 0
    .sgpr_count:     76
    .sgpr_spill_count: 0
    .symbol:         naive_conv_ab_packed_wrw_nhwc_float_double_float_0.kd
    .uniform_work_group_size: 1
    .uses_dynamic_stack: false
    .vgpr_count:     22
    .vgpr_spill_count: 0
    .wavefront_size: 64
  - .agpr_count:     0
    .args:
      - .actual_access:  read_only
        .address_space:  global
        .offset:         0
        .size:           8
        .value_kind:     global_buffer
      - .address_space:  global
        .offset:         8
        .size:           8
        .value_kind:     global_buffer
      - .offset:         16
        .size:           8
        .value_kind:     by_value
      - .offset:         24
        .size:           8
        .value_kind:     by_value
      - .actual_access:  read_only
        .address_space:  global
        .offset:         32
        .size:           8
        .value_kind:     global_buffer
      - .offset:         40
        .size:           40
        .value_kind:     by_value
      - .offset:         80
        .size:           40
        .value_kind:     by_value
      - .offset:         120
        .size:           40
        .value_kind:     by_value
      - .offset:         160
        .size:           4
        .value_kind:     by_value
      - .offset:         164
        .size:           4
        .value_kind:     by_value
      - .offset:         168
        .size:           4
        .value_kind:     by_value
      - .offset:         172
        .size:           4
        .value_kind:     by_value
      - .offset:         176
        .size:           4
        .value_kind:     by_value
      - .offset:         180
        .size:           4
        .value_kind:     by_value
      - .offset:         184
        .size:           4
        .value_kind:     by_value
      - .offset:         188
        .size:           4
        .value_kind:     by_value
      - .offset:         192
        .size:           4
        .value_kind:     by_value
      - .offset:         196
        .size:           4
        .value_kind:     by_value
      - .offset:         200
        .size:           4
        .value_kind:     by_value
      - .offset:         204
        .size:           4
        .value_kind:     by_value
      - .offset:         208
        .size:           4
        .value_kind:     by_value
      - .offset:         212
        .size:           4
        .value_kind:     by_value
      - .offset:         216
        .size:           4
        .value_kind:     by_value
      - .offset:         220
        .size:           4
        .value_kind:     by_value
      - .offset:         224
        .size:           4
        .value_kind:     hidden_block_count_x
      - .offset:         228
        .size:           4
        .value_kind:     hidden_block_count_y
      - .offset:         232
        .size:           4
        .value_kind:     hidden_block_count_z
      - .offset:         236
        .size:           2
        .value_kind:     hidden_group_size_x
      - .offset:         238
        .size:           2
        .value_kind:     hidden_group_size_y
      - .offset:         240
        .size:           2
        .value_kind:     hidden_group_size_z
      - .offset:         242
        .size:           2
        .value_kind:     hidden_remainder_x
      - .offset:         244
        .size:           2
        .value_kind:     hidden_remainder_y
      - .offset:         246
        .size:           2
        .value_kind:     hidden_remainder_z
      - .offset:         264
        .size:           8
        .value_kind:     hidden_global_offset_x
      - .offset:         272
        .size:           8
        .value_kind:     hidden_global_offset_y
      - .offset:         280
        .size:           8
        .value_kind:     hidden_global_offset_z
      - .offset:         288
        .size:           2
        .value_kind:     hidden_grid_dims
    .group_segment_fixed_size: 0
    .kernarg_segment_align: 8
    .kernarg_segment_size: 480
    .language:       OpenCL C
    .language_version:
      - 2
      - 0
    .max_flat_workgroup_size: 1024
    .name:           naive_conv_ab_nonpacked_wrw_nhwc_float_double_float_0
    .private_segment_fixed_size: 0
    .sgpr_count:     82
    .sgpr_spill_count: 0
    .symbol:         naive_conv_ab_nonpacked_wrw_nhwc_float_double_float_0.kd
    .uniform_work_group_size: 1
    .uses_dynamic_stack: false
    .vgpr_count:     24
    .vgpr_spill_count: 0
    .wavefront_size: 64
  - .agpr_count:     0
    .args:
      - .actual_access:  read_only
        .address_space:  global
        .offset:         0
        .size:           8
        .value_kind:     global_buffer
      - .address_space:  global
        .offset:         8
        .size:           8
        .value_kind:     global_buffer
      - .offset:         16
        .size:           8
        .value_kind:     by_value
      - .offset:         24
        .size:           8
        .value_kind:     by_value
      - .actual_access:  read_only
        .address_space:  global
        .offset:         32
        .size:           8
        .value_kind:     global_buffer
      - .offset:         40
        .size:           40
        .value_kind:     by_value
      - .offset:         80
        .size:           40
        .value_kind:     by_value
      - .offset:         120
        .size:           40
        .value_kind:     by_value
      - .offset:         160
        .size:           4
        .value_kind:     by_value
      - .offset:         164
        .size:           4
        .value_kind:     by_value
      - .offset:         168
        .size:           4
        .value_kind:     by_value
      - .offset:         172
        .size:           4
        .value_kind:     by_value
      - .offset:         176
        .size:           4
        .value_kind:     by_value
      - .offset:         180
        .size:           4
        .value_kind:     by_value
      - .offset:         184
        .size:           4
        .value_kind:     by_value
      - .offset:         188
        .size:           4
        .value_kind:     by_value
      - .offset:         192
        .size:           4
        .value_kind:     by_value
      - .offset:         196
        .size:           4
        .value_kind:     by_value
      - .offset:         200
        .size:           4
        .value_kind:     by_value
      - .offset:         204
        .size:           4
        .value_kind:     by_value
      - .offset:         208
        .size:           4
        .value_kind:     by_value
      - .offset:         212
        .size:           4
        .value_kind:     by_value
      - .offset:         216
        .size:           4
        .value_kind:     by_value
      - .offset:         220
        .size:           4
        .value_kind:     by_value
      - .offset:         224
        .size:           4
        .value_kind:     hidden_block_count_x
      - .offset:         228
        .size:           4
        .value_kind:     hidden_block_count_y
      - .offset:         232
        .size:           4
        .value_kind:     hidden_block_count_z
      - .offset:         236
        .size:           2
        .value_kind:     hidden_group_size_x
      - .offset:         238
        .size:           2
        .value_kind:     hidden_group_size_y
      - .offset:         240
        .size:           2
        .value_kind:     hidden_group_size_z
      - .offset:         242
        .size:           2
        .value_kind:     hidden_remainder_x
      - .offset:         244
        .size:           2
        .value_kind:     hidden_remainder_y
      - .offset:         246
        .size:           2
        .value_kind:     hidden_remainder_z
      - .offset:         264
        .size:           8
        .value_kind:     hidden_global_offset_x
      - .offset:         272
        .size:           8
        .value_kind:     hidden_global_offset_y
      - .offset:         280
        .size:           8
        .value_kind:     hidden_global_offset_z
      - .offset:         288
        .size:           2
        .value_kind:     hidden_grid_dims
    .group_segment_fixed_size: 0
    .kernarg_segment_align: 8
    .kernarg_segment_size: 480
    .language:       OpenCL C
    .language_version:
      - 2
      - 0
    .max_flat_workgroup_size: 1024
    .name:           naive_conv_ab_packed_wrw_nhwc_float_double_float_1
    .private_segment_fixed_size: 0
    .sgpr_count:     76
    .sgpr_spill_count: 0
    .symbol:         naive_conv_ab_packed_wrw_nhwc_float_double_float_1.kd
    .uniform_work_group_size: 1
    .uses_dynamic_stack: false
    .vgpr_count:     22
    .vgpr_spill_count: 0
    .wavefront_size: 64
  - .agpr_count:     0
    .args:
      - .actual_access:  read_only
        .address_space:  global
        .offset:         0
        .size:           8
        .value_kind:     global_buffer
      - .address_space:  global
        .offset:         8
        .size:           8
        .value_kind:     global_buffer
      - .offset:         16
        .size:           8
        .value_kind:     by_value
      - .offset:         24
        .size:           8
        .value_kind:     by_value
      - .actual_access:  read_only
        .address_space:  global
        .offset:         32
        .size:           8
        .value_kind:     global_buffer
      - .offset:         40
        .size:           40
        .value_kind:     by_value
      - .offset:         80
        .size:           40
        .value_kind:     by_value
      - .offset:         120
        .size:           40
        .value_kind:     by_value
      - .offset:         160
        .size:           4
        .value_kind:     by_value
      - .offset:         164
        .size:           4
        .value_kind:     by_value
      - .offset:         168
        .size:           4
        .value_kind:     by_value
      - .offset:         172
        .size:           4
        .value_kind:     by_value
      - .offset:         176
        .size:           4
        .value_kind:     by_value
      - .offset:         180
        .size:           4
        .value_kind:     by_value
      - .offset:         184
        .size:           4
        .value_kind:     by_value
      - .offset:         188
        .size:           4
        .value_kind:     by_value
      - .offset:         192
        .size:           4
        .value_kind:     by_value
      - .offset:         196
        .size:           4
        .value_kind:     by_value
      - .offset:         200
        .size:           4
        .value_kind:     by_value
      - .offset:         204
        .size:           4
        .value_kind:     by_value
      - .offset:         208
        .size:           4
        .value_kind:     by_value
      - .offset:         212
        .size:           4
        .value_kind:     by_value
      - .offset:         216
        .size:           4
        .value_kind:     by_value
      - .offset:         220
        .size:           4
        .value_kind:     by_value
      - .offset:         224
        .size:           4
        .value_kind:     hidden_block_count_x
      - .offset:         228
        .size:           4
        .value_kind:     hidden_block_count_y
      - .offset:         232
        .size:           4
        .value_kind:     hidden_block_count_z
      - .offset:         236
        .size:           2
        .value_kind:     hidden_group_size_x
      - .offset:         238
        .size:           2
        .value_kind:     hidden_group_size_y
      - .offset:         240
        .size:           2
        .value_kind:     hidden_group_size_z
      - .offset:         242
        .size:           2
        .value_kind:     hidden_remainder_x
      - .offset:         244
        .size:           2
        .value_kind:     hidden_remainder_y
      - .offset:         246
        .size:           2
        .value_kind:     hidden_remainder_z
      - .offset:         264
        .size:           8
        .value_kind:     hidden_global_offset_x
      - .offset:         272
        .size:           8
        .value_kind:     hidden_global_offset_y
      - .offset:         280
        .size:           8
        .value_kind:     hidden_global_offset_z
      - .offset:         288
        .size:           2
        .value_kind:     hidden_grid_dims
    .group_segment_fixed_size: 0
    .kernarg_segment_align: 8
    .kernarg_segment_size: 480
    .language:       OpenCL C
    .language_version:
      - 2
      - 0
    .max_flat_workgroup_size: 1024
    .name:           naive_conv_ab_nonpacked_wrw_nhwc_float_double_float_1
    .private_segment_fixed_size: 0
    .sgpr_count:     82
    .sgpr_spill_count: 0
    .symbol:         naive_conv_ab_nonpacked_wrw_nhwc_float_double_float_1.kd
    .uniform_work_group_size: 1
    .uses_dynamic_stack: false
    .vgpr_count:     24
    .vgpr_spill_count: 0
    .wavefront_size: 64
  - .agpr_count:     0
    .args:
      - .actual_access:  read_only
        .address_space:  global
        .offset:         0
        .size:           8
        .value_kind:     global_buffer
      - .address_space:  global
        .offset:         8
        .size:           8
        .value_kind:     global_buffer
      - .offset:         16
        .size:           8
        .value_kind:     by_value
      - .offset:         24
        .size:           8
        .value_kind:     by_value
      - .actual_access:  read_only
        .address_space:  global
        .offset:         32
        .size:           8
        .value_kind:     global_buffer
      - .offset:         40
        .size:           40
        .value_kind:     by_value
      - .offset:         80
        .size:           40
        .value_kind:     by_value
      - .offset:         120
        .size:           40
        .value_kind:     by_value
      - .offset:         160
        .size:           4
        .value_kind:     by_value
      - .offset:         164
        .size:           4
        .value_kind:     by_value
      - .offset:         168
        .size:           4
        .value_kind:     by_value
      - .offset:         172
        .size:           4
        .value_kind:     by_value
      - .offset:         176
        .size:           4
        .value_kind:     by_value
      - .offset:         180
        .size:           4
        .value_kind:     by_value
      - .offset:         184
        .size:           4
        .value_kind:     by_value
      - .offset:         188
        .size:           4
        .value_kind:     by_value
      - .offset:         192
        .size:           4
        .value_kind:     by_value
      - .offset:         196
        .size:           4
        .value_kind:     by_value
      - .offset:         200
        .size:           4
        .value_kind:     by_value
      - .offset:         204
        .size:           4
        .value_kind:     by_value
      - .offset:         208
        .size:           4
        .value_kind:     by_value
      - .offset:         212
        .size:           4
        .value_kind:     by_value
      - .offset:         216
        .size:           4
        .value_kind:     by_value
      - .offset:         220
        .size:           4
        .value_kind:     by_value
      - .offset:         224
        .size:           4
        .value_kind:     hidden_block_count_x
      - .offset:         228
        .size:           4
        .value_kind:     hidden_block_count_y
      - .offset:         232
        .size:           4
        .value_kind:     hidden_block_count_z
      - .offset:         236
        .size:           2
        .value_kind:     hidden_group_size_x
      - .offset:         238
        .size:           2
        .value_kind:     hidden_group_size_y
      - .offset:         240
        .size:           2
        .value_kind:     hidden_group_size_z
      - .offset:         242
        .size:           2
        .value_kind:     hidden_remainder_x
      - .offset:         244
        .size:           2
        .value_kind:     hidden_remainder_y
      - .offset:         246
        .size:           2
        .value_kind:     hidden_remainder_z
      - .offset:         264
        .size:           8
        .value_kind:     hidden_global_offset_x
      - .offset:         272
        .size:           8
        .value_kind:     hidden_global_offset_y
      - .offset:         280
        .size:           8
        .value_kind:     hidden_global_offset_z
      - .offset:         288
        .size:           2
        .value_kind:     hidden_grid_dims
    .group_segment_fixed_size: 0
    .kernarg_segment_align: 8
    .kernarg_segment_size: 480
    .language:       OpenCL C
    .language_version:
      - 2
      - 0
    .max_flat_workgroup_size: 1024
    .name:           naive_conv_ab_packed_wrw_nhwc_half_double_half_0
    .private_segment_fixed_size: 0
    .sgpr_count:     76
    .sgpr_spill_count: 0
    .symbol:         naive_conv_ab_packed_wrw_nhwc_half_double_half_0.kd
    .uniform_work_group_size: 1
    .uses_dynamic_stack: false
    .vgpr_count:     22
    .vgpr_spill_count: 0
    .wavefront_size: 64
  - .agpr_count:     0
    .args:
      - .actual_access:  read_only
        .address_space:  global
        .offset:         0
        .size:           8
        .value_kind:     global_buffer
      - .address_space:  global
        .offset:         8
        .size:           8
        .value_kind:     global_buffer
      - .offset:         16
        .size:           8
        .value_kind:     by_value
      - .offset:         24
        .size:           8
        .value_kind:     by_value
      - .actual_access:  read_only
        .address_space:  global
        .offset:         32
        .size:           8
        .value_kind:     global_buffer
      - .offset:         40
        .size:           40
        .value_kind:     by_value
      - .offset:         80
        .size:           40
        .value_kind:     by_value
      - .offset:         120
        .size:           40
        .value_kind:     by_value
      - .offset:         160
        .size:           4
        .value_kind:     by_value
      - .offset:         164
        .size:           4
        .value_kind:     by_value
      - .offset:         168
        .size:           4
        .value_kind:     by_value
      - .offset:         172
        .size:           4
        .value_kind:     by_value
      - .offset:         176
        .size:           4
        .value_kind:     by_value
      - .offset:         180
        .size:           4
        .value_kind:     by_value
      - .offset:         184
        .size:           4
        .value_kind:     by_value
      - .offset:         188
        .size:           4
        .value_kind:     by_value
      - .offset:         192
        .size:           4
        .value_kind:     by_value
      - .offset:         196
        .size:           4
        .value_kind:     by_value
      - .offset:         200
        .size:           4
        .value_kind:     by_value
      - .offset:         204
        .size:           4
        .value_kind:     by_value
      - .offset:         208
        .size:           4
        .value_kind:     by_value
      - .offset:         212
        .size:           4
        .value_kind:     by_value
      - .offset:         216
        .size:           4
        .value_kind:     by_value
      - .offset:         220
        .size:           4
        .value_kind:     by_value
      - .offset:         224
        .size:           4
        .value_kind:     hidden_block_count_x
      - .offset:         228
        .size:           4
        .value_kind:     hidden_block_count_y
      - .offset:         232
        .size:           4
        .value_kind:     hidden_block_count_z
      - .offset:         236
        .size:           2
        .value_kind:     hidden_group_size_x
      - .offset:         238
        .size:           2
        .value_kind:     hidden_group_size_y
      - .offset:         240
        .size:           2
        .value_kind:     hidden_group_size_z
      - .offset:         242
        .size:           2
        .value_kind:     hidden_remainder_x
      - .offset:         244
        .size:           2
        .value_kind:     hidden_remainder_y
      - .offset:         246
        .size:           2
        .value_kind:     hidden_remainder_z
      - .offset:         264
        .size:           8
        .value_kind:     hidden_global_offset_x
      - .offset:         272
        .size:           8
        .value_kind:     hidden_global_offset_y
      - .offset:         280
        .size:           8
        .value_kind:     hidden_global_offset_z
      - .offset:         288
        .size:           2
        .value_kind:     hidden_grid_dims
    .group_segment_fixed_size: 0
    .kernarg_segment_align: 8
    .kernarg_segment_size: 480
    .language:       OpenCL C
    .language_version:
      - 2
      - 0
    .max_flat_workgroup_size: 1024
    .name:           naive_conv_ab_nonpacked_wrw_nhwc_half_double_half_0
    .private_segment_fixed_size: 0
    .sgpr_count:     82
    .sgpr_spill_count: 0
    .symbol:         naive_conv_ab_nonpacked_wrw_nhwc_half_double_half_0.kd
    .uniform_work_group_size: 1
    .uses_dynamic_stack: false
    .vgpr_count:     24
    .vgpr_spill_count: 0
    .wavefront_size: 64
  - .agpr_count:     0
    .args:
      - .actual_access:  read_only
        .address_space:  global
        .offset:         0
        .size:           8
        .value_kind:     global_buffer
      - .address_space:  global
        .offset:         8
        .size:           8
        .value_kind:     global_buffer
      - .offset:         16
        .size:           8
        .value_kind:     by_value
      - .offset:         24
        .size:           8
        .value_kind:     by_value
      - .actual_access:  read_only
        .address_space:  global
        .offset:         32
        .size:           8
        .value_kind:     global_buffer
      - .offset:         40
        .size:           40
        .value_kind:     by_value
      - .offset:         80
        .size:           40
        .value_kind:     by_value
      - .offset:         120
        .size:           40
        .value_kind:     by_value
      - .offset:         160
        .size:           4
        .value_kind:     by_value
      - .offset:         164
        .size:           4
        .value_kind:     by_value
      - .offset:         168
        .size:           4
        .value_kind:     by_value
      - .offset:         172
        .size:           4
        .value_kind:     by_value
      - .offset:         176
        .size:           4
        .value_kind:     by_value
      - .offset:         180
        .size:           4
        .value_kind:     by_value
      - .offset:         184
        .size:           4
        .value_kind:     by_value
      - .offset:         188
        .size:           4
        .value_kind:     by_value
      - .offset:         192
        .size:           4
        .value_kind:     by_value
      - .offset:         196
        .size:           4
        .value_kind:     by_value
      - .offset:         200
        .size:           4
        .value_kind:     by_value
      - .offset:         204
        .size:           4
        .value_kind:     by_value
      - .offset:         208
        .size:           4
        .value_kind:     by_value
      - .offset:         212
        .size:           4
        .value_kind:     by_value
      - .offset:         216
        .size:           4
        .value_kind:     by_value
      - .offset:         220
        .size:           4
        .value_kind:     by_value
      - .offset:         224
        .size:           4
        .value_kind:     hidden_block_count_x
      - .offset:         228
        .size:           4
        .value_kind:     hidden_block_count_y
      - .offset:         232
        .size:           4
        .value_kind:     hidden_block_count_z
      - .offset:         236
        .size:           2
        .value_kind:     hidden_group_size_x
      - .offset:         238
        .size:           2
        .value_kind:     hidden_group_size_y
      - .offset:         240
        .size:           2
        .value_kind:     hidden_group_size_z
      - .offset:         242
        .size:           2
        .value_kind:     hidden_remainder_x
      - .offset:         244
        .size:           2
        .value_kind:     hidden_remainder_y
      - .offset:         246
        .size:           2
        .value_kind:     hidden_remainder_z
      - .offset:         264
        .size:           8
        .value_kind:     hidden_global_offset_x
      - .offset:         272
        .size:           8
        .value_kind:     hidden_global_offset_y
      - .offset:         280
        .size:           8
        .value_kind:     hidden_global_offset_z
      - .offset:         288
        .size:           2
        .value_kind:     hidden_grid_dims
    .group_segment_fixed_size: 0
    .kernarg_segment_align: 8
    .kernarg_segment_size: 480
    .language:       OpenCL C
    .language_version:
      - 2
      - 0
    .max_flat_workgroup_size: 1024
    .name:           naive_conv_ab_packed_wrw_nhwc_ushort_double_ushort_0
    .private_segment_fixed_size: 0
    .sgpr_count:     78
    .sgpr_spill_count: 0
    .symbol:         naive_conv_ab_packed_wrw_nhwc_ushort_double_ushort_0.kd
    .uniform_work_group_size: 1
    .uses_dynamic_stack: false
    .vgpr_count:     22
    .vgpr_spill_count: 0
    .wavefront_size: 64
  - .agpr_count:     0
    .args:
      - .actual_access:  read_only
        .address_space:  global
        .offset:         0
        .size:           8
        .value_kind:     global_buffer
      - .address_space:  global
        .offset:         8
        .size:           8
        .value_kind:     global_buffer
      - .offset:         16
        .size:           8
        .value_kind:     by_value
      - .offset:         24
        .size:           8
        .value_kind:     by_value
      - .actual_access:  read_only
        .address_space:  global
        .offset:         32
        .size:           8
        .value_kind:     global_buffer
      - .offset:         40
        .size:           40
        .value_kind:     by_value
      - .offset:         80
        .size:           40
        .value_kind:     by_value
      - .offset:         120
        .size:           40
        .value_kind:     by_value
      - .offset:         160
        .size:           4
        .value_kind:     by_value
      - .offset:         164
        .size:           4
        .value_kind:     by_value
      - .offset:         168
        .size:           4
        .value_kind:     by_value
      - .offset:         172
        .size:           4
        .value_kind:     by_value
      - .offset:         176
        .size:           4
        .value_kind:     by_value
      - .offset:         180
        .size:           4
        .value_kind:     by_value
      - .offset:         184
        .size:           4
        .value_kind:     by_value
      - .offset:         188
        .size:           4
        .value_kind:     by_value
      - .offset:         192
        .size:           4
        .value_kind:     by_value
      - .offset:         196
        .size:           4
        .value_kind:     by_value
      - .offset:         200
        .size:           4
        .value_kind:     by_value
      - .offset:         204
        .size:           4
        .value_kind:     by_value
      - .offset:         208
        .size:           4
        .value_kind:     by_value
      - .offset:         212
        .size:           4
        .value_kind:     by_value
      - .offset:         216
        .size:           4
        .value_kind:     by_value
      - .offset:         220
        .size:           4
        .value_kind:     by_value
      - .offset:         224
        .size:           4
        .value_kind:     hidden_block_count_x
      - .offset:         228
        .size:           4
        .value_kind:     hidden_block_count_y
      - .offset:         232
        .size:           4
        .value_kind:     hidden_block_count_z
      - .offset:         236
        .size:           2
        .value_kind:     hidden_group_size_x
      - .offset:         238
        .size:           2
        .value_kind:     hidden_group_size_y
      - .offset:         240
        .size:           2
        .value_kind:     hidden_group_size_z
      - .offset:         242
        .size:           2
        .value_kind:     hidden_remainder_x
      - .offset:         244
        .size:           2
        .value_kind:     hidden_remainder_y
      - .offset:         246
        .size:           2
        .value_kind:     hidden_remainder_z
      - .offset:         264
        .size:           8
        .value_kind:     hidden_global_offset_x
      - .offset:         272
        .size:           8
        .value_kind:     hidden_global_offset_y
      - .offset:         280
        .size:           8
        .value_kind:     hidden_global_offset_z
      - .offset:         288
        .size:           2
        .value_kind:     hidden_grid_dims
    .group_segment_fixed_size: 0
    .kernarg_segment_align: 8
    .kernarg_segment_size: 480
    .language:       OpenCL C
    .language_version:
      - 2
      - 0
    .max_flat_workgroup_size: 1024
    .name:           naive_conv_ab_nonpacked_wrw_nhwc_ushort_double_ushort_0
    .private_segment_fixed_size: 0
    .sgpr_count:     82
    .sgpr_spill_count: 0
    .symbol:         naive_conv_ab_nonpacked_wrw_nhwc_ushort_double_ushort_0.kd
    .uniform_work_group_size: 1
    .uses_dynamic_stack: false
    .vgpr_count:     24
    .vgpr_spill_count: 0
    .wavefront_size: 64
  - .agpr_count:     0
    .args:
      - .actual_access:  read_only
        .address_space:  global
        .offset:         0
        .size:           8
        .value_kind:     global_buffer
      - .actual_access:  read_only
        .address_space:  global
        .offset:         8
        .size:           8
        .value_kind:     global_buffer
      - .offset:         16
        .size:           8
        .value_kind:     by_value
      - .offset:         24
        .size:           8
        .value_kind:     by_value
      - .address_space:  global
        .offset:         32
        .size:           8
        .value_kind:     global_buffer
      - .offset:         40
        .size:           48
        .value_kind:     by_value
      - .offset:         88
        .size:           48
        .value_kind:     by_value
      - .offset:         136
        .size:           48
        .value_kind:     by_value
      - .offset:         184
        .size:           4
        .value_kind:     by_value
      - .offset:         188
        .size:           4
        .value_kind:     by_value
      - .offset:         192
        .size:           4
        .value_kind:     by_value
      - .offset:         196
        .size:           4
        .value_kind:     by_value
      - .offset:         200
        .size:           4
        .value_kind:     by_value
      - .offset:         204
        .size:           4
        .value_kind:     by_value
      - .offset:         208
        .size:           4
        .value_kind:     by_value
      - .offset:         212
        .size:           4
        .value_kind:     by_value
      - .offset:         216
        .size:           4
        .value_kind:     by_value
      - .offset:         220
        .size:           4
        .value_kind:     by_value
      - .offset:         224
        .size:           4
        .value_kind:     by_value
      - .offset:         228
        .size:           4
        .value_kind:     by_value
      - .offset:         232
        .size:           4
        .value_kind:     by_value
      - .offset:         236
        .size:           4
        .value_kind:     by_value
      - .offset:         240
        .size:           4
        .value_kind:     by_value
      - .offset:         244
        .size:           4
        .value_kind:     by_value
      - .offset:         248
        .size:           4
        .value_kind:     by_value
      - .offset:         252
        .size:           4
        .value_kind:     by_value
      - .offset:         256
        .size:           4
        .value_kind:     by_value
      - .offset:         260
        .size:           4
        .value_kind:     by_value
      - .offset:         264
        .size:           4
        .value_kind:     by_value
      - .offset:         268
        .size:           4
        .value_kind:     by_value
      - .offset:         272
        .size:           4
        .value_kind:     hidden_block_count_x
      - .offset:         276
        .size:           4
        .value_kind:     hidden_block_count_y
      - .offset:         280
        .size:           4
        .value_kind:     hidden_block_count_z
      - .offset:         284
        .size:           2
        .value_kind:     hidden_group_size_x
      - .offset:         286
        .size:           2
        .value_kind:     hidden_group_size_y
      - .offset:         288
        .size:           2
        .value_kind:     hidden_group_size_z
      - .offset:         290
        .size:           2
        .value_kind:     hidden_remainder_x
      - .offset:         292
        .size:           2
        .value_kind:     hidden_remainder_y
      - .offset:         294
        .size:           2
        .value_kind:     hidden_remainder_z
      - .offset:         312
        .size:           8
        .value_kind:     hidden_global_offset_x
      - .offset:         320
        .size:           8
        .value_kind:     hidden_global_offset_y
      - .offset:         328
        .size:           8
        .value_kind:     hidden_global_offset_z
      - .offset:         336
        .size:           2
        .value_kind:     hidden_grid_dims
    .group_segment_fixed_size: 0
    .kernarg_segment_align: 8
    .kernarg_segment_size: 528
    .language:       OpenCL C
    .language_version:
      - 2
      - 0
    .max_flat_workgroup_size: 1024
    .name:           naive_conv_ab_packed_fwd_ncdhw_float_double_float_0
    .private_segment_fixed_size: 0
    .sgpr_count:     86
    .sgpr_spill_count: 0
    .symbol:         naive_conv_ab_packed_fwd_ncdhw_float_double_float_0.kd
    .uniform_work_group_size: 1
    .uses_dynamic_stack: false
    .vgpr_count:     22
    .vgpr_spill_count: 0
    .wavefront_size: 64
  - .agpr_count:     0
    .args:
      - .actual_access:  read_only
        .address_space:  global
        .offset:         0
        .size:           8
        .value_kind:     global_buffer
      - .actual_access:  read_only
        .address_space:  global
        .offset:         8
        .size:           8
        .value_kind:     global_buffer
      - .offset:         16
        .size:           8
        .value_kind:     by_value
      - .offset:         24
        .size:           8
        .value_kind:     by_value
      - .address_space:  global
        .offset:         32
        .size:           8
        .value_kind:     global_buffer
      - .offset:         40
        .size:           48
        .value_kind:     by_value
      - .offset:         88
        .size:           48
        .value_kind:     by_value
      - .offset:         136
        .size:           48
        .value_kind:     by_value
      - .offset:         184
        .size:           4
        .value_kind:     by_value
      - .offset:         188
        .size:           4
        .value_kind:     by_value
      - .offset:         192
        .size:           4
        .value_kind:     by_value
      - .offset:         196
        .size:           4
        .value_kind:     by_value
      - .offset:         200
        .size:           4
        .value_kind:     by_value
      - .offset:         204
        .size:           4
        .value_kind:     by_value
      - .offset:         208
        .size:           4
        .value_kind:     by_value
      - .offset:         212
        .size:           4
        .value_kind:     by_value
      - .offset:         216
        .size:           4
        .value_kind:     by_value
      - .offset:         220
        .size:           4
        .value_kind:     by_value
      - .offset:         224
        .size:           4
        .value_kind:     by_value
      - .offset:         228
        .size:           4
        .value_kind:     by_value
      - .offset:         232
        .size:           4
        .value_kind:     by_value
      - .offset:         236
        .size:           4
        .value_kind:     by_value
      - .offset:         240
        .size:           4
        .value_kind:     by_value
      - .offset:         244
        .size:           4
        .value_kind:     by_value
      - .offset:         248
        .size:           4
        .value_kind:     by_value
      - .offset:         252
        .size:           4
        .value_kind:     by_value
      - .offset:         256
        .size:           4
        .value_kind:     by_value
      - .offset:         260
        .size:           4
        .value_kind:     by_value
      - .offset:         264
        .size:           4
        .value_kind:     by_value
      - .offset:         268
        .size:           4
        .value_kind:     by_value
      - .offset:         272
        .size:           4
        .value_kind:     hidden_block_count_x
      - .offset:         276
        .size:           4
        .value_kind:     hidden_block_count_y
      - .offset:         280
        .size:           4
        .value_kind:     hidden_block_count_z
      - .offset:         284
        .size:           2
        .value_kind:     hidden_group_size_x
      - .offset:         286
        .size:           2
        .value_kind:     hidden_group_size_y
      - .offset:         288
        .size:           2
        .value_kind:     hidden_group_size_z
      - .offset:         290
        .size:           2
        .value_kind:     hidden_remainder_x
      - .offset:         292
        .size:           2
        .value_kind:     hidden_remainder_y
      - .offset:         294
        .size:           2
        .value_kind:     hidden_remainder_z
      - .offset:         312
        .size:           8
        .value_kind:     hidden_global_offset_x
      - .offset:         320
        .size:           8
        .value_kind:     hidden_global_offset_y
      - .offset:         328
        .size:           8
        .value_kind:     hidden_global_offset_z
      - .offset:         336
        .size:           2
        .value_kind:     hidden_grid_dims
    .group_segment_fixed_size: 0
    .kernarg_segment_align: 8
    .kernarg_segment_size: 528
    .language:       OpenCL C
    .language_version:
      - 2
      - 0
    .max_flat_workgroup_size: 1024
    .name:           naive_conv_ab_nonpacked_fwd_ncdhw_float_double_float_0
    .private_segment_fixed_size: 0
    .sgpr_count:     98
    .sgpr_spill_count: 0
    .symbol:         naive_conv_ab_nonpacked_fwd_ncdhw_float_double_float_0.kd
    .uniform_work_group_size: 1
    .uses_dynamic_stack: false
    .vgpr_count:     22
    .vgpr_spill_count: 0
    .wavefront_size: 64
  - .agpr_count:     0
    .args:
      - .actual_access:  read_only
        .address_space:  global
        .offset:         0
        .size:           8
        .value_kind:     global_buffer
      - .actual_access:  read_only
        .address_space:  global
        .offset:         8
        .size:           8
        .value_kind:     global_buffer
      - .offset:         16
        .size:           8
        .value_kind:     by_value
      - .offset:         24
        .size:           8
        .value_kind:     by_value
      - .address_space:  global
        .offset:         32
        .size:           8
        .value_kind:     global_buffer
      - .offset:         40
        .size:           48
        .value_kind:     by_value
      - .offset:         88
        .size:           48
        .value_kind:     by_value
      - .offset:         136
        .size:           48
        .value_kind:     by_value
      - .offset:         184
        .size:           4
        .value_kind:     by_value
      - .offset:         188
        .size:           4
        .value_kind:     by_value
      - .offset:         192
        .size:           4
        .value_kind:     by_value
      - .offset:         196
        .size:           4
        .value_kind:     by_value
      - .offset:         200
        .size:           4
        .value_kind:     by_value
      - .offset:         204
        .size:           4
        .value_kind:     by_value
      - .offset:         208
        .size:           4
        .value_kind:     by_value
      - .offset:         212
        .size:           4
        .value_kind:     by_value
      - .offset:         216
        .size:           4
        .value_kind:     by_value
      - .offset:         220
        .size:           4
        .value_kind:     by_value
      - .offset:         224
        .size:           4
        .value_kind:     by_value
      - .offset:         228
        .size:           4
        .value_kind:     by_value
      - .offset:         232
        .size:           4
        .value_kind:     by_value
      - .offset:         236
        .size:           4
        .value_kind:     by_value
      - .offset:         240
        .size:           4
        .value_kind:     by_value
      - .offset:         244
        .size:           4
        .value_kind:     by_value
      - .offset:         248
        .size:           4
        .value_kind:     by_value
      - .offset:         252
        .size:           4
        .value_kind:     by_value
      - .offset:         256
        .size:           4
        .value_kind:     by_value
      - .offset:         260
        .size:           4
        .value_kind:     by_value
      - .offset:         264
        .size:           4
        .value_kind:     by_value
      - .offset:         268
        .size:           4
        .value_kind:     by_value
      - .offset:         272
        .size:           4
        .value_kind:     hidden_block_count_x
      - .offset:         276
        .size:           4
        .value_kind:     hidden_block_count_y
      - .offset:         280
        .size:           4
        .value_kind:     hidden_block_count_z
      - .offset:         284
        .size:           2
        .value_kind:     hidden_group_size_x
      - .offset:         286
        .size:           2
        .value_kind:     hidden_group_size_y
      - .offset:         288
        .size:           2
        .value_kind:     hidden_group_size_z
      - .offset:         290
        .size:           2
        .value_kind:     hidden_remainder_x
      - .offset:         292
        .size:           2
        .value_kind:     hidden_remainder_y
      - .offset:         294
        .size:           2
        .value_kind:     hidden_remainder_z
      - .offset:         312
        .size:           8
        .value_kind:     hidden_global_offset_x
      - .offset:         320
        .size:           8
        .value_kind:     hidden_global_offset_y
      - .offset:         328
        .size:           8
        .value_kind:     hidden_global_offset_z
      - .offset:         336
        .size:           2
        .value_kind:     hidden_grid_dims
    .group_segment_fixed_size: 0
    .kernarg_segment_align: 8
    .kernarg_segment_size: 528
    .language:       OpenCL C
    .language_version:
      - 2
      - 0
    .max_flat_workgroup_size: 1024
    .name:           naive_conv_ab_packed_fwd_ncdhw_float_double_float_1
    .private_segment_fixed_size: 0
    .sgpr_count:     86
    .sgpr_spill_count: 0
    .symbol:         naive_conv_ab_packed_fwd_ncdhw_float_double_float_1.kd
    .uniform_work_group_size: 1
    .uses_dynamic_stack: false
    .vgpr_count:     22
    .vgpr_spill_count: 0
    .wavefront_size: 64
  - .agpr_count:     0
    .args:
      - .actual_access:  read_only
        .address_space:  global
        .offset:         0
        .size:           8
        .value_kind:     global_buffer
      - .actual_access:  read_only
        .address_space:  global
        .offset:         8
        .size:           8
        .value_kind:     global_buffer
      - .offset:         16
        .size:           8
        .value_kind:     by_value
      - .offset:         24
        .size:           8
        .value_kind:     by_value
      - .address_space:  global
        .offset:         32
        .size:           8
        .value_kind:     global_buffer
      - .offset:         40
        .size:           48
        .value_kind:     by_value
      - .offset:         88
        .size:           48
        .value_kind:     by_value
      - .offset:         136
        .size:           48
        .value_kind:     by_value
      - .offset:         184
        .size:           4
        .value_kind:     by_value
      - .offset:         188
        .size:           4
        .value_kind:     by_value
      - .offset:         192
        .size:           4
        .value_kind:     by_value
      - .offset:         196
        .size:           4
        .value_kind:     by_value
      - .offset:         200
        .size:           4
        .value_kind:     by_value
      - .offset:         204
        .size:           4
        .value_kind:     by_value
      - .offset:         208
        .size:           4
        .value_kind:     by_value
      - .offset:         212
        .size:           4
        .value_kind:     by_value
      - .offset:         216
        .size:           4
        .value_kind:     by_value
      - .offset:         220
        .size:           4
        .value_kind:     by_value
      - .offset:         224
        .size:           4
        .value_kind:     by_value
      - .offset:         228
        .size:           4
        .value_kind:     by_value
      - .offset:         232
        .size:           4
        .value_kind:     by_value
      - .offset:         236
        .size:           4
        .value_kind:     by_value
      - .offset:         240
        .size:           4
        .value_kind:     by_value
      - .offset:         244
        .size:           4
        .value_kind:     by_value
      - .offset:         248
        .size:           4
        .value_kind:     by_value
      - .offset:         252
        .size:           4
        .value_kind:     by_value
      - .offset:         256
        .size:           4
        .value_kind:     by_value
      - .offset:         260
        .size:           4
        .value_kind:     by_value
      - .offset:         264
        .size:           4
        .value_kind:     by_value
      - .offset:         268
        .size:           4
        .value_kind:     by_value
      - .offset:         272
        .size:           4
        .value_kind:     hidden_block_count_x
      - .offset:         276
        .size:           4
        .value_kind:     hidden_block_count_y
      - .offset:         280
        .size:           4
        .value_kind:     hidden_block_count_z
      - .offset:         284
        .size:           2
        .value_kind:     hidden_group_size_x
      - .offset:         286
        .size:           2
        .value_kind:     hidden_group_size_y
      - .offset:         288
        .size:           2
        .value_kind:     hidden_group_size_z
      - .offset:         290
        .size:           2
        .value_kind:     hidden_remainder_x
      - .offset:         292
        .size:           2
        .value_kind:     hidden_remainder_y
      - .offset:         294
        .size:           2
        .value_kind:     hidden_remainder_z
      - .offset:         312
        .size:           8
        .value_kind:     hidden_global_offset_x
      - .offset:         320
        .size:           8
        .value_kind:     hidden_global_offset_y
      - .offset:         328
        .size:           8
        .value_kind:     hidden_global_offset_z
      - .offset:         336
        .size:           2
        .value_kind:     hidden_grid_dims
    .group_segment_fixed_size: 0
    .kernarg_segment_align: 8
    .kernarg_segment_size: 528
    .language:       OpenCL C
    .language_version:
      - 2
      - 0
    .max_flat_workgroup_size: 1024
    .name:           naive_conv_ab_nonpacked_fwd_ncdhw_float_double_float_1
    .private_segment_fixed_size: 0
    .sgpr_count:     98
    .sgpr_spill_count: 0
    .symbol:         naive_conv_ab_nonpacked_fwd_ncdhw_float_double_float_1.kd
    .uniform_work_group_size: 1
    .uses_dynamic_stack: false
    .vgpr_count:     22
    .vgpr_spill_count: 0
    .wavefront_size: 64
  - .agpr_count:     0
    .args:
      - .actual_access:  read_only
        .address_space:  global
        .offset:         0
        .size:           8
        .value_kind:     global_buffer
      - .actual_access:  read_only
        .address_space:  global
        .offset:         8
        .size:           8
        .value_kind:     global_buffer
      - .offset:         16
        .size:           8
        .value_kind:     by_value
      - .offset:         24
        .size:           8
        .value_kind:     by_value
      - .address_space:  global
        .offset:         32
        .size:           8
        .value_kind:     global_buffer
      - .offset:         40
        .size:           48
        .value_kind:     by_value
      - .offset:         88
        .size:           48
        .value_kind:     by_value
      - .offset:         136
        .size:           48
        .value_kind:     by_value
      - .offset:         184
        .size:           4
        .value_kind:     by_value
      - .offset:         188
        .size:           4
        .value_kind:     by_value
      - .offset:         192
        .size:           4
        .value_kind:     by_value
      - .offset:         196
        .size:           4
        .value_kind:     by_value
      - .offset:         200
        .size:           4
        .value_kind:     by_value
      - .offset:         204
        .size:           4
        .value_kind:     by_value
      - .offset:         208
        .size:           4
        .value_kind:     by_value
      - .offset:         212
        .size:           4
        .value_kind:     by_value
      - .offset:         216
        .size:           4
        .value_kind:     by_value
      - .offset:         220
        .size:           4
        .value_kind:     by_value
      - .offset:         224
        .size:           4
        .value_kind:     by_value
      - .offset:         228
        .size:           4
        .value_kind:     by_value
      - .offset:         232
        .size:           4
        .value_kind:     by_value
      - .offset:         236
        .size:           4
        .value_kind:     by_value
      - .offset:         240
        .size:           4
        .value_kind:     by_value
      - .offset:         244
        .size:           4
        .value_kind:     by_value
      - .offset:         248
        .size:           4
        .value_kind:     by_value
      - .offset:         252
        .size:           4
        .value_kind:     by_value
      - .offset:         256
        .size:           4
        .value_kind:     by_value
      - .offset:         260
        .size:           4
        .value_kind:     by_value
      - .offset:         264
        .size:           4
        .value_kind:     by_value
      - .offset:         268
        .size:           4
        .value_kind:     by_value
      - .offset:         272
        .size:           4
        .value_kind:     hidden_block_count_x
      - .offset:         276
        .size:           4
        .value_kind:     hidden_block_count_y
      - .offset:         280
        .size:           4
        .value_kind:     hidden_block_count_z
      - .offset:         284
        .size:           2
        .value_kind:     hidden_group_size_x
      - .offset:         286
        .size:           2
        .value_kind:     hidden_group_size_y
      - .offset:         288
        .size:           2
        .value_kind:     hidden_group_size_z
      - .offset:         290
        .size:           2
        .value_kind:     hidden_remainder_x
      - .offset:         292
        .size:           2
        .value_kind:     hidden_remainder_y
      - .offset:         294
        .size:           2
        .value_kind:     hidden_remainder_z
      - .offset:         312
        .size:           8
        .value_kind:     hidden_global_offset_x
      - .offset:         320
        .size:           8
        .value_kind:     hidden_global_offset_y
      - .offset:         328
        .size:           8
        .value_kind:     hidden_global_offset_z
      - .offset:         336
        .size:           2
        .value_kind:     hidden_grid_dims
    .group_segment_fixed_size: 0
    .kernarg_segment_align: 8
    .kernarg_segment_size: 528
    .language:       OpenCL C
    .language_version:
      - 2
      - 0
    .max_flat_workgroup_size: 1024
    .name:           naive_conv_ab_packed_fwd_ncdhw_half_double_half_0
    .private_segment_fixed_size: 0
    .sgpr_count:     86
    .sgpr_spill_count: 0
    .symbol:         naive_conv_ab_packed_fwd_ncdhw_half_double_half_0.kd
    .uniform_work_group_size: 1
    .uses_dynamic_stack: false
    .vgpr_count:     22
    .vgpr_spill_count: 0
    .wavefront_size: 64
  - .agpr_count:     0
    .args:
      - .actual_access:  read_only
        .address_space:  global
        .offset:         0
        .size:           8
        .value_kind:     global_buffer
      - .actual_access:  read_only
        .address_space:  global
        .offset:         8
        .size:           8
        .value_kind:     global_buffer
      - .offset:         16
        .size:           8
        .value_kind:     by_value
      - .offset:         24
        .size:           8
        .value_kind:     by_value
      - .address_space:  global
        .offset:         32
        .size:           8
        .value_kind:     global_buffer
      - .offset:         40
        .size:           48
        .value_kind:     by_value
      - .offset:         88
        .size:           48
        .value_kind:     by_value
      - .offset:         136
        .size:           48
        .value_kind:     by_value
      - .offset:         184
        .size:           4
        .value_kind:     by_value
      - .offset:         188
        .size:           4
        .value_kind:     by_value
      - .offset:         192
        .size:           4
        .value_kind:     by_value
      - .offset:         196
        .size:           4
        .value_kind:     by_value
      - .offset:         200
        .size:           4
        .value_kind:     by_value
      - .offset:         204
        .size:           4
        .value_kind:     by_value
      - .offset:         208
        .size:           4
        .value_kind:     by_value
      - .offset:         212
        .size:           4
        .value_kind:     by_value
      - .offset:         216
        .size:           4
        .value_kind:     by_value
      - .offset:         220
        .size:           4
        .value_kind:     by_value
      - .offset:         224
        .size:           4
        .value_kind:     by_value
      - .offset:         228
        .size:           4
        .value_kind:     by_value
      - .offset:         232
        .size:           4
        .value_kind:     by_value
      - .offset:         236
        .size:           4
        .value_kind:     by_value
      - .offset:         240
        .size:           4
        .value_kind:     by_value
      - .offset:         244
        .size:           4
        .value_kind:     by_value
      - .offset:         248
        .size:           4
        .value_kind:     by_value
      - .offset:         252
        .size:           4
        .value_kind:     by_value
      - .offset:         256
        .size:           4
        .value_kind:     by_value
      - .offset:         260
        .size:           4
        .value_kind:     by_value
      - .offset:         264
        .size:           4
        .value_kind:     by_value
      - .offset:         268
        .size:           4
        .value_kind:     by_value
      - .offset:         272
        .size:           4
        .value_kind:     hidden_block_count_x
      - .offset:         276
        .size:           4
        .value_kind:     hidden_block_count_y
      - .offset:         280
        .size:           4
        .value_kind:     hidden_block_count_z
      - .offset:         284
        .size:           2
        .value_kind:     hidden_group_size_x
      - .offset:         286
        .size:           2
        .value_kind:     hidden_group_size_y
      - .offset:         288
        .size:           2
        .value_kind:     hidden_group_size_z
      - .offset:         290
        .size:           2
        .value_kind:     hidden_remainder_x
      - .offset:         292
        .size:           2
        .value_kind:     hidden_remainder_y
      - .offset:         294
        .size:           2
        .value_kind:     hidden_remainder_z
      - .offset:         312
        .size:           8
        .value_kind:     hidden_global_offset_x
      - .offset:         320
        .size:           8
        .value_kind:     hidden_global_offset_y
      - .offset:         328
        .size:           8
        .value_kind:     hidden_global_offset_z
      - .offset:         336
        .size:           2
        .value_kind:     hidden_grid_dims
    .group_segment_fixed_size: 0
    .kernarg_segment_align: 8
    .kernarg_segment_size: 528
    .language:       OpenCL C
    .language_version:
      - 2
      - 0
    .max_flat_workgroup_size: 1024
    .name:           naive_conv_ab_nonpacked_fwd_ncdhw_half_double_half_0
    .private_segment_fixed_size: 0
    .sgpr_count:     98
    .sgpr_spill_count: 0
    .symbol:         naive_conv_ab_nonpacked_fwd_ncdhw_half_double_half_0.kd
    .uniform_work_group_size: 1
    .uses_dynamic_stack: false
    .vgpr_count:     22
    .vgpr_spill_count: 0
    .wavefront_size: 64
  - .agpr_count:     0
    .args:
      - .actual_access:  read_only
        .address_space:  global
        .offset:         0
        .size:           8
        .value_kind:     global_buffer
      - .actual_access:  read_only
        .address_space:  global
        .offset:         8
        .size:           8
        .value_kind:     global_buffer
      - .offset:         16
        .size:           8
        .value_kind:     by_value
      - .offset:         24
        .size:           8
        .value_kind:     by_value
      - .address_space:  global
        .offset:         32
        .size:           8
        .value_kind:     global_buffer
      - .offset:         40
        .size:           48
        .value_kind:     by_value
      - .offset:         88
        .size:           48
        .value_kind:     by_value
      - .offset:         136
        .size:           48
        .value_kind:     by_value
      - .offset:         184
        .size:           4
        .value_kind:     by_value
      - .offset:         188
        .size:           4
        .value_kind:     by_value
      - .offset:         192
        .size:           4
        .value_kind:     by_value
      - .offset:         196
        .size:           4
        .value_kind:     by_value
      - .offset:         200
        .size:           4
        .value_kind:     by_value
      - .offset:         204
        .size:           4
        .value_kind:     by_value
      - .offset:         208
        .size:           4
        .value_kind:     by_value
      - .offset:         212
        .size:           4
        .value_kind:     by_value
      - .offset:         216
        .size:           4
        .value_kind:     by_value
      - .offset:         220
        .size:           4
        .value_kind:     by_value
      - .offset:         224
        .size:           4
        .value_kind:     by_value
      - .offset:         228
        .size:           4
        .value_kind:     by_value
      - .offset:         232
        .size:           4
        .value_kind:     by_value
      - .offset:         236
        .size:           4
        .value_kind:     by_value
      - .offset:         240
        .size:           4
        .value_kind:     by_value
      - .offset:         244
        .size:           4
        .value_kind:     by_value
      - .offset:         248
        .size:           4
        .value_kind:     by_value
      - .offset:         252
        .size:           4
        .value_kind:     by_value
      - .offset:         256
        .size:           4
        .value_kind:     by_value
      - .offset:         260
        .size:           4
        .value_kind:     by_value
      - .offset:         264
        .size:           4
        .value_kind:     by_value
      - .offset:         268
        .size:           4
        .value_kind:     by_value
      - .offset:         272
        .size:           4
        .value_kind:     hidden_block_count_x
      - .offset:         276
        .size:           4
        .value_kind:     hidden_block_count_y
      - .offset:         280
        .size:           4
        .value_kind:     hidden_block_count_z
      - .offset:         284
        .size:           2
        .value_kind:     hidden_group_size_x
      - .offset:         286
        .size:           2
        .value_kind:     hidden_group_size_y
      - .offset:         288
        .size:           2
        .value_kind:     hidden_group_size_z
      - .offset:         290
        .size:           2
        .value_kind:     hidden_remainder_x
      - .offset:         292
        .size:           2
        .value_kind:     hidden_remainder_y
      - .offset:         294
        .size:           2
        .value_kind:     hidden_remainder_z
      - .offset:         312
        .size:           8
        .value_kind:     hidden_global_offset_x
      - .offset:         320
        .size:           8
        .value_kind:     hidden_global_offset_y
      - .offset:         328
        .size:           8
        .value_kind:     hidden_global_offset_z
      - .offset:         336
        .size:           2
        .value_kind:     hidden_grid_dims
    .group_segment_fixed_size: 0
    .kernarg_segment_align: 8
    .kernarg_segment_size: 528
    .language:       OpenCL C
    .language_version:
      - 2
      - 0
    .max_flat_workgroup_size: 1024
    .name:           naive_conv_ab_packed_fwd_ncdhw_ushort_double_ushort_0
    .private_segment_fixed_size: 0
    .sgpr_count:     86
    .sgpr_spill_count: 0
    .symbol:         naive_conv_ab_packed_fwd_ncdhw_ushort_double_ushort_0.kd
    .uniform_work_group_size: 1
    .uses_dynamic_stack: false
    .vgpr_count:     22
    .vgpr_spill_count: 0
    .wavefront_size: 64
  - .agpr_count:     0
    .args:
      - .actual_access:  read_only
        .address_space:  global
        .offset:         0
        .size:           8
        .value_kind:     global_buffer
      - .actual_access:  read_only
        .address_space:  global
        .offset:         8
        .size:           8
        .value_kind:     global_buffer
      - .offset:         16
        .size:           8
        .value_kind:     by_value
      - .offset:         24
        .size:           8
        .value_kind:     by_value
      - .address_space:  global
        .offset:         32
        .size:           8
        .value_kind:     global_buffer
      - .offset:         40
        .size:           48
        .value_kind:     by_value
      - .offset:         88
        .size:           48
        .value_kind:     by_value
      - .offset:         136
        .size:           48
        .value_kind:     by_value
      - .offset:         184
        .size:           4
        .value_kind:     by_value
      - .offset:         188
        .size:           4
        .value_kind:     by_value
      - .offset:         192
        .size:           4
        .value_kind:     by_value
      - .offset:         196
        .size:           4
        .value_kind:     by_value
      - .offset:         200
        .size:           4
        .value_kind:     by_value
      - .offset:         204
        .size:           4
        .value_kind:     by_value
      - .offset:         208
        .size:           4
        .value_kind:     by_value
      - .offset:         212
        .size:           4
        .value_kind:     by_value
      - .offset:         216
        .size:           4
        .value_kind:     by_value
      - .offset:         220
        .size:           4
        .value_kind:     by_value
      - .offset:         224
        .size:           4
        .value_kind:     by_value
      - .offset:         228
        .size:           4
        .value_kind:     by_value
      - .offset:         232
        .size:           4
        .value_kind:     by_value
      - .offset:         236
        .size:           4
        .value_kind:     by_value
      - .offset:         240
        .size:           4
        .value_kind:     by_value
      - .offset:         244
        .size:           4
        .value_kind:     by_value
      - .offset:         248
        .size:           4
        .value_kind:     by_value
      - .offset:         252
        .size:           4
        .value_kind:     by_value
      - .offset:         256
        .size:           4
        .value_kind:     by_value
      - .offset:         260
        .size:           4
        .value_kind:     by_value
      - .offset:         264
        .size:           4
        .value_kind:     by_value
      - .offset:         268
        .size:           4
        .value_kind:     by_value
      - .offset:         272
        .size:           4
        .value_kind:     hidden_block_count_x
      - .offset:         276
        .size:           4
        .value_kind:     hidden_block_count_y
      - .offset:         280
        .size:           4
        .value_kind:     hidden_block_count_z
      - .offset:         284
        .size:           2
        .value_kind:     hidden_group_size_x
      - .offset:         286
        .size:           2
        .value_kind:     hidden_group_size_y
      - .offset:         288
        .size:           2
        .value_kind:     hidden_group_size_z
      - .offset:         290
        .size:           2
        .value_kind:     hidden_remainder_x
      - .offset:         292
        .size:           2
        .value_kind:     hidden_remainder_y
      - .offset:         294
        .size:           2
        .value_kind:     hidden_remainder_z
      - .offset:         312
        .size:           8
        .value_kind:     hidden_global_offset_x
      - .offset:         320
        .size:           8
        .value_kind:     hidden_global_offset_y
      - .offset:         328
        .size:           8
        .value_kind:     hidden_global_offset_z
      - .offset:         336
        .size:           2
        .value_kind:     hidden_grid_dims
    .group_segment_fixed_size: 0
    .kernarg_segment_align: 8
    .kernarg_segment_size: 528
    .language:       OpenCL C
    .language_version:
      - 2
      - 0
    .max_flat_workgroup_size: 1024
    .name:           naive_conv_ab_nonpacked_fwd_ncdhw_ushort_double_ushort_0
    .private_segment_fixed_size: 0
    .sgpr_count:     98
    .sgpr_spill_count: 0
    .symbol:         naive_conv_ab_nonpacked_fwd_ncdhw_ushort_double_ushort_0.kd
    .uniform_work_group_size: 1
    .uses_dynamic_stack: false
    .vgpr_count:     22
    .vgpr_spill_count: 0
    .wavefront_size: 64
  - .agpr_count:     0
    .args:
      - .actual_access:  read_only
        .address_space:  global
        .offset:         0
        .size:           8
        .value_kind:     global_buffer
      - .actual_access:  read_only
        .address_space:  global
        .offset:         8
        .size:           8
        .value_kind:     global_buffer
      - .offset:         16
        .size:           8
        .value_kind:     by_value
      - .offset:         24
        .size:           8
        .value_kind:     by_value
      - .address_space:  global
        .offset:         32
        .size:           8
        .value_kind:     global_buffer
      - .offset:         40
        .size:           48
        .value_kind:     by_value
      - .offset:         88
        .size:           48
        .value_kind:     by_value
      - .offset:         136
        .size:           48
        .value_kind:     by_value
      - .offset:         184
        .size:           4
        .value_kind:     by_value
      - .offset:         188
        .size:           4
        .value_kind:     by_value
      - .offset:         192
        .size:           4
        .value_kind:     by_value
      - .offset:         196
        .size:           4
        .value_kind:     by_value
      - .offset:         200
        .size:           4
        .value_kind:     by_value
      - .offset:         204
        .size:           4
        .value_kind:     by_value
      - .offset:         208
        .size:           4
        .value_kind:     by_value
      - .offset:         212
        .size:           4
        .value_kind:     by_value
      - .offset:         216
        .size:           4
        .value_kind:     by_value
      - .offset:         220
        .size:           4
        .value_kind:     by_value
      - .offset:         224
        .size:           4
        .value_kind:     by_value
      - .offset:         228
        .size:           4
        .value_kind:     by_value
      - .offset:         232
        .size:           4
        .value_kind:     by_value
      - .offset:         236
        .size:           4
        .value_kind:     by_value
      - .offset:         240
        .size:           4
        .value_kind:     by_value
      - .offset:         244
        .size:           4
        .value_kind:     by_value
      - .offset:         248
        .size:           4
        .value_kind:     by_value
      - .offset:         252
        .size:           4
        .value_kind:     by_value
      - .offset:         256
        .size:           4
        .value_kind:     by_value
      - .offset:         260
        .size:           4
        .value_kind:     by_value
      - .offset:         264
        .size:           4
        .value_kind:     by_value
      - .offset:         268
        .size:           4
        .value_kind:     by_value
      - .offset:         272
        .size:           4
        .value_kind:     hidden_block_count_x
      - .offset:         276
        .size:           4
        .value_kind:     hidden_block_count_y
      - .offset:         280
        .size:           4
        .value_kind:     hidden_block_count_z
      - .offset:         284
        .size:           2
        .value_kind:     hidden_group_size_x
      - .offset:         286
        .size:           2
        .value_kind:     hidden_group_size_y
      - .offset:         288
        .size:           2
        .value_kind:     hidden_group_size_z
      - .offset:         290
        .size:           2
        .value_kind:     hidden_remainder_x
      - .offset:         292
        .size:           2
        .value_kind:     hidden_remainder_y
      - .offset:         294
        .size:           2
        .value_kind:     hidden_remainder_z
      - .offset:         312
        .size:           8
        .value_kind:     hidden_global_offset_x
      - .offset:         320
        .size:           8
        .value_kind:     hidden_global_offset_y
      - .offset:         328
        .size:           8
        .value_kind:     hidden_global_offset_z
      - .offset:         336
        .size:           2
        .value_kind:     hidden_grid_dims
    .group_segment_fixed_size: 0
    .kernarg_segment_align: 8
    .kernarg_segment_size: 528
    .language:       OpenCL C
    .language_version:
      - 2
      - 0
    .max_flat_workgroup_size: 1024
    .name:           naive_conv_ab_packed_fwd_ncdhw_int8_t_int32_t_int32_t_0
    .private_segment_fixed_size: 0
    .sgpr_count:     80
    .sgpr_spill_count: 0
    .symbol:         naive_conv_ab_packed_fwd_ncdhw_int8_t_int32_t_int32_t_0.kd
    .uniform_work_group_size: 1
    .uses_dynamic_stack: false
    .vgpr_count:     22
    .vgpr_spill_count: 0
    .wavefront_size: 64
  - .agpr_count:     0
    .args:
      - .actual_access:  read_only
        .address_space:  global
        .offset:         0
        .size:           8
        .value_kind:     global_buffer
      - .actual_access:  read_only
        .address_space:  global
        .offset:         8
        .size:           8
        .value_kind:     global_buffer
      - .offset:         16
        .size:           8
        .value_kind:     by_value
      - .offset:         24
        .size:           8
        .value_kind:     by_value
      - .address_space:  global
        .offset:         32
        .size:           8
        .value_kind:     global_buffer
      - .offset:         40
        .size:           48
        .value_kind:     by_value
      - .offset:         88
        .size:           48
        .value_kind:     by_value
      - .offset:         136
        .size:           48
        .value_kind:     by_value
      - .offset:         184
        .size:           4
        .value_kind:     by_value
      - .offset:         188
        .size:           4
        .value_kind:     by_value
      - .offset:         192
        .size:           4
        .value_kind:     by_value
      - .offset:         196
        .size:           4
        .value_kind:     by_value
      - .offset:         200
        .size:           4
        .value_kind:     by_value
      - .offset:         204
        .size:           4
        .value_kind:     by_value
      - .offset:         208
        .size:           4
        .value_kind:     by_value
      - .offset:         212
        .size:           4
        .value_kind:     by_value
      - .offset:         216
        .size:           4
        .value_kind:     by_value
      - .offset:         220
        .size:           4
        .value_kind:     by_value
      - .offset:         224
        .size:           4
        .value_kind:     by_value
      - .offset:         228
        .size:           4
        .value_kind:     by_value
      - .offset:         232
        .size:           4
        .value_kind:     by_value
      - .offset:         236
        .size:           4
        .value_kind:     by_value
      - .offset:         240
        .size:           4
        .value_kind:     by_value
      - .offset:         244
        .size:           4
        .value_kind:     by_value
      - .offset:         248
        .size:           4
        .value_kind:     by_value
      - .offset:         252
        .size:           4
        .value_kind:     by_value
      - .offset:         256
        .size:           4
        .value_kind:     by_value
      - .offset:         260
        .size:           4
        .value_kind:     by_value
      - .offset:         264
        .size:           4
        .value_kind:     by_value
      - .offset:         268
        .size:           4
        .value_kind:     by_value
      - .offset:         272
        .size:           4
        .value_kind:     hidden_block_count_x
      - .offset:         276
        .size:           4
        .value_kind:     hidden_block_count_y
      - .offset:         280
        .size:           4
        .value_kind:     hidden_block_count_z
      - .offset:         284
        .size:           2
        .value_kind:     hidden_group_size_x
      - .offset:         286
        .size:           2
        .value_kind:     hidden_group_size_y
      - .offset:         288
        .size:           2
        .value_kind:     hidden_group_size_z
      - .offset:         290
        .size:           2
        .value_kind:     hidden_remainder_x
      - .offset:         292
        .size:           2
        .value_kind:     hidden_remainder_y
      - .offset:         294
        .size:           2
        .value_kind:     hidden_remainder_z
      - .offset:         312
        .size:           8
        .value_kind:     hidden_global_offset_x
      - .offset:         320
        .size:           8
        .value_kind:     hidden_global_offset_y
      - .offset:         328
        .size:           8
        .value_kind:     hidden_global_offset_z
      - .offset:         336
        .size:           2
        .value_kind:     hidden_grid_dims
    .group_segment_fixed_size: 0
    .kernarg_segment_align: 8
    .kernarg_segment_size: 528
    .language:       OpenCL C
    .language_version:
      - 2
      - 0
    .max_flat_workgroup_size: 1024
    .name:           naive_conv_ab_nonpacked_fwd_ncdhw_int8_t_int32_t_int32_t_0
    .private_segment_fixed_size: 0
    .sgpr_count:     94
    .sgpr_spill_count: 0
    .symbol:         naive_conv_ab_nonpacked_fwd_ncdhw_int8_t_int32_t_int32_t_0.kd
    .uniform_work_group_size: 1
    .uses_dynamic_stack: false
    .vgpr_count:     24
    .vgpr_spill_count: 0
    .wavefront_size: 64
  - .agpr_count:     0
    .args:
      - .actual_access:  read_only
        .address_space:  global
        .offset:         0
        .size:           8
        .value_kind:     global_buffer
      - .actual_access:  read_only
        .address_space:  global
        .offset:         8
        .size:           8
        .value_kind:     global_buffer
      - .offset:         16
        .size:           8
        .value_kind:     by_value
      - .offset:         24
        .size:           8
        .value_kind:     by_value
      - .address_space:  global
        .offset:         32
        .size:           8
        .value_kind:     global_buffer
      - .offset:         40
        .size:           48
        .value_kind:     by_value
      - .offset:         88
        .size:           48
        .value_kind:     by_value
      - .offset:         136
        .size:           48
        .value_kind:     by_value
      - .offset:         184
        .size:           4
        .value_kind:     by_value
      - .offset:         188
        .size:           4
        .value_kind:     by_value
      - .offset:         192
        .size:           4
        .value_kind:     by_value
      - .offset:         196
        .size:           4
        .value_kind:     by_value
      - .offset:         200
        .size:           4
        .value_kind:     by_value
      - .offset:         204
        .size:           4
        .value_kind:     by_value
      - .offset:         208
        .size:           4
        .value_kind:     by_value
      - .offset:         212
        .size:           4
        .value_kind:     by_value
      - .offset:         216
        .size:           4
        .value_kind:     by_value
      - .offset:         220
        .size:           4
        .value_kind:     by_value
      - .offset:         224
        .size:           4
        .value_kind:     by_value
      - .offset:         228
        .size:           4
        .value_kind:     by_value
      - .offset:         232
        .size:           4
        .value_kind:     by_value
      - .offset:         236
        .size:           4
        .value_kind:     by_value
      - .offset:         240
        .size:           4
        .value_kind:     by_value
      - .offset:         244
        .size:           4
        .value_kind:     by_value
      - .offset:         248
        .size:           4
        .value_kind:     by_value
      - .offset:         252
        .size:           4
        .value_kind:     by_value
      - .offset:         256
        .size:           4
        .value_kind:     by_value
      - .offset:         260
        .size:           4
        .value_kind:     by_value
      - .offset:         264
        .size:           4
        .value_kind:     by_value
      - .offset:         268
        .size:           4
        .value_kind:     by_value
      - .offset:         272
        .size:           4
        .value_kind:     hidden_block_count_x
      - .offset:         276
        .size:           4
        .value_kind:     hidden_block_count_y
      - .offset:         280
        .size:           4
        .value_kind:     hidden_block_count_z
      - .offset:         284
        .size:           2
        .value_kind:     hidden_group_size_x
      - .offset:         286
        .size:           2
        .value_kind:     hidden_group_size_y
      - .offset:         288
        .size:           2
        .value_kind:     hidden_group_size_z
      - .offset:         290
        .size:           2
        .value_kind:     hidden_remainder_x
      - .offset:         292
        .size:           2
        .value_kind:     hidden_remainder_y
      - .offset:         294
        .size:           2
        .value_kind:     hidden_remainder_z
      - .offset:         312
        .size:           8
        .value_kind:     hidden_global_offset_x
      - .offset:         320
        .size:           8
        .value_kind:     hidden_global_offset_y
      - .offset:         328
        .size:           8
        .value_kind:     hidden_global_offset_z
      - .offset:         336
        .size:           2
        .value_kind:     hidden_grid_dims
    .group_segment_fixed_size: 0
    .kernarg_segment_align: 8
    .kernarg_segment_size: 528
    .language:       OpenCL C
    .language_version:
      - 2
      - 0
    .max_flat_workgroup_size: 1024
    .name:           naive_conv_ab_packed_fwd_ncdhw_int8_t_int32_t_float_0
    .private_segment_fixed_size: 0
    .sgpr_count:     80
    .sgpr_spill_count: 0
    .symbol:         naive_conv_ab_packed_fwd_ncdhw_int8_t_int32_t_float_0.kd
    .uniform_work_group_size: 1
    .uses_dynamic_stack: false
    .vgpr_count:     22
    .vgpr_spill_count: 0
    .wavefront_size: 64
  - .agpr_count:     0
    .args:
      - .actual_access:  read_only
        .address_space:  global
        .offset:         0
        .size:           8
        .value_kind:     global_buffer
      - .actual_access:  read_only
        .address_space:  global
        .offset:         8
        .size:           8
        .value_kind:     global_buffer
      - .offset:         16
        .size:           8
        .value_kind:     by_value
      - .offset:         24
        .size:           8
        .value_kind:     by_value
      - .address_space:  global
        .offset:         32
        .size:           8
        .value_kind:     global_buffer
      - .offset:         40
        .size:           48
        .value_kind:     by_value
      - .offset:         88
        .size:           48
        .value_kind:     by_value
      - .offset:         136
        .size:           48
        .value_kind:     by_value
      - .offset:         184
        .size:           4
        .value_kind:     by_value
      - .offset:         188
        .size:           4
        .value_kind:     by_value
      - .offset:         192
        .size:           4
        .value_kind:     by_value
      - .offset:         196
        .size:           4
        .value_kind:     by_value
      - .offset:         200
        .size:           4
        .value_kind:     by_value
      - .offset:         204
        .size:           4
        .value_kind:     by_value
      - .offset:         208
        .size:           4
        .value_kind:     by_value
      - .offset:         212
        .size:           4
        .value_kind:     by_value
      - .offset:         216
        .size:           4
        .value_kind:     by_value
      - .offset:         220
        .size:           4
        .value_kind:     by_value
      - .offset:         224
        .size:           4
        .value_kind:     by_value
      - .offset:         228
        .size:           4
        .value_kind:     by_value
      - .offset:         232
        .size:           4
        .value_kind:     by_value
      - .offset:         236
        .size:           4
        .value_kind:     by_value
      - .offset:         240
        .size:           4
        .value_kind:     by_value
      - .offset:         244
        .size:           4
        .value_kind:     by_value
      - .offset:         248
        .size:           4
        .value_kind:     by_value
      - .offset:         252
        .size:           4
        .value_kind:     by_value
      - .offset:         256
        .size:           4
        .value_kind:     by_value
      - .offset:         260
        .size:           4
        .value_kind:     by_value
      - .offset:         264
        .size:           4
        .value_kind:     by_value
      - .offset:         268
        .size:           4
        .value_kind:     by_value
      - .offset:         272
        .size:           4
        .value_kind:     hidden_block_count_x
      - .offset:         276
        .size:           4
        .value_kind:     hidden_block_count_y
      - .offset:         280
        .size:           4
        .value_kind:     hidden_block_count_z
      - .offset:         284
        .size:           2
        .value_kind:     hidden_group_size_x
      - .offset:         286
        .size:           2
        .value_kind:     hidden_group_size_y
      - .offset:         288
        .size:           2
        .value_kind:     hidden_group_size_z
      - .offset:         290
        .size:           2
        .value_kind:     hidden_remainder_x
      - .offset:         292
        .size:           2
        .value_kind:     hidden_remainder_y
      - .offset:         294
        .size:           2
        .value_kind:     hidden_remainder_z
      - .offset:         312
        .size:           8
        .value_kind:     hidden_global_offset_x
      - .offset:         320
        .size:           8
        .value_kind:     hidden_global_offset_y
      - .offset:         328
        .size:           8
        .value_kind:     hidden_global_offset_z
      - .offset:         336
        .size:           2
        .value_kind:     hidden_grid_dims
    .group_segment_fixed_size: 0
    .kernarg_segment_align: 8
    .kernarg_segment_size: 528
    .language:       OpenCL C
    .language_version:
      - 2
      - 0
    .max_flat_workgroup_size: 1024
    .name:           naive_conv_ab_nonpacked_fwd_ncdhw_int8_t_int32_t_float_0
    .private_segment_fixed_size: 0
    .sgpr_count:     94
    .sgpr_spill_count: 0
    .symbol:         naive_conv_ab_nonpacked_fwd_ncdhw_int8_t_int32_t_float_0.kd
    .uniform_work_group_size: 1
    .uses_dynamic_stack: false
    .vgpr_count:     24
    .vgpr_spill_count: 0
    .wavefront_size: 64
  - .agpr_count:     0
    .args:
      - .actual_access:  read_only
        .address_space:  global
        .offset:         0
        .size:           8
        .value_kind:     global_buffer
      - .actual_access:  read_only
        .address_space:  global
        .offset:         8
        .size:           8
        .value_kind:     global_buffer
      - .offset:         16
        .size:           8
        .value_kind:     by_value
      - .offset:         24
        .size:           8
        .value_kind:     by_value
      - .address_space:  global
        .offset:         32
        .size:           8
        .value_kind:     global_buffer
      - .offset:         40
        .size:           48
        .value_kind:     by_value
      - .offset:         88
        .size:           48
        .value_kind:     by_value
      - .offset:         136
        .size:           48
        .value_kind:     by_value
      - .offset:         184
        .size:           4
        .value_kind:     by_value
      - .offset:         188
        .size:           4
        .value_kind:     by_value
      - .offset:         192
        .size:           4
        .value_kind:     by_value
      - .offset:         196
        .size:           4
        .value_kind:     by_value
      - .offset:         200
        .size:           4
        .value_kind:     by_value
      - .offset:         204
        .size:           4
        .value_kind:     by_value
      - .offset:         208
        .size:           4
        .value_kind:     by_value
      - .offset:         212
        .size:           4
        .value_kind:     by_value
      - .offset:         216
        .size:           4
        .value_kind:     by_value
      - .offset:         220
        .size:           4
        .value_kind:     by_value
      - .offset:         224
        .size:           4
        .value_kind:     by_value
      - .offset:         228
        .size:           4
        .value_kind:     by_value
      - .offset:         232
        .size:           4
        .value_kind:     by_value
      - .offset:         236
        .size:           4
        .value_kind:     by_value
      - .offset:         240
        .size:           4
        .value_kind:     by_value
      - .offset:         244
        .size:           4
        .value_kind:     by_value
      - .offset:         248
        .size:           4
        .value_kind:     by_value
      - .offset:         252
        .size:           4
        .value_kind:     by_value
      - .offset:         256
        .size:           4
        .value_kind:     by_value
      - .offset:         260
        .size:           4
        .value_kind:     by_value
      - .offset:         264
        .size:           4
        .value_kind:     by_value
      - .offset:         268
        .size:           4
        .value_kind:     by_value
      - .offset:         272
        .size:           4
        .value_kind:     hidden_block_count_x
      - .offset:         276
        .size:           4
        .value_kind:     hidden_block_count_y
      - .offset:         280
        .size:           4
        .value_kind:     hidden_block_count_z
      - .offset:         284
        .size:           2
        .value_kind:     hidden_group_size_x
      - .offset:         286
        .size:           2
        .value_kind:     hidden_group_size_y
      - .offset:         288
        .size:           2
        .value_kind:     hidden_group_size_z
      - .offset:         290
        .size:           2
        .value_kind:     hidden_remainder_x
      - .offset:         292
        .size:           2
        .value_kind:     hidden_remainder_y
      - .offset:         294
        .size:           2
        .value_kind:     hidden_remainder_z
      - .offset:         312
        .size:           8
        .value_kind:     hidden_global_offset_x
      - .offset:         320
        .size:           8
        .value_kind:     hidden_global_offset_y
      - .offset:         328
        .size:           8
        .value_kind:     hidden_global_offset_z
      - .offset:         336
        .size:           2
        .value_kind:     hidden_grid_dims
    .group_segment_fixed_size: 0
    .kernarg_segment_align: 8
    .kernarg_segment_size: 528
    .language:       OpenCL C
    .language_version:
      - 2
      - 0
    .max_flat_workgroup_size: 1024
    .name:           naive_conv_ab_packed_fwd_ndhwc_float_double_float_0
    .private_segment_fixed_size: 0
    .sgpr_count:     86
    .sgpr_spill_count: 0
    .symbol:         naive_conv_ab_packed_fwd_ndhwc_float_double_float_0.kd
    .uniform_work_group_size: 1
    .uses_dynamic_stack: false
    .vgpr_count:     32
    .vgpr_spill_count: 0
    .wavefront_size: 64
  - .agpr_count:     0
    .args:
      - .actual_access:  read_only
        .address_space:  global
        .offset:         0
        .size:           8
        .value_kind:     global_buffer
      - .actual_access:  read_only
        .address_space:  global
        .offset:         8
        .size:           8
        .value_kind:     global_buffer
      - .offset:         16
        .size:           8
        .value_kind:     by_value
      - .offset:         24
        .size:           8
        .value_kind:     by_value
      - .address_space:  global
        .offset:         32
        .size:           8
        .value_kind:     global_buffer
      - .offset:         40
        .size:           48
        .value_kind:     by_value
      - .offset:         88
        .size:           48
        .value_kind:     by_value
      - .offset:         136
        .size:           48
        .value_kind:     by_value
      - .offset:         184
        .size:           4
        .value_kind:     by_value
      - .offset:         188
        .size:           4
        .value_kind:     by_value
      - .offset:         192
        .size:           4
        .value_kind:     by_value
      - .offset:         196
        .size:           4
        .value_kind:     by_value
      - .offset:         200
        .size:           4
        .value_kind:     by_value
      - .offset:         204
        .size:           4
        .value_kind:     by_value
      - .offset:         208
        .size:           4
        .value_kind:     by_value
      - .offset:         212
        .size:           4
        .value_kind:     by_value
      - .offset:         216
        .size:           4
        .value_kind:     by_value
      - .offset:         220
        .size:           4
        .value_kind:     by_value
      - .offset:         224
        .size:           4
        .value_kind:     by_value
      - .offset:         228
        .size:           4
        .value_kind:     by_value
      - .offset:         232
        .size:           4
        .value_kind:     by_value
      - .offset:         236
        .size:           4
        .value_kind:     by_value
      - .offset:         240
        .size:           4
        .value_kind:     by_value
      - .offset:         244
        .size:           4
        .value_kind:     by_value
      - .offset:         248
        .size:           4
        .value_kind:     by_value
      - .offset:         252
        .size:           4
        .value_kind:     by_value
      - .offset:         256
        .size:           4
        .value_kind:     by_value
      - .offset:         260
        .size:           4
        .value_kind:     by_value
      - .offset:         264
        .size:           4
        .value_kind:     by_value
      - .offset:         268
        .size:           4
        .value_kind:     by_value
      - .offset:         272
        .size:           4
        .value_kind:     hidden_block_count_x
      - .offset:         276
        .size:           4
        .value_kind:     hidden_block_count_y
      - .offset:         280
        .size:           4
        .value_kind:     hidden_block_count_z
      - .offset:         284
        .size:           2
        .value_kind:     hidden_group_size_x
      - .offset:         286
        .size:           2
        .value_kind:     hidden_group_size_y
      - .offset:         288
        .size:           2
        .value_kind:     hidden_group_size_z
      - .offset:         290
        .size:           2
        .value_kind:     hidden_remainder_x
      - .offset:         292
        .size:           2
        .value_kind:     hidden_remainder_y
      - .offset:         294
        .size:           2
        .value_kind:     hidden_remainder_z
      - .offset:         312
        .size:           8
        .value_kind:     hidden_global_offset_x
      - .offset:         320
        .size:           8
        .value_kind:     hidden_global_offset_y
      - .offset:         328
        .size:           8
        .value_kind:     hidden_global_offset_z
      - .offset:         336
        .size:           2
        .value_kind:     hidden_grid_dims
    .group_segment_fixed_size: 0
    .kernarg_segment_align: 8
    .kernarg_segment_size: 528
    .language:       OpenCL C
    .language_version:
      - 2
      - 0
    .max_flat_workgroup_size: 1024
    .name:           naive_conv_ab_nonpacked_fwd_ndhwc_float_double_float_0
    .private_segment_fixed_size: 0
    .sgpr_count:     93
    .sgpr_spill_count: 0
    .symbol:         naive_conv_ab_nonpacked_fwd_ndhwc_float_double_float_0.kd
    .uniform_work_group_size: 1
    .uses_dynamic_stack: false
    .vgpr_count:     30
    .vgpr_spill_count: 0
    .wavefront_size: 64
  - .agpr_count:     0
    .args:
      - .actual_access:  read_only
        .address_space:  global
        .offset:         0
        .size:           8
        .value_kind:     global_buffer
      - .actual_access:  read_only
        .address_space:  global
        .offset:         8
        .size:           8
        .value_kind:     global_buffer
      - .offset:         16
        .size:           8
        .value_kind:     by_value
      - .offset:         24
        .size:           8
        .value_kind:     by_value
      - .address_space:  global
        .offset:         32
        .size:           8
        .value_kind:     global_buffer
      - .offset:         40
        .size:           48
        .value_kind:     by_value
      - .offset:         88
        .size:           48
        .value_kind:     by_value
      - .offset:         136
        .size:           48
        .value_kind:     by_value
      - .offset:         184
        .size:           4
        .value_kind:     by_value
      - .offset:         188
        .size:           4
        .value_kind:     by_value
      - .offset:         192
        .size:           4
        .value_kind:     by_value
      - .offset:         196
        .size:           4
        .value_kind:     by_value
      - .offset:         200
        .size:           4
        .value_kind:     by_value
      - .offset:         204
        .size:           4
        .value_kind:     by_value
      - .offset:         208
        .size:           4
        .value_kind:     by_value
      - .offset:         212
        .size:           4
        .value_kind:     by_value
      - .offset:         216
        .size:           4
        .value_kind:     by_value
      - .offset:         220
        .size:           4
        .value_kind:     by_value
      - .offset:         224
        .size:           4
        .value_kind:     by_value
      - .offset:         228
        .size:           4
        .value_kind:     by_value
      - .offset:         232
        .size:           4
        .value_kind:     by_value
      - .offset:         236
        .size:           4
        .value_kind:     by_value
      - .offset:         240
        .size:           4
        .value_kind:     by_value
      - .offset:         244
        .size:           4
        .value_kind:     by_value
      - .offset:         248
        .size:           4
        .value_kind:     by_value
      - .offset:         252
        .size:           4
        .value_kind:     by_value
      - .offset:         256
        .size:           4
        .value_kind:     by_value
      - .offset:         260
        .size:           4
        .value_kind:     by_value
      - .offset:         264
        .size:           4
        .value_kind:     by_value
      - .offset:         268
        .size:           4
        .value_kind:     by_value
      - .offset:         272
        .size:           4
        .value_kind:     hidden_block_count_x
      - .offset:         276
        .size:           4
        .value_kind:     hidden_block_count_y
      - .offset:         280
        .size:           4
        .value_kind:     hidden_block_count_z
      - .offset:         284
        .size:           2
        .value_kind:     hidden_group_size_x
      - .offset:         286
        .size:           2
        .value_kind:     hidden_group_size_y
      - .offset:         288
        .size:           2
        .value_kind:     hidden_group_size_z
      - .offset:         290
        .size:           2
        .value_kind:     hidden_remainder_x
      - .offset:         292
        .size:           2
        .value_kind:     hidden_remainder_y
      - .offset:         294
        .size:           2
        .value_kind:     hidden_remainder_z
      - .offset:         312
        .size:           8
        .value_kind:     hidden_global_offset_x
      - .offset:         320
        .size:           8
        .value_kind:     hidden_global_offset_y
      - .offset:         328
        .size:           8
        .value_kind:     hidden_global_offset_z
      - .offset:         336
        .size:           2
        .value_kind:     hidden_grid_dims
    .group_segment_fixed_size: 0
    .kernarg_segment_align: 8
    .kernarg_segment_size: 528
    .language:       OpenCL C
    .language_version:
      - 2
      - 0
    .max_flat_workgroup_size: 1024
    .name:           naive_conv_ab_packed_fwd_ndhwc_float_double_float_1
    .private_segment_fixed_size: 0
    .sgpr_count:     86
    .sgpr_spill_count: 0
    .symbol:         naive_conv_ab_packed_fwd_ndhwc_float_double_float_1.kd
    .uniform_work_group_size: 1
    .uses_dynamic_stack: false
    .vgpr_count:     32
    .vgpr_spill_count: 0
    .wavefront_size: 64
  - .agpr_count:     0
    .args:
      - .actual_access:  read_only
        .address_space:  global
        .offset:         0
        .size:           8
        .value_kind:     global_buffer
      - .actual_access:  read_only
        .address_space:  global
        .offset:         8
        .size:           8
        .value_kind:     global_buffer
      - .offset:         16
        .size:           8
        .value_kind:     by_value
      - .offset:         24
        .size:           8
        .value_kind:     by_value
      - .address_space:  global
        .offset:         32
        .size:           8
        .value_kind:     global_buffer
      - .offset:         40
        .size:           48
        .value_kind:     by_value
      - .offset:         88
        .size:           48
        .value_kind:     by_value
      - .offset:         136
        .size:           48
        .value_kind:     by_value
      - .offset:         184
        .size:           4
        .value_kind:     by_value
      - .offset:         188
        .size:           4
        .value_kind:     by_value
      - .offset:         192
        .size:           4
        .value_kind:     by_value
      - .offset:         196
        .size:           4
        .value_kind:     by_value
      - .offset:         200
        .size:           4
        .value_kind:     by_value
      - .offset:         204
        .size:           4
        .value_kind:     by_value
      - .offset:         208
        .size:           4
        .value_kind:     by_value
      - .offset:         212
        .size:           4
        .value_kind:     by_value
      - .offset:         216
        .size:           4
        .value_kind:     by_value
      - .offset:         220
        .size:           4
        .value_kind:     by_value
      - .offset:         224
        .size:           4
        .value_kind:     by_value
      - .offset:         228
        .size:           4
        .value_kind:     by_value
      - .offset:         232
        .size:           4
        .value_kind:     by_value
      - .offset:         236
        .size:           4
        .value_kind:     by_value
      - .offset:         240
        .size:           4
        .value_kind:     by_value
      - .offset:         244
        .size:           4
        .value_kind:     by_value
      - .offset:         248
        .size:           4
        .value_kind:     by_value
      - .offset:         252
        .size:           4
        .value_kind:     by_value
      - .offset:         256
        .size:           4
        .value_kind:     by_value
      - .offset:         260
        .size:           4
        .value_kind:     by_value
      - .offset:         264
        .size:           4
        .value_kind:     by_value
      - .offset:         268
        .size:           4
        .value_kind:     by_value
      - .offset:         272
        .size:           4
        .value_kind:     hidden_block_count_x
      - .offset:         276
        .size:           4
        .value_kind:     hidden_block_count_y
      - .offset:         280
        .size:           4
        .value_kind:     hidden_block_count_z
      - .offset:         284
        .size:           2
        .value_kind:     hidden_group_size_x
      - .offset:         286
        .size:           2
        .value_kind:     hidden_group_size_y
      - .offset:         288
        .size:           2
        .value_kind:     hidden_group_size_z
      - .offset:         290
        .size:           2
        .value_kind:     hidden_remainder_x
      - .offset:         292
        .size:           2
        .value_kind:     hidden_remainder_y
      - .offset:         294
        .size:           2
        .value_kind:     hidden_remainder_z
      - .offset:         312
        .size:           8
        .value_kind:     hidden_global_offset_x
      - .offset:         320
        .size:           8
        .value_kind:     hidden_global_offset_y
      - .offset:         328
        .size:           8
        .value_kind:     hidden_global_offset_z
      - .offset:         336
        .size:           2
        .value_kind:     hidden_grid_dims
    .group_segment_fixed_size: 0
    .kernarg_segment_align: 8
    .kernarg_segment_size: 528
    .language:       OpenCL C
    .language_version:
      - 2
      - 0
    .max_flat_workgroup_size: 1024
    .name:           naive_conv_ab_nonpacked_fwd_ndhwc_float_double_float_1
    .private_segment_fixed_size: 0
    .sgpr_count:     93
    .sgpr_spill_count: 0
    .symbol:         naive_conv_ab_nonpacked_fwd_ndhwc_float_double_float_1.kd
    .uniform_work_group_size: 1
    .uses_dynamic_stack: false
    .vgpr_count:     30
    .vgpr_spill_count: 0
    .wavefront_size: 64
  - .agpr_count:     0
    .args:
      - .actual_access:  read_only
        .address_space:  global
        .offset:         0
        .size:           8
        .value_kind:     global_buffer
      - .actual_access:  read_only
        .address_space:  global
        .offset:         8
        .size:           8
        .value_kind:     global_buffer
      - .offset:         16
        .size:           8
        .value_kind:     by_value
      - .offset:         24
        .size:           8
        .value_kind:     by_value
      - .address_space:  global
        .offset:         32
        .size:           8
        .value_kind:     global_buffer
      - .offset:         40
        .size:           48
        .value_kind:     by_value
      - .offset:         88
        .size:           48
        .value_kind:     by_value
      - .offset:         136
        .size:           48
        .value_kind:     by_value
      - .offset:         184
        .size:           4
        .value_kind:     by_value
      - .offset:         188
        .size:           4
        .value_kind:     by_value
      - .offset:         192
        .size:           4
        .value_kind:     by_value
      - .offset:         196
        .size:           4
        .value_kind:     by_value
      - .offset:         200
        .size:           4
        .value_kind:     by_value
      - .offset:         204
        .size:           4
        .value_kind:     by_value
      - .offset:         208
        .size:           4
        .value_kind:     by_value
      - .offset:         212
        .size:           4
        .value_kind:     by_value
      - .offset:         216
        .size:           4
        .value_kind:     by_value
      - .offset:         220
        .size:           4
        .value_kind:     by_value
      - .offset:         224
        .size:           4
        .value_kind:     by_value
      - .offset:         228
        .size:           4
        .value_kind:     by_value
      - .offset:         232
        .size:           4
        .value_kind:     by_value
      - .offset:         236
        .size:           4
        .value_kind:     by_value
      - .offset:         240
        .size:           4
        .value_kind:     by_value
      - .offset:         244
        .size:           4
        .value_kind:     by_value
      - .offset:         248
        .size:           4
        .value_kind:     by_value
      - .offset:         252
        .size:           4
        .value_kind:     by_value
      - .offset:         256
        .size:           4
        .value_kind:     by_value
      - .offset:         260
        .size:           4
        .value_kind:     by_value
      - .offset:         264
        .size:           4
        .value_kind:     by_value
      - .offset:         268
        .size:           4
        .value_kind:     by_value
      - .offset:         272
        .size:           4
        .value_kind:     hidden_block_count_x
      - .offset:         276
        .size:           4
        .value_kind:     hidden_block_count_y
      - .offset:         280
        .size:           4
        .value_kind:     hidden_block_count_z
      - .offset:         284
        .size:           2
        .value_kind:     hidden_group_size_x
      - .offset:         286
        .size:           2
        .value_kind:     hidden_group_size_y
      - .offset:         288
        .size:           2
        .value_kind:     hidden_group_size_z
      - .offset:         290
        .size:           2
        .value_kind:     hidden_remainder_x
      - .offset:         292
        .size:           2
        .value_kind:     hidden_remainder_y
      - .offset:         294
        .size:           2
        .value_kind:     hidden_remainder_z
      - .offset:         312
        .size:           8
        .value_kind:     hidden_global_offset_x
      - .offset:         320
        .size:           8
        .value_kind:     hidden_global_offset_y
      - .offset:         328
        .size:           8
        .value_kind:     hidden_global_offset_z
      - .offset:         336
        .size:           2
        .value_kind:     hidden_grid_dims
    .group_segment_fixed_size: 0
    .kernarg_segment_align: 8
    .kernarg_segment_size: 528
    .language:       OpenCL C
    .language_version:
      - 2
      - 0
    .max_flat_workgroup_size: 1024
    .name:           naive_conv_ab_packed_fwd_ndhwc_half_double_half_0
    .private_segment_fixed_size: 0
    .sgpr_count:     86
    .sgpr_spill_count: 0
    .symbol:         naive_conv_ab_packed_fwd_ndhwc_half_double_half_0.kd
    .uniform_work_group_size: 1
    .uses_dynamic_stack: false
    .vgpr_count:     32
    .vgpr_spill_count: 0
    .wavefront_size: 64
  - .agpr_count:     0
    .args:
      - .actual_access:  read_only
        .address_space:  global
        .offset:         0
        .size:           8
        .value_kind:     global_buffer
      - .actual_access:  read_only
        .address_space:  global
        .offset:         8
        .size:           8
        .value_kind:     global_buffer
      - .offset:         16
        .size:           8
        .value_kind:     by_value
      - .offset:         24
        .size:           8
        .value_kind:     by_value
      - .address_space:  global
        .offset:         32
        .size:           8
        .value_kind:     global_buffer
      - .offset:         40
        .size:           48
        .value_kind:     by_value
      - .offset:         88
        .size:           48
        .value_kind:     by_value
      - .offset:         136
        .size:           48
        .value_kind:     by_value
      - .offset:         184
        .size:           4
        .value_kind:     by_value
      - .offset:         188
        .size:           4
        .value_kind:     by_value
      - .offset:         192
        .size:           4
        .value_kind:     by_value
      - .offset:         196
        .size:           4
        .value_kind:     by_value
      - .offset:         200
        .size:           4
        .value_kind:     by_value
      - .offset:         204
        .size:           4
        .value_kind:     by_value
      - .offset:         208
        .size:           4
        .value_kind:     by_value
      - .offset:         212
        .size:           4
        .value_kind:     by_value
      - .offset:         216
        .size:           4
        .value_kind:     by_value
      - .offset:         220
        .size:           4
        .value_kind:     by_value
      - .offset:         224
        .size:           4
        .value_kind:     by_value
      - .offset:         228
        .size:           4
        .value_kind:     by_value
      - .offset:         232
        .size:           4
        .value_kind:     by_value
      - .offset:         236
        .size:           4
        .value_kind:     by_value
      - .offset:         240
        .size:           4
        .value_kind:     by_value
      - .offset:         244
        .size:           4
        .value_kind:     by_value
      - .offset:         248
        .size:           4
        .value_kind:     by_value
      - .offset:         252
        .size:           4
        .value_kind:     by_value
      - .offset:         256
        .size:           4
        .value_kind:     by_value
      - .offset:         260
        .size:           4
        .value_kind:     by_value
      - .offset:         264
        .size:           4
        .value_kind:     by_value
      - .offset:         268
        .size:           4
        .value_kind:     by_value
      - .offset:         272
        .size:           4
        .value_kind:     hidden_block_count_x
      - .offset:         276
        .size:           4
        .value_kind:     hidden_block_count_y
      - .offset:         280
        .size:           4
        .value_kind:     hidden_block_count_z
      - .offset:         284
        .size:           2
        .value_kind:     hidden_group_size_x
      - .offset:         286
        .size:           2
        .value_kind:     hidden_group_size_y
      - .offset:         288
        .size:           2
        .value_kind:     hidden_group_size_z
      - .offset:         290
        .size:           2
        .value_kind:     hidden_remainder_x
      - .offset:         292
        .size:           2
        .value_kind:     hidden_remainder_y
      - .offset:         294
        .size:           2
        .value_kind:     hidden_remainder_z
      - .offset:         312
        .size:           8
        .value_kind:     hidden_global_offset_x
      - .offset:         320
        .size:           8
        .value_kind:     hidden_global_offset_y
      - .offset:         328
        .size:           8
        .value_kind:     hidden_global_offset_z
      - .offset:         336
        .size:           2
        .value_kind:     hidden_grid_dims
    .group_segment_fixed_size: 0
    .kernarg_segment_align: 8
    .kernarg_segment_size: 528
    .language:       OpenCL C
    .language_version:
      - 2
      - 0
    .max_flat_workgroup_size: 1024
    .name:           naive_conv_ab_nonpacked_fwd_ndhwc_half_double_half_0
    .private_segment_fixed_size: 0
    .sgpr_count:     93
    .sgpr_spill_count: 0
    .symbol:         naive_conv_ab_nonpacked_fwd_ndhwc_half_double_half_0.kd
    .uniform_work_group_size: 1
    .uses_dynamic_stack: false
    .vgpr_count:     30
    .vgpr_spill_count: 0
    .wavefront_size: 64
  - .agpr_count:     0
    .args:
      - .actual_access:  read_only
        .address_space:  global
        .offset:         0
        .size:           8
        .value_kind:     global_buffer
      - .actual_access:  read_only
        .address_space:  global
        .offset:         8
        .size:           8
        .value_kind:     global_buffer
      - .offset:         16
        .size:           8
        .value_kind:     by_value
      - .offset:         24
        .size:           8
        .value_kind:     by_value
      - .address_space:  global
        .offset:         32
        .size:           8
        .value_kind:     global_buffer
      - .offset:         40
        .size:           48
        .value_kind:     by_value
      - .offset:         88
        .size:           48
        .value_kind:     by_value
      - .offset:         136
        .size:           48
        .value_kind:     by_value
      - .offset:         184
        .size:           4
        .value_kind:     by_value
      - .offset:         188
        .size:           4
        .value_kind:     by_value
      - .offset:         192
        .size:           4
        .value_kind:     by_value
      - .offset:         196
        .size:           4
        .value_kind:     by_value
      - .offset:         200
        .size:           4
        .value_kind:     by_value
      - .offset:         204
        .size:           4
        .value_kind:     by_value
      - .offset:         208
        .size:           4
        .value_kind:     by_value
      - .offset:         212
        .size:           4
        .value_kind:     by_value
      - .offset:         216
        .size:           4
        .value_kind:     by_value
      - .offset:         220
        .size:           4
        .value_kind:     by_value
      - .offset:         224
        .size:           4
        .value_kind:     by_value
      - .offset:         228
        .size:           4
        .value_kind:     by_value
      - .offset:         232
        .size:           4
        .value_kind:     by_value
      - .offset:         236
        .size:           4
        .value_kind:     by_value
      - .offset:         240
        .size:           4
        .value_kind:     by_value
      - .offset:         244
        .size:           4
        .value_kind:     by_value
      - .offset:         248
        .size:           4
        .value_kind:     by_value
      - .offset:         252
        .size:           4
        .value_kind:     by_value
      - .offset:         256
        .size:           4
        .value_kind:     by_value
      - .offset:         260
        .size:           4
        .value_kind:     by_value
      - .offset:         264
        .size:           4
        .value_kind:     by_value
      - .offset:         268
        .size:           4
        .value_kind:     by_value
      - .offset:         272
        .size:           4
        .value_kind:     hidden_block_count_x
      - .offset:         276
        .size:           4
        .value_kind:     hidden_block_count_y
      - .offset:         280
        .size:           4
        .value_kind:     hidden_block_count_z
      - .offset:         284
        .size:           2
        .value_kind:     hidden_group_size_x
      - .offset:         286
        .size:           2
        .value_kind:     hidden_group_size_y
      - .offset:         288
        .size:           2
        .value_kind:     hidden_group_size_z
      - .offset:         290
        .size:           2
        .value_kind:     hidden_remainder_x
      - .offset:         292
        .size:           2
        .value_kind:     hidden_remainder_y
      - .offset:         294
        .size:           2
        .value_kind:     hidden_remainder_z
      - .offset:         312
        .size:           8
        .value_kind:     hidden_global_offset_x
      - .offset:         320
        .size:           8
        .value_kind:     hidden_global_offset_y
      - .offset:         328
        .size:           8
        .value_kind:     hidden_global_offset_z
      - .offset:         336
        .size:           2
        .value_kind:     hidden_grid_dims
    .group_segment_fixed_size: 0
    .kernarg_segment_align: 8
    .kernarg_segment_size: 528
    .language:       OpenCL C
    .language_version:
      - 2
      - 0
    .max_flat_workgroup_size: 1024
    .name:           naive_conv_ab_packed_fwd_ndhwc_ushort_double_ushort_0
    .private_segment_fixed_size: 0
    .sgpr_count:     87
    .sgpr_spill_count: 0
    .symbol:         naive_conv_ab_packed_fwd_ndhwc_ushort_double_ushort_0.kd
    .uniform_work_group_size: 1
    .uses_dynamic_stack: false
    .vgpr_count:     32
    .vgpr_spill_count: 0
    .wavefront_size: 64
  - .agpr_count:     0
    .args:
      - .actual_access:  read_only
        .address_space:  global
        .offset:         0
        .size:           8
        .value_kind:     global_buffer
      - .actual_access:  read_only
        .address_space:  global
        .offset:         8
        .size:           8
        .value_kind:     global_buffer
      - .offset:         16
        .size:           8
        .value_kind:     by_value
      - .offset:         24
        .size:           8
        .value_kind:     by_value
      - .address_space:  global
        .offset:         32
        .size:           8
        .value_kind:     global_buffer
      - .offset:         40
        .size:           48
        .value_kind:     by_value
      - .offset:         88
        .size:           48
        .value_kind:     by_value
      - .offset:         136
        .size:           48
        .value_kind:     by_value
      - .offset:         184
        .size:           4
        .value_kind:     by_value
      - .offset:         188
        .size:           4
        .value_kind:     by_value
      - .offset:         192
        .size:           4
        .value_kind:     by_value
      - .offset:         196
        .size:           4
        .value_kind:     by_value
      - .offset:         200
        .size:           4
        .value_kind:     by_value
      - .offset:         204
        .size:           4
        .value_kind:     by_value
      - .offset:         208
        .size:           4
        .value_kind:     by_value
      - .offset:         212
        .size:           4
        .value_kind:     by_value
      - .offset:         216
        .size:           4
        .value_kind:     by_value
      - .offset:         220
        .size:           4
        .value_kind:     by_value
      - .offset:         224
        .size:           4
        .value_kind:     by_value
      - .offset:         228
        .size:           4
        .value_kind:     by_value
      - .offset:         232
        .size:           4
        .value_kind:     by_value
      - .offset:         236
        .size:           4
        .value_kind:     by_value
      - .offset:         240
        .size:           4
        .value_kind:     by_value
      - .offset:         244
        .size:           4
        .value_kind:     by_value
      - .offset:         248
        .size:           4
        .value_kind:     by_value
      - .offset:         252
        .size:           4
        .value_kind:     by_value
      - .offset:         256
        .size:           4
        .value_kind:     by_value
      - .offset:         260
        .size:           4
        .value_kind:     by_value
      - .offset:         264
        .size:           4
        .value_kind:     by_value
      - .offset:         268
        .size:           4
        .value_kind:     by_value
      - .offset:         272
        .size:           4
        .value_kind:     hidden_block_count_x
      - .offset:         276
        .size:           4
        .value_kind:     hidden_block_count_y
      - .offset:         280
        .size:           4
        .value_kind:     hidden_block_count_z
      - .offset:         284
        .size:           2
        .value_kind:     hidden_group_size_x
      - .offset:         286
        .size:           2
        .value_kind:     hidden_group_size_y
      - .offset:         288
        .size:           2
        .value_kind:     hidden_group_size_z
      - .offset:         290
        .size:           2
        .value_kind:     hidden_remainder_x
      - .offset:         292
        .size:           2
        .value_kind:     hidden_remainder_y
      - .offset:         294
        .size:           2
        .value_kind:     hidden_remainder_z
      - .offset:         312
        .size:           8
        .value_kind:     hidden_global_offset_x
      - .offset:         320
        .size:           8
        .value_kind:     hidden_global_offset_y
      - .offset:         328
        .size:           8
        .value_kind:     hidden_global_offset_z
      - .offset:         336
        .size:           2
        .value_kind:     hidden_grid_dims
    .group_segment_fixed_size: 0
    .kernarg_segment_align: 8
    .kernarg_segment_size: 528
    .language:       OpenCL C
    .language_version:
      - 2
      - 0
    .max_flat_workgroup_size: 1024
    .name:           naive_conv_ab_nonpacked_fwd_ndhwc_ushort_double_ushort_0
    .private_segment_fixed_size: 0
    .sgpr_count:     93
    .sgpr_spill_count: 0
    .symbol:         naive_conv_ab_nonpacked_fwd_ndhwc_ushort_double_ushort_0.kd
    .uniform_work_group_size: 1
    .uses_dynamic_stack: false
    .vgpr_count:     32
    .vgpr_spill_count: 0
    .wavefront_size: 64
  - .agpr_count:     0
    .args:
      - .actual_access:  read_only
        .address_space:  global
        .offset:         0
        .size:           8
        .value_kind:     global_buffer
      - .actual_access:  read_only
        .address_space:  global
        .offset:         8
        .size:           8
        .value_kind:     global_buffer
      - .offset:         16
        .size:           8
        .value_kind:     by_value
      - .offset:         24
        .size:           8
        .value_kind:     by_value
      - .address_space:  global
        .offset:         32
        .size:           8
        .value_kind:     global_buffer
      - .offset:         40
        .size:           48
        .value_kind:     by_value
      - .offset:         88
        .size:           48
        .value_kind:     by_value
      - .offset:         136
        .size:           48
        .value_kind:     by_value
      - .offset:         184
        .size:           4
        .value_kind:     by_value
      - .offset:         188
        .size:           4
        .value_kind:     by_value
      - .offset:         192
        .size:           4
        .value_kind:     by_value
      - .offset:         196
        .size:           4
        .value_kind:     by_value
      - .offset:         200
        .size:           4
        .value_kind:     by_value
      - .offset:         204
        .size:           4
        .value_kind:     by_value
      - .offset:         208
        .size:           4
        .value_kind:     by_value
      - .offset:         212
        .size:           4
        .value_kind:     by_value
      - .offset:         216
        .size:           4
        .value_kind:     by_value
      - .offset:         220
        .size:           4
        .value_kind:     by_value
      - .offset:         224
        .size:           4
        .value_kind:     by_value
      - .offset:         228
        .size:           4
        .value_kind:     by_value
      - .offset:         232
        .size:           4
        .value_kind:     by_value
      - .offset:         236
        .size:           4
        .value_kind:     by_value
      - .offset:         240
        .size:           4
        .value_kind:     by_value
      - .offset:         244
        .size:           4
        .value_kind:     by_value
      - .offset:         248
        .size:           4
        .value_kind:     by_value
      - .offset:         252
        .size:           4
        .value_kind:     by_value
      - .offset:         256
        .size:           4
        .value_kind:     by_value
      - .offset:         260
        .size:           4
        .value_kind:     by_value
      - .offset:         264
        .size:           4
        .value_kind:     by_value
      - .offset:         268
        .size:           4
        .value_kind:     by_value
      - .offset:         272
        .size:           4
        .value_kind:     hidden_block_count_x
      - .offset:         276
        .size:           4
        .value_kind:     hidden_block_count_y
      - .offset:         280
        .size:           4
        .value_kind:     hidden_block_count_z
      - .offset:         284
        .size:           2
        .value_kind:     hidden_group_size_x
      - .offset:         286
        .size:           2
        .value_kind:     hidden_group_size_y
      - .offset:         288
        .size:           2
        .value_kind:     hidden_group_size_z
      - .offset:         290
        .size:           2
        .value_kind:     hidden_remainder_x
      - .offset:         292
        .size:           2
        .value_kind:     hidden_remainder_y
      - .offset:         294
        .size:           2
        .value_kind:     hidden_remainder_z
      - .offset:         312
        .size:           8
        .value_kind:     hidden_global_offset_x
      - .offset:         320
        .size:           8
        .value_kind:     hidden_global_offset_y
      - .offset:         328
        .size:           8
        .value_kind:     hidden_global_offset_z
      - .offset:         336
        .size:           2
        .value_kind:     hidden_grid_dims
    .group_segment_fixed_size: 0
    .kernarg_segment_align: 8
    .kernarg_segment_size: 528
    .language:       OpenCL C
    .language_version:
      - 2
      - 0
    .max_flat_workgroup_size: 1024
    .name:           naive_conv_ab_packed_fwd_ndhwc_int8_t_int32_t_int32_t_0
    .private_segment_fixed_size: 0
    .sgpr_count:     82
    .sgpr_spill_count: 0
    .symbol:         naive_conv_ab_packed_fwd_ndhwc_int8_t_int32_t_int32_t_0.kd
    .uniform_work_group_size: 1
    .uses_dynamic_stack: false
    .vgpr_count:     30
    .vgpr_spill_count: 0
    .wavefront_size: 64
  - .agpr_count:     0
    .args:
      - .actual_access:  read_only
        .address_space:  global
        .offset:         0
        .size:           8
        .value_kind:     global_buffer
      - .actual_access:  read_only
        .address_space:  global
        .offset:         8
        .size:           8
        .value_kind:     global_buffer
      - .offset:         16
        .size:           8
        .value_kind:     by_value
      - .offset:         24
        .size:           8
        .value_kind:     by_value
      - .address_space:  global
        .offset:         32
        .size:           8
        .value_kind:     global_buffer
      - .offset:         40
        .size:           48
        .value_kind:     by_value
      - .offset:         88
        .size:           48
        .value_kind:     by_value
      - .offset:         136
        .size:           48
        .value_kind:     by_value
      - .offset:         184
        .size:           4
        .value_kind:     by_value
      - .offset:         188
        .size:           4
        .value_kind:     by_value
      - .offset:         192
        .size:           4
        .value_kind:     by_value
      - .offset:         196
        .size:           4
        .value_kind:     by_value
      - .offset:         200
        .size:           4
        .value_kind:     by_value
      - .offset:         204
        .size:           4
        .value_kind:     by_value
      - .offset:         208
        .size:           4
        .value_kind:     by_value
      - .offset:         212
        .size:           4
        .value_kind:     by_value
      - .offset:         216
        .size:           4
        .value_kind:     by_value
      - .offset:         220
        .size:           4
        .value_kind:     by_value
      - .offset:         224
        .size:           4
        .value_kind:     by_value
      - .offset:         228
        .size:           4
        .value_kind:     by_value
      - .offset:         232
        .size:           4
        .value_kind:     by_value
      - .offset:         236
        .size:           4
        .value_kind:     by_value
      - .offset:         240
        .size:           4
        .value_kind:     by_value
      - .offset:         244
        .size:           4
        .value_kind:     by_value
      - .offset:         248
        .size:           4
        .value_kind:     by_value
      - .offset:         252
        .size:           4
        .value_kind:     by_value
      - .offset:         256
        .size:           4
        .value_kind:     by_value
      - .offset:         260
        .size:           4
        .value_kind:     by_value
      - .offset:         264
        .size:           4
        .value_kind:     by_value
      - .offset:         268
        .size:           4
        .value_kind:     by_value
      - .offset:         272
        .size:           4
        .value_kind:     hidden_block_count_x
      - .offset:         276
        .size:           4
        .value_kind:     hidden_block_count_y
      - .offset:         280
        .size:           4
        .value_kind:     hidden_block_count_z
      - .offset:         284
        .size:           2
        .value_kind:     hidden_group_size_x
      - .offset:         286
        .size:           2
        .value_kind:     hidden_group_size_y
      - .offset:         288
        .size:           2
        .value_kind:     hidden_group_size_z
      - .offset:         290
        .size:           2
        .value_kind:     hidden_remainder_x
      - .offset:         292
        .size:           2
        .value_kind:     hidden_remainder_y
      - .offset:         294
        .size:           2
        .value_kind:     hidden_remainder_z
      - .offset:         312
        .size:           8
        .value_kind:     hidden_global_offset_x
      - .offset:         320
        .size:           8
        .value_kind:     hidden_global_offset_y
      - .offset:         328
        .size:           8
        .value_kind:     hidden_global_offset_z
      - .offset:         336
        .size:           2
        .value_kind:     hidden_grid_dims
    .group_segment_fixed_size: 0
    .kernarg_segment_align: 8
    .kernarg_segment_size: 528
    .language:       OpenCL C
    .language_version:
      - 2
      - 0
    .max_flat_workgroup_size: 1024
    .name:           naive_conv_ab_nonpacked_fwd_ndhwc_int8_t_int32_t_int32_t_0
    .private_segment_fixed_size: 0
    .sgpr_count:     87
    .sgpr_spill_count: 0
    .symbol:         naive_conv_ab_nonpacked_fwd_ndhwc_int8_t_int32_t_int32_t_0.kd
    .uniform_work_group_size: 1
    .uses_dynamic_stack: false
    .vgpr_count:     29
    .vgpr_spill_count: 0
    .wavefront_size: 64
  - .agpr_count:     0
    .args:
      - .actual_access:  read_only
        .address_space:  global
        .offset:         0
        .size:           8
        .value_kind:     global_buffer
      - .actual_access:  read_only
        .address_space:  global
        .offset:         8
        .size:           8
        .value_kind:     global_buffer
      - .offset:         16
        .size:           8
        .value_kind:     by_value
      - .offset:         24
        .size:           8
        .value_kind:     by_value
      - .address_space:  global
        .offset:         32
        .size:           8
        .value_kind:     global_buffer
      - .offset:         40
        .size:           48
        .value_kind:     by_value
      - .offset:         88
        .size:           48
        .value_kind:     by_value
      - .offset:         136
        .size:           48
        .value_kind:     by_value
      - .offset:         184
        .size:           4
        .value_kind:     by_value
      - .offset:         188
        .size:           4
        .value_kind:     by_value
      - .offset:         192
        .size:           4
        .value_kind:     by_value
      - .offset:         196
        .size:           4
        .value_kind:     by_value
      - .offset:         200
        .size:           4
        .value_kind:     by_value
      - .offset:         204
        .size:           4
        .value_kind:     by_value
      - .offset:         208
        .size:           4
        .value_kind:     by_value
      - .offset:         212
        .size:           4
        .value_kind:     by_value
      - .offset:         216
        .size:           4
        .value_kind:     by_value
      - .offset:         220
        .size:           4
        .value_kind:     by_value
      - .offset:         224
        .size:           4
        .value_kind:     by_value
      - .offset:         228
        .size:           4
        .value_kind:     by_value
      - .offset:         232
        .size:           4
        .value_kind:     by_value
      - .offset:         236
        .size:           4
        .value_kind:     by_value
      - .offset:         240
        .size:           4
        .value_kind:     by_value
      - .offset:         244
        .size:           4
        .value_kind:     by_value
      - .offset:         248
        .size:           4
        .value_kind:     by_value
      - .offset:         252
        .size:           4
        .value_kind:     by_value
      - .offset:         256
        .size:           4
        .value_kind:     by_value
      - .offset:         260
        .size:           4
        .value_kind:     by_value
      - .offset:         264
        .size:           4
        .value_kind:     by_value
      - .offset:         268
        .size:           4
        .value_kind:     by_value
      - .offset:         272
        .size:           4
        .value_kind:     hidden_block_count_x
      - .offset:         276
        .size:           4
        .value_kind:     hidden_block_count_y
      - .offset:         280
        .size:           4
        .value_kind:     hidden_block_count_z
      - .offset:         284
        .size:           2
        .value_kind:     hidden_group_size_x
      - .offset:         286
        .size:           2
        .value_kind:     hidden_group_size_y
      - .offset:         288
        .size:           2
        .value_kind:     hidden_group_size_z
      - .offset:         290
        .size:           2
        .value_kind:     hidden_remainder_x
      - .offset:         292
        .size:           2
        .value_kind:     hidden_remainder_y
      - .offset:         294
        .size:           2
        .value_kind:     hidden_remainder_z
      - .offset:         312
        .size:           8
        .value_kind:     hidden_global_offset_x
      - .offset:         320
        .size:           8
        .value_kind:     hidden_global_offset_y
      - .offset:         328
        .size:           8
        .value_kind:     hidden_global_offset_z
      - .offset:         336
        .size:           2
        .value_kind:     hidden_grid_dims
    .group_segment_fixed_size: 0
    .kernarg_segment_align: 8
    .kernarg_segment_size: 528
    .language:       OpenCL C
    .language_version:
      - 2
      - 0
    .max_flat_workgroup_size: 1024
    .name:           naive_conv_ab_packed_fwd_ndhwc_int8_t_int32_t_float_0
    .private_segment_fixed_size: 0
    .sgpr_count:     82
    .sgpr_spill_count: 0
    .symbol:         naive_conv_ab_packed_fwd_ndhwc_int8_t_int32_t_float_0.kd
    .uniform_work_group_size: 1
    .uses_dynamic_stack: false
    .vgpr_count:     30
    .vgpr_spill_count: 0
    .wavefront_size: 64
  - .agpr_count:     0
    .args:
      - .actual_access:  read_only
        .address_space:  global
        .offset:         0
        .size:           8
        .value_kind:     global_buffer
      - .actual_access:  read_only
        .address_space:  global
        .offset:         8
        .size:           8
        .value_kind:     global_buffer
      - .offset:         16
        .size:           8
        .value_kind:     by_value
      - .offset:         24
        .size:           8
        .value_kind:     by_value
      - .address_space:  global
        .offset:         32
        .size:           8
        .value_kind:     global_buffer
      - .offset:         40
        .size:           48
        .value_kind:     by_value
      - .offset:         88
        .size:           48
        .value_kind:     by_value
      - .offset:         136
        .size:           48
        .value_kind:     by_value
      - .offset:         184
        .size:           4
        .value_kind:     by_value
      - .offset:         188
        .size:           4
        .value_kind:     by_value
      - .offset:         192
        .size:           4
        .value_kind:     by_value
      - .offset:         196
        .size:           4
        .value_kind:     by_value
      - .offset:         200
        .size:           4
        .value_kind:     by_value
      - .offset:         204
        .size:           4
        .value_kind:     by_value
      - .offset:         208
        .size:           4
        .value_kind:     by_value
      - .offset:         212
        .size:           4
        .value_kind:     by_value
      - .offset:         216
        .size:           4
        .value_kind:     by_value
      - .offset:         220
        .size:           4
        .value_kind:     by_value
      - .offset:         224
        .size:           4
        .value_kind:     by_value
      - .offset:         228
        .size:           4
        .value_kind:     by_value
      - .offset:         232
        .size:           4
        .value_kind:     by_value
      - .offset:         236
        .size:           4
        .value_kind:     by_value
      - .offset:         240
        .size:           4
        .value_kind:     by_value
      - .offset:         244
        .size:           4
        .value_kind:     by_value
      - .offset:         248
        .size:           4
        .value_kind:     by_value
      - .offset:         252
        .size:           4
        .value_kind:     by_value
      - .offset:         256
        .size:           4
        .value_kind:     by_value
      - .offset:         260
        .size:           4
        .value_kind:     by_value
      - .offset:         264
        .size:           4
        .value_kind:     by_value
      - .offset:         268
        .size:           4
        .value_kind:     by_value
      - .offset:         272
        .size:           4
        .value_kind:     hidden_block_count_x
      - .offset:         276
        .size:           4
        .value_kind:     hidden_block_count_y
      - .offset:         280
        .size:           4
        .value_kind:     hidden_block_count_z
      - .offset:         284
        .size:           2
        .value_kind:     hidden_group_size_x
      - .offset:         286
        .size:           2
        .value_kind:     hidden_group_size_y
      - .offset:         288
        .size:           2
        .value_kind:     hidden_group_size_z
      - .offset:         290
        .size:           2
        .value_kind:     hidden_remainder_x
      - .offset:         292
        .size:           2
        .value_kind:     hidden_remainder_y
      - .offset:         294
        .size:           2
        .value_kind:     hidden_remainder_z
      - .offset:         312
        .size:           8
        .value_kind:     hidden_global_offset_x
      - .offset:         320
        .size:           8
        .value_kind:     hidden_global_offset_y
      - .offset:         328
        .size:           8
        .value_kind:     hidden_global_offset_z
      - .offset:         336
        .size:           2
        .value_kind:     hidden_grid_dims
    .group_segment_fixed_size: 0
    .kernarg_segment_align: 8
    .kernarg_segment_size: 528
    .language:       OpenCL C
    .language_version:
      - 2
      - 0
    .max_flat_workgroup_size: 1024
    .name:           naive_conv_ab_nonpacked_fwd_ndhwc_int8_t_int32_t_float_0
    .private_segment_fixed_size: 0
    .sgpr_count:     87
    .sgpr_spill_count: 0
    .symbol:         naive_conv_ab_nonpacked_fwd_ndhwc_int8_t_int32_t_float_0.kd
    .uniform_work_group_size: 1
    .uses_dynamic_stack: false
    .vgpr_count:     29
    .vgpr_spill_count: 0
    .wavefront_size: 64
  - .agpr_count:     0
    .args:
      - .address_space:  global
        .offset:         0
        .size:           8
        .value_kind:     global_buffer
      - .actual_access:  read_only
        .address_space:  global
        .offset:         8
        .size:           8
        .value_kind:     global_buffer
      - .offset:         16
        .size:           8
        .value_kind:     by_value
      - .offset:         24
        .size:           8
        .value_kind:     by_value
      - .actual_access:  read_only
        .address_space:  global
        .offset:         32
        .size:           8
        .value_kind:     global_buffer
      - .offset:         40
        .size:           48
        .value_kind:     by_value
      - .offset:         88
        .size:           48
        .value_kind:     by_value
      - .offset:         136
        .size:           48
        .value_kind:     by_value
      - .offset:         184
        .size:           4
        .value_kind:     by_value
      - .offset:         188
        .size:           4
        .value_kind:     by_value
      - .offset:         192
        .size:           4
        .value_kind:     by_value
      - .offset:         196
        .size:           4
        .value_kind:     by_value
      - .offset:         200
        .size:           4
        .value_kind:     by_value
      - .offset:         204
        .size:           4
        .value_kind:     by_value
      - .offset:         208
        .size:           4
        .value_kind:     by_value
      - .offset:         212
        .size:           4
        .value_kind:     by_value
      - .offset:         216
        .size:           4
        .value_kind:     by_value
      - .offset:         220
        .size:           4
        .value_kind:     by_value
      - .offset:         224
        .size:           4
        .value_kind:     by_value
      - .offset:         228
        .size:           4
        .value_kind:     by_value
      - .offset:         232
        .size:           4
        .value_kind:     by_value
      - .offset:         236
        .size:           4
        .value_kind:     by_value
      - .offset:         240
        .size:           4
        .value_kind:     by_value
      - .offset:         244
        .size:           4
        .value_kind:     by_value
      - .offset:         248
        .size:           4
        .value_kind:     by_value
      - .offset:         252
        .size:           4
        .value_kind:     by_value
      - .offset:         256
        .size:           4
        .value_kind:     by_value
      - .offset:         260
        .size:           4
        .value_kind:     by_value
      - .offset:         264
        .size:           4
        .value_kind:     by_value
      - .offset:         268
        .size:           4
        .value_kind:     by_value
      - .offset:         272
        .size:           4
        .value_kind:     hidden_block_count_x
      - .offset:         276
        .size:           4
        .value_kind:     hidden_block_count_y
      - .offset:         280
        .size:           4
        .value_kind:     hidden_block_count_z
      - .offset:         284
        .size:           2
        .value_kind:     hidden_group_size_x
      - .offset:         286
        .size:           2
        .value_kind:     hidden_group_size_y
      - .offset:         288
        .size:           2
        .value_kind:     hidden_group_size_z
      - .offset:         290
        .size:           2
        .value_kind:     hidden_remainder_x
      - .offset:         292
        .size:           2
        .value_kind:     hidden_remainder_y
      - .offset:         294
        .size:           2
        .value_kind:     hidden_remainder_z
      - .offset:         312
        .size:           8
        .value_kind:     hidden_global_offset_x
      - .offset:         320
        .size:           8
        .value_kind:     hidden_global_offset_y
      - .offset:         328
        .size:           8
        .value_kind:     hidden_global_offset_z
      - .offset:         336
        .size:           2
        .value_kind:     hidden_grid_dims
    .group_segment_fixed_size: 0
    .kernarg_segment_align: 8
    .kernarg_segment_size: 528
    .language:       OpenCL C
    .language_version:
      - 2
      - 0
    .max_flat_workgroup_size: 1024
    .name:           naive_conv_ab_packed_bwd_ncdhw_float_double_float_0
    .private_segment_fixed_size: 0
    .sgpr_count:     86
    .sgpr_spill_count: 0
    .symbol:         naive_conv_ab_packed_bwd_ncdhw_float_double_float_0.kd
    .uniform_work_group_size: 1
    .uses_dynamic_stack: false
    .vgpr_count:     28
    .vgpr_spill_count: 0
    .wavefront_size: 64
  - .agpr_count:     0
    .args:
      - .address_space:  global
        .offset:         0
        .size:           8
        .value_kind:     global_buffer
      - .actual_access:  read_only
        .address_space:  global
        .offset:         8
        .size:           8
        .value_kind:     global_buffer
      - .offset:         16
        .size:           8
        .value_kind:     by_value
      - .offset:         24
        .size:           8
        .value_kind:     by_value
      - .actual_access:  read_only
        .address_space:  global
        .offset:         32
        .size:           8
        .value_kind:     global_buffer
      - .offset:         40
        .size:           48
        .value_kind:     by_value
      - .offset:         88
        .size:           48
        .value_kind:     by_value
      - .offset:         136
        .size:           48
        .value_kind:     by_value
      - .offset:         184
        .size:           4
        .value_kind:     by_value
      - .offset:         188
        .size:           4
        .value_kind:     by_value
      - .offset:         192
        .size:           4
        .value_kind:     by_value
      - .offset:         196
        .size:           4
        .value_kind:     by_value
      - .offset:         200
        .size:           4
        .value_kind:     by_value
      - .offset:         204
        .size:           4
        .value_kind:     by_value
      - .offset:         208
        .size:           4
        .value_kind:     by_value
      - .offset:         212
        .size:           4
        .value_kind:     by_value
      - .offset:         216
        .size:           4
        .value_kind:     by_value
      - .offset:         220
        .size:           4
        .value_kind:     by_value
      - .offset:         224
        .size:           4
        .value_kind:     by_value
      - .offset:         228
        .size:           4
        .value_kind:     by_value
      - .offset:         232
        .size:           4
        .value_kind:     by_value
      - .offset:         236
        .size:           4
        .value_kind:     by_value
      - .offset:         240
        .size:           4
        .value_kind:     by_value
      - .offset:         244
        .size:           4
        .value_kind:     by_value
      - .offset:         248
        .size:           4
        .value_kind:     by_value
      - .offset:         252
        .size:           4
        .value_kind:     by_value
      - .offset:         256
        .size:           4
        .value_kind:     by_value
      - .offset:         260
        .size:           4
        .value_kind:     by_value
      - .offset:         264
        .size:           4
        .value_kind:     by_value
      - .offset:         268
        .size:           4
        .value_kind:     by_value
      - .offset:         272
        .size:           4
        .value_kind:     hidden_block_count_x
      - .offset:         276
        .size:           4
        .value_kind:     hidden_block_count_y
      - .offset:         280
        .size:           4
        .value_kind:     hidden_block_count_z
      - .offset:         284
        .size:           2
        .value_kind:     hidden_group_size_x
      - .offset:         286
        .size:           2
        .value_kind:     hidden_group_size_y
      - .offset:         288
        .size:           2
        .value_kind:     hidden_group_size_z
      - .offset:         290
        .size:           2
        .value_kind:     hidden_remainder_x
      - .offset:         292
        .size:           2
        .value_kind:     hidden_remainder_y
      - .offset:         294
        .size:           2
        .value_kind:     hidden_remainder_z
      - .offset:         312
        .size:           8
        .value_kind:     hidden_global_offset_x
      - .offset:         320
        .size:           8
        .value_kind:     hidden_global_offset_y
      - .offset:         328
        .size:           8
        .value_kind:     hidden_global_offset_z
      - .offset:         336
        .size:           2
        .value_kind:     hidden_grid_dims
    .group_segment_fixed_size: 0
    .kernarg_segment_align: 8
    .kernarg_segment_size: 528
    .language:       OpenCL C
    .language_version:
      - 2
      - 0
    .max_flat_workgroup_size: 1024
    .name:           naive_conv_ab_nonpacked_bwd_ncdhw_float_double_float_0
    .private_segment_fixed_size: 0
    .sgpr_count:     98
    .sgpr_spill_count: 0
    .symbol:         naive_conv_ab_nonpacked_bwd_ncdhw_float_double_float_0.kd
    .uniform_work_group_size: 1
    .uses_dynamic_stack: false
    .vgpr_count:     28
    .vgpr_spill_count: 0
    .wavefront_size: 64
  - .agpr_count:     0
    .args:
      - .address_space:  global
        .offset:         0
        .size:           8
        .value_kind:     global_buffer
      - .actual_access:  read_only
        .address_space:  global
        .offset:         8
        .size:           8
        .value_kind:     global_buffer
      - .offset:         16
        .size:           8
        .value_kind:     by_value
      - .offset:         24
        .size:           8
        .value_kind:     by_value
      - .actual_access:  read_only
        .address_space:  global
        .offset:         32
        .size:           8
        .value_kind:     global_buffer
      - .offset:         40
        .size:           48
        .value_kind:     by_value
      - .offset:         88
        .size:           48
        .value_kind:     by_value
      - .offset:         136
        .size:           48
        .value_kind:     by_value
      - .offset:         184
        .size:           4
        .value_kind:     by_value
      - .offset:         188
        .size:           4
        .value_kind:     by_value
      - .offset:         192
        .size:           4
        .value_kind:     by_value
      - .offset:         196
        .size:           4
        .value_kind:     by_value
      - .offset:         200
        .size:           4
        .value_kind:     by_value
      - .offset:         204
        .size:           4
        .value_kind:     by_value
      - .offset:         208
        .size:           4
        .value_kind:     by_value
      - .offset:         212
        .size:           4
        .value_kind:     by_value
      - .offset:         216
        .size:           4
        .value_kind:     by_value
      - .offset:         220
        .size:           4
        .value_kind:     by_value
      - .offset:         224
        .size:           4
        .value_kind:     by_value
      - .offset:         228
        .size:           4
        .value_kind:     by_value
      - .offset:         232
        .size:           4
        .value_kind:     by_value
      - .offset:         236
        .size:           4
        .value_kind:     by_value
      - .offset:         240
        .size:           4
        .value_kind:     by_value
      - .offset:         244
        .size:           4
        .value_kind:     by_value
      - .offset:         248
        .size:           4
        .value_kind:     by_value
      - .offset:         252
        .size:           4
        .value_kind:     by_value
      - .offset:         256
        .size:           4
        .value_kind:     by_value
      - .offset:         260
        .size:           4
        .value_kind:     by_value
      - .offset:         264
        .size:           4
        .value_kind:     by_value
      - .offset:         268
        .size:           4
        .value_kind:     by_value
      - .offset:         272
        .size:           4
        .value_kind:     hidden_block_count_x
      - .offset:         276
        .size:           4
        .value_kind:     hidden_block_count_y
      - .offset:         280
        .size:           4
        .value_kind:     hidden_block_count_z
      - .offset:         284
        .size:           2
        .value_kind:     hidden_group_size_x
      - .offset:         286
        .size:           2
        .value_kind:     hidden_group_size_y
      - .offset:         288
        .size:           2
        .value_kind:     hidden_group_size_z
      - .offset:         290
        .size:           2
        .value_kind:     hidden_remainder_x
      - .offset:         292
        .size:           2
        .value_kind:     hidden_remainder_y
      - .offset:         294
        .size:           2
        .value_kind:     hidden_remainder_z
      - .offset:         312
        .size:           8
        .value_kind:     hidden_global_offset_x
      - .offset:         320
        .size:           8
        .value_kind:     hidden_global_offset_y
      - .offset:         328
        .size:           8
        .value_kind:     hidden_global_offset_z
      - .offset:         336
        .size:           2
        .value_kind:     hidden_grid_dims
    .group_segment_fixed_size: 0
    .kernarg_segment_align: 8
    .kernarg_segment_size: 528
    .language:       OpenCL C
    .language_version:
      - 2
      - 0
    .max_flat_workgroup_size: 1024
    .name:           naive_conv_ab_packed_bwd_ncdhw_float_double_float_1
    .private_segment_fixed_size: 0
    .sgpr_count:     86
    .sgpr_spill_count: 0
    .symbol:         naive_conv_ab_packed_bwd_ncdhw_float_double_float_1.kd
    .uniform_work_group_size: 1
    .uses_dynamic_stack: false
    .vgpr_count:     28
    .vgpr_spill_count: 0
    .wavefront_size: 64
  - .agpr_count:     0
    .args:
      - .address_space:  global
        .offset:         0
        .size:           8
        .value_kind:     global_buffer
      - .actual_access:  read_only
        .address_space:  global
        .offset:         8
        .size:           8
        .value_kind:     global_buffer
      - .offset:         16
        .size:           8
        .value_kind:     by_value
      - .offset:         24
        .size:           8
        .value_kind:     by_value
      - .actual_access:  read_only
        .address_space:  global
        .offset:         32
        .size:           8
        .value_kind:     global_buffer
      - .offset:         40
        .size:           48
        .value_kind:     by_value
      - .offset:         88
        .size:           48
        .value_kind:     by_value
      - .offset:         136
        .size:           48
        .value_kind:     by_value
      - .offset:         184
        .size:           4
        .value_kind:     by_value
      - .offset:         188
        .size:           4
        .value_kind:     by_value
      - .offset:         192
        .size:           4
        .value_kind:     by_value
      - .offset:         196
        .size:           4
        .value_kind:     by_value
      - .offset:         200
        .size:           4
        .value_kind:     by_value
      - .offset:         204
        .size:           4
        .value_kind:     by_value
      - .offset:         208
        .size:           4
        .value_kind:     by_value
      - .offset:         212
        .size:           4
        .value_kind:     by_value
      - .offset:         216
        .size:           4
        .value_kind:     by_value
      - .offset:         220
        .size:           4
        .value_kind:     by_value
      - .offset:         224
        .size:           4
        .value_kind:     by_value
      - .offset:         228
        .size:           4
        .value_kind:     by_value
      - .offset:         232
        .size:           4
        .value_kind:     by_value
      - .offset:         236
        .size:           4
        .value_kind:     by_value
      - .offset:         240
        .size:           4
        .value_kind:     by_value
      - .offset:         244
        .size:           4
        .value_kind:     by_value
      - .offset:         248
        .size:           4
        .value_kind:     by_value
      - .offset:         252
        .size:           4
        .value_kind:     by_value
      - .offset:         256
        .size:           4
        .value_kind:     by_value
      - .offset:         260
        .size:           4
        .value_kind:     by_value
      - .offset:         264
        .size:           4
        .value_kind:     by_value
      - .offset:         268
        .size:           4
        .value_kind:     by_value
      - .offset:         272
        .size:           4
        .value_kind:     hidden_block_count_x
      - .offset:         276
        .size:           4
        .value_kind:     hidden_block_count_y
      - .offset:         280
        .size:           4
        .value_kind:     hidden_block_count_z
      - .offset:         284
        .size:           2
        .value_kind:     hidden_group_size_x
      - .offset:         286
        .size:           2
        .value_kind:     hidden_group_size_y
      - .offset:         288
        .size:           2
        .value_kind:     hidden_group_size_z
      - .offset:         290
        .size:           2
        .value_kind:     hidden_remainder_x
      - .offset:         292
        .size:           2
        .value_kind:     hidden_remainder_y
      - .offset:         294
        .size:           2
        .value_kind:     hidden_remainder_z
      - .offset:         312
        .size:           8
        .value_kind:     hidden_global_offset_x
      - .offset:         320
        .size:           8
        .value_kind:     hidden_global_offset_y
      - .offset:         328
        .size:           8
        .value_kind:     hidden_global_offset_z
      - .offset:         336
        .size:           2
        .value_kind:     hidden_grid_dims
    .group_segment_fixed_size: 0
    .kernarg_segment_align: 8
    .kernarg_segment_size: 528
    .language:       OpenCL C
    .language_version:
      - 2
      - 0
    .max_flat_workgroup_size: 1024
    .name:           naive_conv_ab_nonpacked_bwd_ncdhw_float_double_float_1
    .private_segment_fixed_size: 0
    .sgpr_count:     98
    .sgpr_spill_count: 0
    .symbol:         naive_conv_ab_nonpacked_bwd_ncdhw_float_double_float_1.kd
    .uniform_work_group_size: 1
    .uses_dynamic_stack: false
    .vgpr_count:     28
    .vgpr_spill_count: 0
    .wavefront_size: 64
  - .agpr_count:     0
    .args:
      - .address_space:  global
        .offset:         0
        .size:           8
        .value_kind:     global_buffer
      - .actual_access:  read_only
        .address_space:  global
        .offset:         8
        .size:           8
        .value_kind:     global_buffer
      - .offset:         16
        .size:           8
        .value_kind:     by_value
      - .offset:         24
        .size:           8
        .value_kind:     by_value
      - .actual_access:  read_only
        .address_space:  global
        .offset:         32
        .size:           8
        .value_kind:     global_buffer
      - .offset:         40
        .size:           48
        .value_kind:     by_value
      - .offset:         88
        .size:           48
        .value_kind:     by_value
      - .offset:         136
        .size:           48
        .value_kind:     by_value
      - .offset:         184
        .size:           4
        .value_kind:     by_value
      - .offset:         188
        .size:           4
        .value_kind:     by_value
      - .offset:         192
        .size:           4
        .value_kind:     by_value
      - .offset:         196
        .size:           4
        .value_kind:     by_value
      - .offset:         200
        .size:           4
        .value_kind:     by_value
      - .offset:         204
        .size:           4
        .value_kind:     by_value
      - .offset:         208
        .size:           4
        .value_kind:     by_value
      - .offset:         212
        .size:           4
        .value_kind:     by_value
      - .offset:         216
        .size:           4
        .value_kind:     by_value
      - .offset:         220
        .size:           4
        .value_kind:     by_value
      - .offset:         224
        .size:           4
        .value_kind:     by_value
      - .offset:         228
        .size:           4
        .value_kind:     by_value
      - .offset:         232
        .size:           4
        .value_kind:     by_value
      - .offset:         236
        .size:           4
        .value_kind:     by_value
      - .offset:         240
        .size:           4
        .value_kind:     by_value
      - .offset:         244
        .size:           4
        .value_kind:     by_value
      - .offset:         248
        .size:           4
        .value_kind:     by_value
      - .offset:         252
        .size:           4
        .value_kind:     by_value
      - .offset:         256
        .size:           4
        .value_kind:     by_value
      - .offset:         260
        .size:           4
        .value_kind:     by_value
      - .offset:         264
        .size:           4
        .value_kind:     by_value
      - .offset:         268
        .size:           4
        .value_kind:     by_value
      - .offset:         272
        .size:           4
        .value_kind:     hidden_block_count_x
      - .offset:         276
        .size:           4
        .value_kind:     hidden_block_count_y
      - .offset:         280
        .size:           4
        .value_kind:     hidden_block_count_z
      - .offset:         284
        .size:           2
        .value_kind:     hidden_group_size_x
      - .offset:         286
        .size:           2
        .value_kind:     hidden_group_size_y
      - .offset:         288
        .size:           2
        .value_kind:     hidden_group_size_z
      - .offset:         290
        .size:           2
        .value_kind:     hidden_remainder_x
      - .offset:         292
        .size:           2
        .value_kind:     hidden_remainder_y
      - .offset:         294
        .size:           2
        .value_kind:     hidden_remainder_z
      - .offset:         312
        .size:           8
        .value_kind:     hidden_global_offset_x
      - .offset:         320
        .size:           8
        .value_kind:     hidden_global_offset_y
      - .offset:         328
        .size:           8
        .value_kind:     hidden_global_offset_z
      - .offset:         336
        .size:           2
        .value_kind:     hidden_grid_dims
    .group_segment_fixed_size: 0
    .kernarg_segment_align: 8
    .kernarg_segment_size: 528
    .language:       OpenCL C
    .language_version:
      - 2
      - 0
    .max_flat_workgroup_size: 1024
    .name:           naive_conv_ab_packed_bwd_ncdhw_half_double_half_0
    .private_segment_fixed_size: 0
    .sgpr_count:     86
    .sgpr_spill_count: 0
    .symbol:         naive_conv_ab_packed_bwd_ncdhw_half_double_half_0.kd
    .uniform_work_group_size: 1
    .uses_dynamic_stack: false
    .vgpr_count:     29
    .vgpr_spill_count: 0
    .wavefront_size: 64
  - .agpr_count:     0
    .args:
      - .address_space:  global
        .offset:         0
        .size:           8
        .value_kind:     global_buffer
      - .actual_access:  read_only
        .address_space:  global
        .offset:         8
        .size:           8
        .value_kind:     global_buffer
      - .offset:         16
        .size:           8
        .value_kind:     by_value
      - .offset:         24
        .size:           8
        .value_kind:     by_value
      - .actual_access:  read_only
        .address_space:  global
        .offset:         32
        .size:           8
        .value_kind:     global_buffer
      - .offset:         40
        .size:           48
        .value_kind:     by_value
      - .offset:         88
        .size:           48
        .value_kind:     by_value
      - .offset:         136
        .size:           48
        .value_kind:     by_value
      - .offset:         184
        .size:           4
        .value_kind:     by_value
      - .offset:         188
        .size:           4
        .value_kind:     by_value
      - .offset:         192
        .size:           4
        .value_kind:     by_value
      - .offset:         196
        .size:           4
        .value_kind:     by_value
      - .offset:         200
        .size:           4
        .value_kind:     by_value
      - .offset:         204
        .size:           4
        .value_kind:     by_value
      - .offset:         208
        .size:           4
        .value_kind:     by_value
      - .offset:         212
        .size:           4
        .value_kind:     by_value
      - .offset:         216
        .size:           4
        .value_kind:     by_value
      - .offset:         220
        .size:           4
        .value_kind:     by_value
      - .offset:         224
        .size:           4
        .value_kind:     by_value
      - .offset:         228
        .size:           4
        .value_kind:     by_value
      - .offset:         232
        .size:           4
        .value_kind:     by_value
      - .offset:         236
        .size:           4
        .value_kind:     by_value
      - .offset:         240
        .size:           4
        .value_kind:     by_value
      - .offset:         244
        .size:           4
        .value_kind:     by_value
      - .offset:         248
        .size:           4
        .value_kind:     by_value
      - .offset:         252
        .size:           4
        .value_kind:     by_value
      - .offset:         256
        .size:           4
        .value_kind:     by_value
      - .offset:         260
        .size:           4
        .value_kind:     by_value
      - .offset:         264
        .size:           4
        .value_kind:     by_value
      - .offset:         268
        .size:           4
        .value_kind:     by_value
      - .offset:         272
        .size:           4
        .value_kind:     hidden_block_count_x
      - .offset:         276
        .size:           4
        .value_kind:     hidden_block_count_y
      - .offset:         280
        .size:           4
        .value_kind:     hidden_block_count_z
      - .offset:         284
        .size:           2
        .value_kind:     hidden_group_size_x
      - .offset:         286
        .size:           2
        .value_kind:     hidden_group_size_y
      - .offset:         288
        .size:           2
        .value_kind:     hidden_group_size_z
      - .offset:         290
        .size:           2
        .value_kind:     hidden_remainder_x
      - .offset:         292
        .size:           2
        .value_kind:     hidden_remainder_y
      - .offset:         294
        .size:           2
        .value_kind:     hidden_remainder_z
      - .offset:         312
        .size:           8
        .value_kind:     hidden_global_offset_x
      - .offset:         320
        .size:           8
        .value_kind:     hidden_global_offset_y
      - .offset:         328
        .size:           8
        .value_kind:     hidden_global_offset_z
      - .offset:         336
        .size:           2
        .value_kind:     hidden_grid_dims
    .group_segment_fixed_size: 0
    .kernarg_segment_align: 8
    .kernarg_segment_size: 528
    .language:       OpenCL C
    .language_version:
      - 2
      - 0
    .max_flat_workgroup_size: 1024
    .name:           naive_conv_ab_nonpacked_bwd_ncdhw_half_double_half_0
    .private_segment_fixed_size: 0
    .sgpr_count:     98
    .sgpr_spill_count: 0
    .symbol:         naive_conv_ab_nonpacked_bwd_ncdhw_half_double_half_0.kd
    .uniform_work_group_size: 1
    .uses_dynamic_stack: false
    .vgpr_count:     29
    .vgpr_spill_count: 0
    .wavefront_size: 64
  - .agpr_count:     0
    .args:
      - .address_space:  global
        .offset:         0
        .size:           8
        .value_kind:     global_buffer
      - .actual_access:  read_only
        .address_space:  global
        .offset:         8
        .size:           8
        .value_kind:     global_buffer
      - .offset:         16
        .size:           8
        .value_kind:     by_value
      - .offset:         24
        .size:           8
        .value_kind:     by_value
      - .actual_access:  read_only
        .address_space:  global
        .offset:         32
        .size:           8
        .value_kind:     global_buffer
      - .offset:         40
        .size:           48
        .value_kind:     by_value
      - .offset:         88
        .size:           48
        .value_kind:     by_value
      - .offset:         136
        .size:           48
        .value_kind:     by_value
      - .offset:         184
        .size:           4
        .value_kind:     by_value
      - .offset:         188
        .size:           4
        .value_kind:     by_value
      - .offset:         192
        .size:           4
        .value_kind:     by_value
      - .offset:         196
        .size:           4
        .value_kind:     by_value
      - .offset:         200
        .size:           4
        .value_kind:     by_value
      - .offset:         204
        .size:           4
        .value_kind:     by_value
      - .offset:         208
        .size:           4
        .value_kind:     by_value
      - .offset:         212
        .size:           4
        .value_kind:     by_value
      - .offset:         216
        .size:           4
        .value_kind:     by_value
      - .offset:         220
        .size:           4
        .value_kind:     by_value
      - .offset:         224
        .size:           4
        .value_kind:     by_value
      - .offset:         228
        .size:           4
        .value_kind:     by_value
      - .offset:         232
        .size:           4
        .value_kind:     by_value
      - .offset:         236
        .size:           4
        .value_kind:     by_value
      - .offset:         240
        .size:           4
        .value_kind:     by_value
      - .offset:         244
        .size:           4
        .value_kind:     by_value
      - .offset:         248
        .size:           4
        .value_kind:     by_value
      - .offset:         252
        .size:           4
        .value_kind:     by_value
      - .offset:         256
        .size:           4
        .value_kind:     by_value
      - .offset:         260
        .size:           4
        .value_kind:     by_value
      - .offset:         264
        .size:           4
        .value_kind:     by_value
      - .offset:         268
        .size:           4
        .value_kind:     by_value
      - .offset:         272
        .size:           4
        .value_kind:     hidden_block_count_x
      - .offset:         276
        .size:           4
        .value_kind:     hidden_block_count_y
      - .offset:         280
        .size:           4
        .value_kind:     hidden_block_count_z
      - .offset:         284
        .size:           2
        .value_kind:     hidden_group_size_x
      - .offset:         286
        .size:           2
        .value_kind:     hidden_group_size_y
      - .offset:         288
        .size:           2
        .value_kind:     hidden_group_size_z
      - .offset:         290
        .size:           2
        .value_kind:     hidden_remainder_x
      - .offset:         292
        .size:           2
        .value_kind:     hidden_remainder_y
      - .offset:         294
        .size:           2
        .value_kind:     hidden_remainder_z
      - .offset:         312
        .size:           8
        .value_kind:     hidden_global_offset_x
      - .offset:         320
        .size:           8
        .value_kind:     hidden_global_offset_y
      - .offset:         328
        .size:           8
        .value_kind:     hidden_global_offset_z
      - .offset:         336
        .size:           2
        .value_kind:     hidden_grid_dims
    .group_segment_fixed_size: 0
    .kernarg_segment_align: 8
    .kernarg_segment_size: 528
    .language:       OpenCL C
    .language_version:
      - 2
      - 0
    .max_flat_workgroup_size: 1024
    .name:           naive_conv_ab_packed_bwd_ncdhw_ushort_double_ushort_0
    .private_segment_fixed_size: 0
    .sgpr_count:     86
    .sgpr_spill_count: 0
    .symbol:         naive_conv_ab_packed_bwd_ncdhw_ushort_double_ushort_0.kd
    .uniform_work_group_size: 1
    .uses_dynamic_stack: false
    .vgpr_count:     29
    .vgpr_spill_count: 0
    .wavefront_size: 64
  - .agpr_count:     0
    .args:
      - .address_space:  global
        .offset:         0
        .size:           8
        .value_kind:     global_buffer
      - .actual_access:  read_only
        .address_space:  global
        .offset:         8
        .size:           8
        .value_kind:     global_buffer
      - .offset:         16
        .size:           8
        .value_kind:     by_value
      - .offset:         24
        .size:           8
        .value_kind:     by_value
      - .actual_access:  read_only
        .address_space:  global
        .offset:         32
        .size:           8
        .value_kind:     global_buffer
      - .offset:         40
        .size:           48
        .value_kind:     by_value
      - .offset:         88
        .size:           48
        .value_kind:     by_value
      - .offset:         136
        .size:           48
        .value_kind:     by_value
      - .offset:         184
        .size:           4
        .value_kind:     by_value
      - .offset:         188
        .size:           4
        .value_kind:     by_value
      - .offset:         192
        .size:           4
        .value_kind:     by_value
      - .offset:         196
        .size:           4
        .value_kind:     by_value
      - .offset:         200
        .size:           4
        .value_kind:     by_value
      - .offset:         204
        .size:           4
        .value_kind:     by_value
      - .offset:         208
        .size:           4
        .value_kind:     by_value
      - .offset:         212
        .size:           4
        .value_kind:     by_value
      - .offset:         216
        .size:           4
        .value_kind:     by_value
      - .offset:         220
        .size:           4
        .value_kind:     by_value
      - .offset:         224
        .size:           4
        .value_kind:     by_value
      - .offset:         228
        .size:           4
        .value_kind:     by_value
      - .offset:         232
        .size:           4
        .value_kind:     by_value
      - .offset:         236
        .size:           4
        .value_kind:     by_value
      - .offset:         240
        .size:           4
        .value_kind:     by_value
      - .offset:         244
        .size:           4
        .value_kind:     by_value
      - .offset:         248
        .size:           4
        .value_kind:     by_value
      - .offset:         252
        .size:           4
        .value_kind:     by_value
      - .offset:         256
        .size:           4
        .value_kind:     by_value
      - .offset:         260
        .size:           4
        .value_kind:     by_value
      - .offset:         264
        .size:           4
        .value_kind:     by_value
      - .offset:         268
        .size:           4
        .value_kind:     by_value
      - .offset:         272
        .size:           4
        .value_kind:     hidden_block_count_x
      - .offset:         276
        .size:           4
        .value_kind:     hidden_block_count_y
      - .offset:         280
        .size:           4
        .value_kind:     hidden_block_count_z
      - .offset:         284
        .size:           2
        .value_kind:     hidden_group_size_x
      - .offset:         286
        .size:           2
        .value_kind:     hidden_group_size_y
      - .offset:         288
        .size:           2
        .value_kind:     hidden_group_size_z
      - .offset:         290
        .size:           2
        .value_kind:     hidden_remainder_x
      - .offset:         292
        .size:           2
        .value_kind:     hidden_remainder_y
      - .offset:         294
        .size:           2
        .value_kind:     hidden_remainder_z
      - .offset:         312
        .size:           8
        .value_kind:     hidden_global_offset_x
      - .offset:         320
        .size:           8
        .value_kind:     hidden_global_offset_y
      - .offset:         328
        .size:           8
        .value_kind:     hidden_global_offset_z
      - .offset:         336
        .size:           2
        .value_kind:     hidden_grid_dims
    .group_segment_fixed_size: 0
    .kernarg_segment_align: 8
    .kernarg_segment_size: 528
    .language:       OpenCL C
    .language_version:
      - 2
      - 0
    .max_flat_workgroup_size: 1024
    .name:           naive_conv_ab_nonpacked_bwd_ncdhw_ushort_double_ushort_0
    .private_segment_fixed_size: 0
    .sgpr_count:     98
    .sgpr_spill_count: 0
    .symbol:         naive_conv_ab_nonpacked_bwd_ncdhw_ushort_double_ushort_0.kd
    .uniform_work_group_size: 1
    .uses_dynamic_stack: false
    .vgpr_count:     29
    .vgpr_spill_count: 0
    .wavefront_size: 64
  - .agpr_count:     0
    .args:
      - .address_space:  global
        .offset:         0
        .size:           8
        .value_kind:     global_buffer
      - .actual_access:  read_only
        .address_space:  global
        .offset:         8
        .size:           8
        .value_kind:     global_buffer
      - .offset:         16
        .size:           8
        .value_kind:     by_value
      - .offset:         24
        .size:           8
        .value_kind:     by_value
      - .actual_access:  read_only
        .address_space:  global
        .offset:         32
        .size:           8
        .value_kind:     global_buffer
      - .offset:         40
        .size:           48
        .value_kind:     by_value
      - .offset:         88
        .size:           48
        .value_kind:     by_value
      - .offset:         136
        .size:           48
        .value_kind:     by_value
      - .offset:         184
        .size:           4
        .value_kind:     by_value
      - .offset:         188
        .size:           4
        .value_kind:     by_value
      - .offset:         192
        .size:           4
        .value_kind:     by_value
      - .offset:         196
        .size:           4
        .value_kind:     by_value
      - .offset:         200
        .size:           4
        .value_kind:     by_value
      - .offset:         204
        .size:           4
        .value_kind:     by_value
      - .offset:         208
        .size:           4
        .value_kind:     by_value
      - .offset:         212
        .size:           4
        .value_kind:     by_value
      - .offset:         216
        .size:           4
        .value_kind:     by_value
      - .offset:         220
        .size:           4
        .value_kind:     by_value
      - .offset:         224
        .size:           4
        .value_kind:     by_value
      - .offset:         228
        .size:           4
        .value_kind:     by_value
      - .offset:         232
        .size:           4
        .value_kind:     by_value
      - .offset:         236
        .size:           4
        .value_kind:     by_value
      - .offset:         240
        .size:           4
        .value_kind:     by_value
      - .offset:         244
        .size:           4
        .value_kind:     by_value
      - .offset:         248
        .size:           4
        .value_kind:     by_value
      - .offset:         252
        .size:           4
        .value_kind:     by_value
      - .offset:         256
        .size:           4
        .value_kind:     by_value
      - .offset:         260
        .size:           4
        .value_kind:     by_value
      - .offset:         264
        .size:           4
        .value_kind:     by_value
      - .offset:         268
        .size:           4
        .value_kind:     by_value
      - .offset:         272
        .size:           4
        .value_kind:     hidden_block_count_x
      - .offset:         276
        .size:           4
        .value_kind:     hidden_block_count_y
      - .offset:         280
        .size:           4
        .value_kind:     hidden_block_count_z
      - .offset:         284
        .size:           2
        .value_kind:     hidden_group_size_x
      - .offset:         286
        .size:           2
        .value_kind:     hidden_group_size_y
      - .offset:         288
        .size:           2
        .value_kind:     hidden_group_size_z
      - .offset:         290
        .size:           2
        .value_kind:     hidden_remainder_x
      - .offset:         292
        .size:           2
        .value_kind:     hidden_remainder_y
      - .offset:         294
        .size:           2
        .value_kind:     hidden_remainder_z
      - .offset:         312
        .size:           8
        .value_kind:     hidden_global_offset_x
      - .offset:         320
        .size:           8
        .value_kind:     hidden_global_offset_y
      - .offset:         328
        .size:           8
        .value_kind:     hidden_global_offset_z
      - .offset:         336
        .size:           2
        .value_kind:     hidden_grid_dims
    .group_segment_fixed_size: 0
    .kernarg_segment_align: 8
    .kernarg_segment_size: 528
    .language:       OpenCL C
    .language_version:
      - 2
      - 0
    .max_flat_workgroup_size: 1024
    .name:           naive_conv_ab_packed_bwd_ndhwc_float_double_float_0
    .private_segment_fixed_size: 0
    .sgpr_count:     86
    .sgpr_spill_count: 0
    .symbol:         naive_conv_ab_packed_bwd_ndhwc_float_double_float_0.kd
    .uniform_work_group_size: 1
    .uses_dynamic_stack: false
    .vgpr_count:     32
    .vgpr_spill_count: 0
    .wavefront_size: 64
  - .agpr_count:     0
    .args:
      - .address_space:  global
        .offset:         0
        .size:           8
        .value_kind:     global_buffer
      - .actual_access:  read_only
        .address_space:  global
        .offset:         8
        .size:           8
        .value_kind:     global_buffer
      - .offset:         16
        .size:           8
        .value_kind:     by_value
      - .offset:         24
        .size:           8
        .value_kind:     by_value
      - .actual_access:  read_only
        .address_space:  global
        .offset:         32
        .size:           8
        .value_kind:     global_buffer
      - .offset:         40
        .size:           48
        .value_kind:     by_value
      - .offset:         88
        .size:           48
        .value_kind:     by_value
      - .offset:         136
        .size:           48
        .value_kind:     by_value
      - .offset:         184
        .size:           4
        .value_kind:     by_value
      - .offset:         188
        .size:           4
        .value_kind:     by_value
      - .offset:         192
        .size:           4
        .value_kind:     by_value
      - .offset:         196
        .size:           4
        .value_kind:     by_value
      - .offset:         200
        .size:           4
        .value_kind:     by_value
      - .offset:         204
        .size:           4
        .value_kind:     by_value
      - .offset:         208
        .size:           4
        .value_kind:     by_value
      - .offset:         212
        .size:           4
        .value_kind:     by_value
      - .offset:         216
        .size:           4
        .value_kind:     by_value
      - .offset:         220
        .size:           4
        .value_kind:     by_value
      - .offset:         224
        .size:           4
        .value_kind:     by_value
      - .offset:         228
        .size:           4
        .value_kind:     by_value
      - .offset:         232
        .size:           4
        .value_kind:     by_value
      - .offset:         236
        .size:           4
        .value_kind:     by_value
      - .offset:         240
        .size:           4
        .value_kind:     by_value
      - .offset:         244
        .size:           4
        .value_kind:     by_value
      - .offset:         248
        .size:           4
        .value_kind:     by_value
      - .offset:         252
        .size:           4
        .value_kind:     by_value
      - .offset:         256
        .size:           4
        .value_kind:     by_value
      - .offset:         260
        .size:           4
        .value_kind:     by_value
      - .offset:         264
        .size:           4
        .value_kind:     by_value
      - .offset:         268
        .size:           4
        .value_kind:     by_value
      - .offset:         272
        .size:           4
        .value_kind:     hidden_block_count_x
      - .offset:         276
        .size:           4
        .value_kind:     hidden_block_count_y
      - .offset:         280
        .size:           4
        .value_kind:     hidden_block_count_z
      - .offset:         284
        .size:           2
        .value_kind:     hidden_group_size_x
      - .offset:         286
        .size:           2
        .value_kind:     hidden_group_size_y
      - .offset:         288
        .size:           2
        .value_kind:     hidden_group_size_z
      - .offset:         290
        .size:           2
        .value_kind:     hidden_remainder_x
      - .offset:         292
        .size:           2
        .value_kind:     hidden_remainder_y
      - .offset:         294
        .size:           2
        .value_kind:     hidden_remainder_z
      - .offset:         312
        .size:           8
        .value_kind:     hidden_global_offset_x
      - .offset:         320
        .size:           8
        .value_kind:     hidden_global_offset_y
      - .offset:         328
        .size:           8
        .value_kind:     hidden_global_offset_z
      - .offset:         336
        .size:           2
        .value_kind:     hidden_grid_dims
    .group_segment_fixed_size: 0
    .kernarg_segment_align: 8
    .kernarg_segment_size: 528
    .language:       OpenCL C
    .language_version:
      - 2
      - 0
    .max_flat_workgroup_size: 1024
    .name:           naive_conv_ab_nonpacked_bwd_ndhwc_float_double_float_0
    .private_segment_fixed_size: 0
    .sgpr_count:     102
    .sgpr_spill_count: 0
    .symbol:         naive_conv_ab_nonpacked_bwd_ndhwc_float_double_float_0.kd
    .uniform_work_group_size: 1
    .uses_dynamic_stack: false
    .vgpr_count:     32
    .vgpr_spill_count: 0
    .wavefront_size: 64
  - .agpr_count:     0
    .args:
      - .address_space:  global
        .offset:         0
        .size:           8
        .value_kind:     global_buffer
      - .actual_access:  read_only
        .address_space:  global
        .offset:         8
        .size:           8
        .value_kind:     global_buffer
      - .offset:         16
        .size:           8
        .value_kind:     by_value
      - .offset:         24
        .size:           8
        .value_kind:     by_value
      - .actual_access:  read_only
        .address_space:  global
        .offset:         32
        .size:           8
        .value_kind:     global_buffer
      - .offset:         40
        .size:           48
        .value_kind:     by_value
      - .offset:         88
        .size:           48
        .value_kind:     by_value
      - .offset:         136
        .size:           48
        .value_kind:     by_value
      - .offset:         184
        .size:           4
        .value_kind:     by_value
      - .offset:         188
        .size:           4
        .value_kind:     by_value
      - .offset:         192
        .size:           4
        .value_kind:     by_value
      - .offset:         196
        .size:           4
        .value_kind:     by_value
      - .offset:         200
        .size:           4
        .value_kind:     by_value
      - .offset:         204
        .size:           4
        .value_kind:     by_value
      - .offset:         208
        .size:           4
        .value_kind:     by_value
      - .offset:         212
        .size:           4
        .value_kind:     by_value
      - .offset:         216
        .size:           4
        .value_kind:     by_value
      - .offset:         220
        .size:           4
        .value_kind:     by_value
      - .offset:         224
        .size:           4
        .value_kind:     by_value
      - .offset:         228
        .size:           4
        .value_kind:     by_value
      - .offset:         232
        .size:           4
        .value_kind:     by_value
      - .offset:         236
        .size:           4
        .value_kind:     by_value
      - .offset:         240
        .size:           4
        .value_kind:     by_value
      - .offset:         244
        .size:           4
        .value_kind:     by_value
      - .offset:         248
        .size:           4
        .value_kind:     by_value
      - .offset:         252
        .size:           4
        .value_kind:     by_value
      - .offset:         256
        .size:           4
        .value_kind:     by_value
      - .offset:         260
        .size:           4
        .value_kind:     by_value
      - .offset:         264
        .size:           4
        .value_kind:     by_value
      - .offset:         268
        .size:           4
        .value_kind:     by_value
      - .offset:         272
        .size:           4
        .value_kind:     hidden_block_count_x
      - .offset:         276
        .size:           4
        .value_kind:     hidden_block_count_y
      - .offset:         280
        .size:           4
        .value_kind:     hidden_block_count_z
      - .offset:         284
        .size:           2
        .value_kind:     hidden_group_size_x
      - .offset:         286
        .size:           2
        .value_kind:     hidden_group_size_y
      - .offset:         288
        .size:           2
        .value_kind:     hidden_group_size_z
      - .offset:         290
        .size:           2
        .value_kind:     hidden_remainder_x
      - .offset:         292
        .size:           2
        .value_kind:     hidden_remainder_y
      - .offset:         294
        .size:           2
        .value_kind:     hidden_remainder_z
      - .offset:         312
        .size:           8
        .value_kind:     hidden_global_offset_x
      - .offset:         320
        .size:           8
        .value_kind:     hidden_global_offset_y
      - .offset:         328
        .size:           8
        .value_kind:     hidden_global_offset_z
      - .offset:         336
        .size:           2
        .value_kind:     hidden_grid_dims
    .group_segment_fixed_size: 0
    .kernarg_segment_align: 8
    .kernarg_segment_size: 528
    .language:       OpenCL C
    .language_version:
      - 2
      - 0
    .max_flat_workgroup_size: 1024
    .name:           naive_conv_ab_packed_bwd_ndhwc_float_double_float_1
    .private_segment_fixed_size: 0
    .sgpr_count:     86
    .sgpr_spill_count: 0
    .symbol:         naive_conv_ab_packed_bwd_ndhwc_float_double_float_1.kd
    .uniform_work_group_size: 1
    .uses_dynamic_stack: false
    .vgpr_count:     32
    .vgpr_spill_count: 0
    .wavefront_size: 64
  - .agpr_count:     0
    .args:
      - .address_space:  global
        .offset:         0
        .size:           8
        .value_kind:     global_buffer
      - .actual_access:  read_only
        .address_space:  global
        .offset:         8
        .size:           8
        .value_kind:     global_buffer
      - .offset:         16
        .size:           8
        .value_kind:     by_value
      - .offset:         24
        .size:           8
        .value_kind:     by_value
      - .actual_access:  read_only
        .address_space:  global
        .offset:         32
        .size:           8
        .value_kind:     global_buffer
      - .offset:         40
        .size:           48
        .value_kind:     by_value
      - .offset:         88
        .size:           48
        .value_kind:     by_value
      - .offset:         136
        .size:           48
        .value_kind:     by_value
      - .offset:         184
        .size:           4
        .value_kind:     by_value
      - .offset:         188
        .size:           4
        .value_kind:     by_value
      - .offset:         192
        .size:           4
        .value_kind:     by_value
      - .offset:         196
        .size:           4
        .value_kind:     by_value
      - .offset:         200
        .size:           4
        .value_kind:     by_value
      - .offset:         204
        .size:           4
        .value_kind:     by_value
      - .offset:         208
        .size:           4
        .value_kind:     by_value
      - .offset:         212
        .size:           4
        .value_kind:     by_value
      - .offset:         216
        .size:           4
        .value_kind:     by_value
      - .offset:         220
        .size:           4
        .value_kind:     by_value
      - .offset:         224
        .size:           4
        .value_kind:     by_value
      - .offset:         228
        .size:           4
        .value_kind:     by_value
      - .offset:         232
        .size:           4
        .value_kind:     by_value
      - .offset:         236
        .size:           4
        .value_kind:     by_value
      - .offset:         240
        .size:           4
        .value_kind:     by_value
      - .offset:         244
        .size:           4
        .value_kind:     by_value
      - .offset:         248
        .size:           4
        .value_kind:     by_value
      - .offset:         252
        .size:           4
        .value_kind:     by_value
      - .offset:         256
        .size:           4
        .value_kind:     by_value
      - .offset:         260
        .size:           4
        .value_kind:     by_value
      - .offset:         264
        .size:           4
        .value_kind:     by_value
      - .offset:         268
        .size:           4
        .value_kind:     by_value
      - .offset:         272
        .size:           4
        .value_kind:     hidden_block_count_x
      - .offset:         276
        .size:           4
        .value_kind:     hidden_block_count_y
      - .offset:         280
        .size:           4
        .value_kind:     hidden_block_count_z
      - .offset:         284
        .size:           2
        .value_kind:     hidden_group_size_x
      - .offset:         286
        .size:           2
        .value_kind:     hidden_group_size_y
      - .offset:         288
        .size:           2
        .value_kind:     hidden_group_size_z
      - .offset:         290
        .size:           2
        .value_kind:     hidden_remainder_x
      - .offset:         292
        .size:           2
        .value_kind:     hidden_remainder_y
      - .offset:         294
        .size:           2
        .value_kind:     hidden_remainder_z
      - .offset:         312
        .size:           8
        .value_kind:     hidden_global_offset_x
      - .offset:         320
        .size:           8
        .value_kind:     hidden_global_offset_y
      - .offset:         328
        .size:           8
        .value_kind:     hidden_global_offset_z
      - .offset:         336
        .size:           2
        .value_kind:     hidden_grid_dims
    .group_segment_fixed_size: 0
    .kernarg_segment_align: 8
    .kernarg_segment_size: 528
    .language:       OpenCL C
    .language_version:
      - 2
      - 0
    .max_flat_workgroup_size: 1024
    .name:           naive_conv_ab_nonpacked_bwd_ndhwc_float_double_float_1
    .private_segment_fixed_size: 0
    .sgpr_count:     102
    .sgpr_spill_count: 0
    .symbol:         naive_conv_ab_nonpacked_bwd_ndhwc_float_double_float_1.kd
    .uniform_work_group_size: 1
    .uses_dynamic_stack: false
    .vgpr_count:     32
    .vgpr_spill_count: 0
    .wavefront_size: 64
  - .agpr_count:     0
    .args:
      - .address_space:  global
        .offset:         0
        .size:           8
        .value_kind:     global_buffer
      - .actual_access:  read_only
        .address_space:  global
        .offset:         8
        .size:           8
        .value_kind:     global_buffer
      - .offset:         16
        .size:           8
        .value_kind:     by_value
      - .offset:         24
        .size:           8
        .value_kind:     by_value
      - .actual_access:  read_only
        .address_space:  global
        .offset:         32
        .size:           8
        .value_kind:     global_buffer
      - .offset:         40
        .size:           48
        .value_kind:     by_value
      - .offset:         88
        .size:           48
        .value_kind:     by_value
      - .offset:         136
        .size:           48
        .value_kind:     by_value
      - .offset:         184
        .size:           4
        .value_kind:     by_value
      - .offset:         188
        .size:           4
        .value_kind:     by_value
      - .offset:         192
        .size:           4
        .value_kind:     by_value
      - .offset:         196
        .size:           4
        .value_kind:     by_value
      - .offset:         200
        .size:           4
        .value_kind:     by_value
      - .offset:         204
        .size:           4
        .value_kind:     by_value
      - .offset:         208
        .size:           4
        .value_kind:     by_value
      - .offset:         212
        .size:           4
        .value_kind:     by_value
      - .offset:         216
        .size:           4
        .value_kind:     by_value
      - .offset:         220
        .size:           4
        .value_kind:     by_value
      - .offset:         224
        .size:           4
        .value_kind:     by_value
      - .offset:         228
        .size:           4
        .value_kind:     by_value
      - .offset:         232
        .size:           4
        .value_kind:     by_value
      - .offset:         236
        .size:           4
        .value_kind:     by_value
      - .offset:         240
        .size:           4
        .value_kind:     by_value
      - .offset:         244
        .size:           4
        .value_kind:     by_value
      - .offset:         248
        .size:           4
        .value_kind:     by_value
      - .offset:         252
        .size:           4
        .value_kind:     by_value
      - .offset:         256
        .size:           4
        .value_kind:     by_value
      - .offset:         260
        .size:           4
        .value_kind:     by_value
      - .offset:         264
        .size:           4
        .value_kind:     by_value
      - .offset:         268
        .size:           4
        .value_kind:     by_value
      - .offset:         272
        .size:           4
        .value_kind:     hidden_block_count_x
      - .offset:         276
        .size:           4
        .value_kind:     hidden_block_count_y
      - .offset:         280
        .size:           4
        .value_kind:     hidden_block_count_z
      - .offset:         284
        .size:           2
        .value_kind:     hidden_group_size_x
      - .offset:         286
        .size:           2
        .value_kind:     hidden_group_size_y
      - .offset:         288
        .size:           2
        .value_kind:     hidden_group_size_z
      - .offset:         290
        .size:           2
        .value_kind:     hidden_remainder_x
      - .offset:         292
        .size:           2
        .value_kind:     hidden_remainder_y
      - .offset:         294
        .size:           2
        .value_kind:     hidden_remainder_z
      - .offset:         312
        .size:           8
        .value_kind:     hidden_global_offset_x
      - .offset:         320
        .size:           8
        .value_kind:     hidden_global_offset_y
      - .offset:         328
        .size:           8
        .value_kind:     hidden_global_offset_z
      - .offset:         336
        .size:           2
        .value_kind:     hidden_grid_dims
    .group_segment_fixed_size: 0
    .kernarg_segment_align: 8
    .kernarg_segment_size: 528
    .language:       OpenCL C
    .language_version:
      - 2
      - 0
    .max_flat_workgroup_size: 1024
    .name:           naive_conv_ab_packed_bwd_ndhwc_half_double_half_0
    .private_segment_fixed_size: 0
    .sgpr_count:     86
    .sgpr_spill_count: 0
    .symbol:         naive_conv_ab_packed_bwd_ndhwc_half_double_half_0.kd
    .uniform_work_group_size: 1
    .uses_dynamic_stack: false
    .vgpr_count:     32
    .vgpr_spill_count: 0
    .wavefront_size: 64
  - .agpr_count:     0
    .args:
      - .address_space:  global
        .offset:         0
        .size:           8
        .value_kind:     global_buffer
      - .actual_access:  read_only
        .address_space:  global
        .offset:         8
        .size:           8
        .value_kind:     global_buffer
      - .offset:         16
        .size:           8
        .value_kind:     by_value
      - .offset:         24
        .size:           8
        .value_kind:     by_value
      - .actual_access:  read_only
        .address_space:  global
        .offset:         32
        .size:           8
        .value_kind:     global_buffer
      - .offset:         40
        .size:           48
        .value_kind:     by_value
      - .offset:         88
        .size:           48
        .value_kind:     by_value
      - .offset:         136
        .size:           48
        .value_kind:     by_value
      - .offset:         184
        .size:           4
        .value_kind:     by_value
      - .offset:         188
        .size:           4
        .value_kind:     by_value
      - .offset:         192
        .size:           4
        .value_kind:     by_value
      - .offset:         196
        .size:           4
        .value_kind:     by_value
      - .offset:         200
        .size:           4
        .value_kind:     by_value
      - .offset:         204
        .size:           4
        .value_kind:     by_value
      - .offset:         208
        .size:           4
        .value_kind:     by_value
      - .offset:         212
        .size:           4
        .value_kind:     by_value
      - .offset:         216
        .size:           4
        .value_kind:     by_value
      - .offset:         220
        .size:           4
        .value_kind:     by_value
      - .offset:         224
        .size:           4
        .value_kind:     by_value
      - .offset:         228
        .size:           4
        .value_kind:     by_value
      - .offset:         232
        .size:           4
        .value_kind:     by_value
      - .offset:         236
        .size:           4
        .value_kind:     by_value
      - .offset:         240
        .size:           4
        .value_kind:     by_value
      - .offset:         244
        .size:           4
        .value_kind:     by_value
      - .offset:         248
        .size:           4
        .value_kind:     by_value
      - .offset:         252
        .size:           4
        .value_kind:     by_value
      - .offset:         256
        .size:           4
        .value_kind:     by_value
      - .offset:         260
        .size:           4
        .value_kind:     by_value
      - .offset:         264
        .size:           4
        .value_kind:     by_value
      - .offset:         268
        .size:           4
        .value_kind:     by_value
      - .offset:         272
        .size:           4
        .value_kind:     hidden_block_count_x
      - .offset:         276
        .size:           4
        .value_kind:     hidden_block_count_y
      - .offset:         280
        .size:           4
        .value_kind:     hidden_block_count_z
      - .offset:         284
        .size:           2
        .value_kind:     hidden_group_size_x
      - .offset:         286
        .size:           2
        .value_kind:     hidden_group_size_y
      - .offset:         288
        .size:           2
        .value_kind:     hidden_group_size_z
      - .offset:         290
        .size:           2
        .value_kind:     hidden_remainder_x
      - .offset:         292
        .size:           2
        .value_kind:     hidden_remainder_y
      - .offset:         294
        .size:           2
        .value_kind:     hidden_remainder_z
      - .offset:         312
        .size:           8
        .value_kind:     hidden_global_offset_x
      - .offset:         320
        .size:           8
        .value_kind:     hidden_global_offset_y
      - .offset:         328
        .size:           8
        .value_kind:     hidden_global_offset_z
      - .offset:         336
        .size:           2
        .value_kind:     hidden_grid_dims
    .group_segment_fixed_size: 0
    .kernarg_segment_align: 8
    .kernarg_segment_size: 528
    .language:       OpenCL C
    .language_version:
      - 2
      - 0
    .max_flat_workgroup_size: 1024
    .name:           naive_conv_ab_nonpacked_bwd_ndhwc_half_double_half_0
    .private_segment_fixed_size: 0
    .sgpr_count:     102
    .sgpr_spill_count: 0
    .symbol:         naive_conv_ab_nonpacked_bwd_ndhwc_half_double_half_0.kd
    .uniform_work_group_size: 1
    .uses_dynamic_stack: false
    .vgpr_count:     32
    .vgpr_spill_count: 0
    .wavefront_size: 64
  - .agpr_count:     0
    .args:
      - .address_space:  global
        .offset:         0
        .size:           8
        .value_kind:     global_buffer
      - .actual_access:  read_only
        .address_space:  global
        .offset:         8
        .size:           8
        .value_kind:     global_buffer
      - .offset:         16
        .size:           8
        .value_kind:     by_value
      - .offset:         24
        .size:           8
        .value_kind:     by_value
      - .actual_access:  read_only
        .address_space:  global
        .offset:         32
        .size:           8
        .value_kind:     global_buffer
      - .offset:         40
        .size:           48
        .value_kind:     by_value
      - .offset:         88
        .size:           48
        .value_kind:     by_value
      - .offset:         136
        .size:           48
        .value_kind:     by_value
      - .offset:         184
        .size:           4
        .value_kind:     by_value
      - .offset:         188
        .size:           4
        .value_kind:     by_value
      - .offset:         192
        .size:           4
        .value_kind:     by_value
      - .offset:         196
        .size:           4
        .value_kind:     by_value
      - .offset:         200
        .size:           4
        .value_kind:     by_value
      - .offset:         204
        .size:           4
        .value_kind:     by_value
      - .offset:         208
        .size:           4
        .value_kind:     by_value
      - .offset:         212
        .size:           4
        .value_kind:     by_value
      - .offset:         216
        .size:           4
        .value_kind:     by_value
      - .offset:         220
        .size:           4
        .value_kind:     by_value
      - .offset:         224
        .size:           4
        .value_kind:     by_value
      - .offset:         228
        .size:           4
        .value_kind:     by_value
      - .offset:         232
        .size:           4
        .value_kind:     by_value
      - .offset:         236
        .size:           4
        .value_kind:     by_value
      - .offset:         240
        .size:           4
        .value_kind:     by_value
      - .offset:         244
        .size:           4
        .value_kind:     by_value
      - .offset:         248
        .size:           4
        .value_kind:     by_value
      - .offset:         252
        .size:           4
        .value_kind:     by_value
      - .offset:         256
        .size:           4
        .value_kind:     by_value
      - .offset:         260
        .size:           4
        .value_kind:     by_value
      - .offset:         264
        .size:           4
        .value_kind:     by_value
      - .offset:         268
        .size:           4
        .value_kind:     by_value
      - .offset:         272
        .size:           4
        .value_kind:     hidden_block_count_x
      - .offset:         276
        .size:           4
        .value_kind:     hidden_block_count_y
      - .offset:         280
        .size:           4
        .value_kind:     hidden_block_count_z
      - .offset:         284
        .size:           2
        .value_kind:     hidden_group_size_x
      - .offset:         286
        .size:           2
        .value_kind:     hidden_group_size_y
      - .offset:         288
        .size:           2
        .value_kind:     hidden_group_size_z
      - .offset:         290
        .size:           2
        .value_kind:     hidden_remainder_x
      - .offset:         292
        .size:           2
        .value_kind:     hidden_remainder_y
      - .offset:         294
        .size:           2
        .value_kind:     hidden_remainder_z
      - .offset:         312
        .size:           8
        .value_kind:     hidden_global_offset_x
      - .offset:         320
        .size:           8
        .value_kind:     hidden_global_offset_y
      - .offset:         328
        .size:           8
        .value_kind:     hidden_global_offset_z
      - .offset:         336
        .size:           2
        .value_kind:     hidden_grid_dims
    .group_segment_fixed_size: 0
    .kernarg_segment_align: 8
    .kernarg_segment_size: 528
    .language:       OpenCL C
    .language_version:
      - 2
      - 0
    .max_flat_workgroup_size: 1024
    .name:           naive_conv_ab_packed_bwd_ndhwc_ushort_double_ushort_0
    .private_segment_fixed_size: 0
    .sgpr_count:     88
    .sgpr_spill_count: 0
    .symbol:         naive_conv_ab_packed_bwd_ndhwc_ushort_double_ushort_0.kd
    .uniform_work_group_size: 1
    .uses_dynamic_stack: false
    .vgpr_count:     32
    .vgpr_spill_count: 0
    .wavefront_size: 64
  - .agpr_count:     0
    .args:
      - .address_space:  global
        .offset:         0
        .size:           8
        .value_kind:     global_buffer
      - .actual_access:  read_only
        .address_space:  global
        .offset:         8
        .size:           8
        .value_kind:     global_buffer
      - .offset:         16
        .size:           8
        .value_kind:     by_value
      - .offset:         24
        .size:           8
        .value_kind:     by_value
      - .actual_access:  read_only
        .address_space:  global
        .offset:         32
        .size:           8
        .value_kind:     global_buffer
      - .offset:         40
        .size:           48
        .value_kind:     by_value
      - .offset:         88
        .size:           48
        .value_kind:     by_value
      - .offset:         136
        .size:           48
        .value_kind:     by_value
      - .offset:         184
        .size:           4
        .value_kind:     by_value
      - .offset:         188
        .size:           4
        .value_kind:     by_value
      - .offset:         192
        .size:           4
        .value_kind:     by_value
      - .offset:         196
        .size:           4
        .value_kind:     by_value
      - .offset:         200
        .size:           4
        .value_kind:     by_value
      - .offset:         204
        .size:           4
        .value_kind:     by_value
      - .offset:         208
        .size:           4
        .value_kind:     by_value
      - .offset:         212
        .size:           4
        .value_kind:     by_value
      - .offset:         216
        .size:           4
        .value_kind:     by_value
      - .offset:         220
        .size:           4
        .value_kind:     by_value
      - .offset:         224
        .size:           4
        .value_kind:     by_value
      - .offset:         228
        .size:           4
        .value_kind:     by_value
      - .offset:         232
        .size:           4
        .value_kind:     by_value
      - .offset:         236
        .size:           4
        .value_kind:     by_value
      - .offset:         240
        .size:           4
        .value_kind:     by_value
      - .offset:         244
        .size:           4
        .value_kind:     by_value
      - .offset:         248
        .size:           4
        .value_kind:     by_value
      - .offset:         252
        .size:           4
        .value_kind:     by_value
      - .offset:         256
        .size:           4
        .value_kind:     by_value
      - .offset:         260
        .size:           4
        .value_kind:     by_value
      - .offset:         264
        .size:           4
        .value_kind:     by_value
      - .offset:         268
        .size:           4
        .value_kind:     by_value
      - .offset:         272
        .size:           4
        .value_kind:     hidden_block_count_x
      - .offset:         276
        .size:           4
        .value_kind:     hidden_block_count_y
      - .offset:         280
        .size:           4
        .value_kind:     hidden_block_count_z
      - .offset:         284
        .size:           2
        .value_kind:     hidden_group_size_x
      - .offset:         286
        .size:           2
        .value_kind:     hidden_group_size_y
      - .offset:         288
        .size:           2
        .value_kind:     hidden_group_size_z
      - .offset:         290
        .size:           2
        .value_kind:     hidden_remainder_x
      - .offset:         292
        .size:           2
        .value_kind:     hidden_remainder_y
      - .offset:         294
        .size:           2
        .value_kind:     hidden_remainder_z
      - .offset:         312
        .size:           8
        .value_kind:     hidden_global_offset_x
      - .offset:         320
        .size:           8
        .value_kind:     hidden_global_offset_y
      - .offset:         328
        .size:           8
        .value_kind:     hidden_global_offset_z
      - .offset:         336
        .size:           2
        .value_kind:     hidden_grid_dims
    .group_segment_fixed_size: 0
    .kernarg_segment_align: 8
    .kernarg_segment_size: 528
    .language:       OpenCL C
    .language_version:
      - 2
      - 0
    .max_flat_workgroup_size: 1024
    .name:           naive_conv_ab_nonpacked_bwd_ndhwc_ushort_double_ushort_0
    .private_segment_fixed_size: 0
    .sgpr_count:     102
    .sgpr_spill_count: 0
    .symbol:         naive_conv_ab_nonpacked_bwd_ndhwc_ushort_double_ushort_0.kd
    .uniform_work_group_size: 1
    .uses_dynamic_stack: false
    .vgpr_count:     32
    .vgpr_spill_count: 0
    .wavefront_size: 64
  - .agpr_count:     0
    .args:
      - .actual_access:  read_only
        .address_space:  global
        .offset:         0
        .size:           8
        .value_kind:     global_buffer
      - .address_space:  global
        .offset:         8
        .size:           8
        .value_kind:     global_buffer
      - .offset:         16
        .size:           8
        .value_kind:     by_value
      - .offset:         24
        .size:           8
        .value_kind:     by_value
      - .actual_access:  read_only
        .address_space:  global
        .offset:         32
        .size:           8
        .value_kind:     global_buffer
      - .offset:         40
        .size:           48
        .value_kind:     by_value
      - .offset:         88
        .size:           48
        .value_kind:     by_value
      - .offset:         136
        .size:           48
        .value_kind:     by_value
      - .offset:         184
        .size:           4
        .value_kind:     by_value
      - .offset:         188
        .size:           4
        .value_kind:     by_value
      - .offset:         192
        .size:           4
        .value_kind:     by_value
      - .offset:         196
        .size:           4
        .value_kind:     by_value
      - .offset:         200
        .size:           4
        .value_kind:     by_value
      - .offset:         204
        .size:           4
        .value_kind:     by_value
      - .offset:         208
        .size:           4
        .value_kind:     by_value
      - .offset:         212
        .size:           4
        .value_kind:     by_value
      - .offset:         216
        .size:           4
        .value_kind:     by_value
      - .offset:         220
        .size:           4
        .value_kind:     by_value
      - .offset:         224
        .size:           4
        .value_kind:     by_value
      - .offset:         228
        .size:           4
        .value_kind:     by_value
      - .offset:         232
        .size:           4
        .value_kind:     by_value
      - .offset:         236
        .size:           4
        .value_kind:     by_value
      - .offset:         240
        .size:           4
        .value_kind:     by_value
      - .offset:         244
        .size:           4
        .value_kind:     by_value
      - .offset:         248
        .size:           4
        .value_kind:     by_value
      - .offset:         252
        .size:           4
        .value_kind:     by_value
      - .offset:         256
        .size:           4
        .value_kind:     by_value
      - .offset:         260
        .size:           4
        .value_kind:     by_value
      - .offset:         264
        .size:           4
        .value_kind:     by_value
      - .offset:         268
        .size:           4
        .value_kind:     by_value
      - .offset:         272
        .size:           4
        .value_kind:     hidden_block_count_x
      - .offset:         276
        .size:           4
        .value_kind:     hidden_block_count_y
      - .offset:         280
        .size:           4
        .value_kind:     hidden_block_count_z
      - .offset:         284
        .size:           2
        .value_kind:     hidden_group_size_x
      - .offset:         286
        .size:           2
        .value_kind:     hidden_group_size_y
      - .offset:         288
        .size:           2
        .value_kind:     hidden_group_size_z
      - .offset:         290
        .size:           2
        .value_kind:     hidden_remainder_x
      - .offset:         292
        .size:           2
        .value_kind:     hidden_remainder_y
      - .offset:         294
        .size:           2
        .value_kind:     hidden_remainder_z
      - .offset:         312
        .size:           8
        .value_kind:     hidden_global_offset_x
      - .offset:         320
        .size:           8
        .value_kind:     hidden_global_offset_y
      - .offset:         328
        .size:           8
        .value_kind:     hidden_global_offset_z
      - .offset:         336
        .size:           2
        .value_kind:     hidden_grid_dims
    .group_segment_fixed_size: 0
    .kernarg_segment_align: 8
    .kernarg_segment_size: 528
    .language:       OpenCL C
    .language_version:
      - 2
      - 0
    .max_flat_workgroup_size: 1024
    .name:           naive_conv_ab_packed_wrw_ncdhw_float_double_float_0
    .private_segment_fixed_size: 0
    .sgpr_count:     92
    .sgpr_spill_count: 0
    .symbol:         naive_conv_ab_packed_wrw_ncdhw_float_double_float_0.kd
    .uniform_work_group_size: 1
    .uses_dynamic_stack: false
    .vgpr_count:     28
    .vgpr_spill_count: 0
    .wavefront_size: 64
  - .agpr_count:     0
    .args:
      - .actual_access:  read_only
        .address_space:  global
        .offset:         0
        .size:           8
        .value_kind:     global_buffer
      - .address_space:  global
        .offset:         8
        .size:           8
        .value_kind:     global_buffer
      - .offset:         16
        .size:           8
        .value_kind:     by_value
      - .offset:         24
        .size:           8
        .value_kind:     by_value
      - .actual_access:  read_only
        .address_space:  global
        .offset:         32
        .size:           8
        .value_kind:     global_buffer
      - .offset:         40
        .size:           48
        .value_kind:     by_value
      - .offset:         88
        .size:           48
        .value_kind:     by_value
      - .offset:         136
        .size:           48
        .value_kind:     by_value
      - .offset:         184
        .size:           4
        .value_kind:     by_value
      - .offset:         188
        .size:           4
        .value_kind:     by_value
      - .offset:         192
        .size:           4
        .value_kind:     by_value
      - .offset:         196
        .size:           4
        .value_kind:     by_value
      - .offset:         200
        .size:           4
        .value_kind:     by_value
      - .offset:         204
        .size:           4
        .value_kind:     by_value
      - .offset:         208
        .size:           4
        .value_kind:     by_value
      - .offset:         212
        .size:           4
        .value_kind:     by_value
      - .offset:         216
        .size:           4
        .value_kind:     by_value
      - .offset:         220
        .size:           4
        .value_kind:     by_value
      - .offset:         224
        .size:           4
        .value_kind:     by_value
      - .offset:         228
        .size:           4
        .value_kind:     by_value
      - .offset:         232
        .size:           4
        .value_kind:     by_value
      - .offset:         236
        .size:           4
        .value_kind:     by_value
      - .offset:         240
        .size:           4
        .value_kind:     by_value
      - .offset:         244
        .size:           4
        .value_kind:     by_value
      - .offset:         248
        .size:           4
        .value_kind:     by_value
      - .offset:         252
        .size:           4
        .value_kind:     by_value
      - .offset:         256
        .size:           4
        .value_kind:     by_value
      - .offset:         260
        .size:           4
        .value_kind:     by_value
      - .offset:         264
        .size:           4
        .value_kind:     by_value
      - .offset:         268
        .size:           4
        .value_kind:     by_value
      - .offset:         272
        .size:           4
        .value_kind:     hidden_block_count_x
      - .offset:         276
        .size:           4
        .value_kind:     hidden_block_count_y
      - .offset:         280
        .size:           4
        .value_kind:     hidden_block_count_z
      - .offset:         284
        .size:           2
        .value_kind:     hidden_group_size_x
      - .offset:         286
        .size:           2
        .value_kind:     hidden_group_size_y
      - .offset:         288
        .size:           2
        .value_kind:     hidden_group_size_z
      - .offset:         290
        .size:           2
        .value_kind:     hidden_remainder_x
      - .offset:         292
        .size:           2
        .value_kind:     hidden_remainder_y
      - .offset:         294
        .size:           2
        .value_kind:     hidden_remainder_z
      - .offset:         312
        .size:           8
        .value_kind:     hidden_global_offset_x
      - .offset:         320
        .size:           8
        .value_kind:     hidden_global_offset_y
      - .offset:         328
        .size:           8
        .value_kind:     hidden_global_offset_z
      - .offset:         336
        .size:           2
        .value_kind:     hidden_grid_dims
    .group_segment_fixed_size: 0
    .kernarg_segment_align: 8
    .kernarg_segment_size: 528
    .language:       OpenCL C
    .language_version:
      - 2
      - 0
    .max_flat_workgroup_size: 1024
    .name:           naive_conv_ab_nonpacked_wrw_ncdhw_float_double_float_0
    .private_segment_fixed_size: 0
    .sgpr_count:     102
    .sgpr_spill_count: 0
    .symbol:         naive_conv_ab_nonpacked_wrw_ncdhw_float_double_float_0.kd
    .uniform_work_group_size: 1
    .uses_dynamic_stack: false
    .vgpr_count:     30
    .vgpr_spill_count: 0
    .wavefront_size: 64
  - .agpr_count:     0
    .args:
      - .actual_access:  read_only
        .address_space:  global
        .offset:         0
        .size:           8
        .value_kind:     global_buffer
      - .address_space:  global
        .offset:         8
        .size:           8
        .value_kind:     global_buffer
      - .offset:         16
        .size:           8
        .value_kind:     by_value
      - .offset:         24
        .size:           8
        .value_kind:     by_value
      - .actual_access:  read_only
        .address_space:  global
        .offset:         32
        .size:           8
        .value_kind:     global_buffer
      - .offset:         40
        .size:           48
        .value_kind:     by_value
      - .offset:         88
        .size:           48
        .value_kind:     by_value
      - .offset:         136
        .size:           48
        .value_kind:     by_value
      - .offset:         184
        .size:           4
        .value_kind:     by_value
      - .offset:         188
        .size:           4
        .value_kind:     by_value
      - .offset:         192
        .size:           4
        .value_kind:     by_value
      - .offset:         196
        .size:           4
        .value_kind:     by_value
      - .offset:         200
        .size:           4
        .value_kind:     by_value
      - .offset:         204
        .size:           4
        .value_kind:     by_value
      - .offset:         208
        .size:           4
        .value_kind:     by_value
      - .offset:         212
        .size:           4
        .value_kind:     by_value
      - .offset:         216
        .size:           4
        .value_kind:     by_value
      - .offset:         220
        .size:           4
        .value_kind:     by_value
      - .offset:         224
        .size:           4
        .value_kind:     by_value
      - .offset:         228
        .size:           4
        .value_kind:     by_value
      - .offset:         232
        .size:           4
        .value_kind:     by_value
      - .offset:         236
        .size:           4
        .value_kind:     by_value
      - .offset:         240
        .size:           4
        .value_kind:     by_value
      - .offset:         244
        .size:           4
        .value_kind:     by_value
      - .offset:         248
        .size:           4
        .value_kind:     by_value
      - .offset:         252
        .size:           4
        .value_kind:     by_value
      - .offset:         256
        .size:           4
        .value_kind:     by_value
      - .offset:         260
        .size:           4
        .value_kind:     by_value
      - .offset:         264
        .size:           4
        .value_kind:     by_value
      - .offset:         268
        .size:           4
        .value_kind:     by_value
      - .offset:         272
        .size:           4
        .value_kind:     hidden_block_count_x
      - .offset:         276
        .size:           4
        .value_kind:     hidden_block_count_y
      - .offset:         280
        .size:           4
        .value_kind:     hidden_block_count_z
      - .offset:         284
        .size:           2
        .value_kind:     hidden_group_size_x
      - .offset:         286
        .size:           2
        .value_kind:     hidden_group_size_y
      - .offset:         288
        .size:           2
        .value_kind:     hidden_group_size_z
      - .offset:         290
        .size:           2
        .value_kind:     hidden_remainder_x
      - .offset:         292
        .size:           2
        .value_kind:     hidden_remainder_y
      - .offset:         294
        .size:           2
        .value_kind:     hidden_remainder_z
      - .offset:         312
        .size:           8
        .value_kind:     hidden_global_offset_x
      - .offset:         320
        .size:           8
        .value_kind:     hidden_global_offset_y
      - .offset:         328
        .size:           8
        .value_kind:     hidden_global_offset_z
      - .offset:         336
        .size:           2
        .value_kind:     hidden_grid_dims
    .group_segment_fixed_size: 0
    .kernarg_segment_align: 8
    .kernarg_segment_size: 528
    .language:       OpenCL C
    .language_version:
      - 2
      - 0
    .max_flat_workgroup_size: 1024
    .name:           naive_conv_ab_packed_wrw_ncdhw_float_double_float_1
    .private_segment_fixed_size: 0
    .sgpr_count:     92
    .sgpr_spill_count: 0
    .symbol:         naive_conv_ab_packed_wrw_ncdhw_float_double_float_1.kd
    .uniform_work_group_size: 1
    .uses_dynamic_stack: false
    .vgpr_count:     28
    .vgpr_spill_count: 0
    .wavefront_size: 64
  - .agpr_count:     0
    .args:
      - .actual_access:  read_only
        .address_space:  global
        .offset:         0
        .size:           8
        .value_kind:     global_buffer
      - .address_space:  global
        .offset:         8
        .size:           8
        .value_kind:     global_buffer
      - .offset:         16
        .size:           8
        .value_kind:     by_value
      - .offset:         24
        .size:           8
        .value_kind:     by_value
      - .actual_access:  read_only
        .address_space:  global
        .offset:         32
        .size:           8
        .value_kind:     global_buffer
      - .offset:         40
        .size:           48
        .value_kind:     by_value
      - .offset:         88
        .size:           48
        .value_kind:     by_value
      - .offset:         136
        .size:           48
        .value_kind:     by_value
      - .offset:         184
        .size:           4
        .value_kind:     by_value
      - .offset:         188
        .size:           4
        .value_kind:     by_value
      - .offset:         192
        .size:           4
        .value_kind:     by_value
      - .offset:         196
        .size:           4
        .value_kind:     by_value
      - .offset:         200
        .size:           4
        .value_kind:     by_value
      - .offset:         204
        .size:           4
        .value_kind:     by_value
      - .offset:         208
        .size:           4
        .value_kind:     by_value
      - .offset:         212
        .size:           4
        .value_kind:     by_value
      - .offset:         216
        .size:           4
        .value_kind:     by_value
      - .offset:         220
        .size:           4
        .value_kind:     by_value
      - .offset:         224
        .size:           4
        .value_kind:     by_value
      - .offset:         228
        .size:           4
        .value_kind:     by_value
      - .offset:         232
        .size:           4
        .value_kind:     by_value
      - .offset:         236
        .size:           4
        .value_kind:     by_value
      - .offset:         240
        .size:           4
        .value_kind:     by_value
      - .offset:         244
        .size:           4
        .value_kind:     by_value
      - .offset:         248
        .size:           4
        .value_kind:     by_value
      - .offset:         252
        .size:           4
        .value_kind:     by_value
      - .offset:         256
        .size:           4
        .value_kind:     by_value
      - .offset:         260
        .size:           4
        .value_kind:     by_value
      - .offset:         264
        .size:           4
        .value_kind:     by_value
      - .offset:         268
        .size:           4
        .value_kind:     by_value
      - .offset:         272
        .size:           4
        .value_kind:     hidden_block_count_x
      - .offset:         276
        .size:           4
        .value_kind:     hidden_block_count_y
      - .offset:         280
        .size:           4
        .value_kind:     hidden_block_count_z
      - .offset:         284
        .size:           2
        .value_kind:     hidden_group_size_x
      - .offset:         286
        .size:           2
        .value_kind:     hidden_group_size_y
      - .offset:         288
        .size:           2
        .value_kind:     hidden_group_size_z
      - .offset:         290
        .size:           2
        .value_kind:     hidden_remainder_x
      - .offset:         292
        .size:           2
        .value_kind:     hidden_remainder_y
      - .offset:         294
        .size:           2
        .value_kind:     hidden_remainder_z
      - .offset:         312
        .size:           8
        .value_kind:     hidden_global_offset_x
      - .offset:         320
        .size:           8
        .value_kind:     hidden_global_offset_y
      - .offset:         328
        .size:           8
        .value_kind:     hidden_global_offset_z
      - .offset:         336
        .size:           2
        .value_kind:     hidden_grid_dims
    .group_segment_fixed_size: 0
    .kernarg_segment_align: 8
    .kernarg_segment_size: 528
    .language:       OpenCL C
    .language_version:
      - 2
      - 0
    .max_flat_workgroup_size: 1024
    .name:           naive_conv_ab_nonpacked_wrw_ncdhw_float_double_float_1
    .private_segment_fixed_size: 0
    .sgpr_count:     102
    .sgpr_spill_count: 0
    .symbol:         naive_conv_ab_nonpacked_wrw_ncdhw_float_double_float_1.kd
    .uniform_work_group_size: 1
    .uses_dynamic_stack: false
    .vgpr_count:     30
    .vgpr_spill_count: 0
    .wavefront_size: 64
  - .agpr_count:     0
    .args:
      - .actual_access:  read_only
        .address_space:  global
        .offset:         0
        .size:           8
        .value_kind:     global_buffer
      - .address_space:  global
        .offset:         8
        .size:           8
        .value_kind:     global_buffer
      - .offset:         16
        .size:           8
        .value_kind:     by_value
      - .offset:         24
        .size:           8
        .value_kind:     by_value
      - .actual_access:  read_only
        .address_space:  global
        .offset:         32
        .size:           8
        .value_kind:     global_buffer
      - .offset:         40
        .size:           48
        .value_kind:     by_value
      - .offset:         88
        .size:           48
        .value_kind:     by_value
      - .offset:         136
        .size:           48
        .value_kind:     by_value
      - .offset:         184
        .size:           4
        .value_kind:     by_value
      - .offset:         188
        .size:           4
        .value_kind:     by_value
      - .offset:         192
        .size:           4
        .value_kind:     by_value
      - .offset:         196
        .size:           4
        .value_kind:     by_value
      - .offset:         200
        .size:           4
        .value_kind:     by_value
      - .offset:         204
        .size:           4
        .value_kind:     by_value
      - .offset:         208
        .size:           4
        .value_kind:     by_value
      - .offset:         212
        .size:           4
        .value_kind:     by_value
      - .offset:         216
        .size:           4
        .value_kind:     by_value
      - .offset:         220
        .size:           4
        .value_kind:     by_value
      - .offset:         224
        .size:           4
        .value_kind:     by_value
      - .offset:         228
        .size:           4
        .value_kind:     by_value
      - .offset:         232
        .size:           4
        .value_kind:     by_value
      - .offset:         236
        .size:           4
        .value_kind:     by_value
      - .offset:         240
        .size:           4
        .value_kind:     by_value
      - .offset:         244
        .size:           4
        .value_kind:     by_value
      - .offset:         248
        .size:           4
        .value_kind:     by_value
      - .offset:         252
        .size:           4
        .value_kind:     by_value
      - .offset:         256
        .size:           4
        .value_kind:     by_value
      - .offset:         260
        .size:           4
        .value_kind:     by_value
      - .offset:         264
        .size:           4
        .value_kind:     by_value
      - .offset:         268
        .size:           4
        .value_kind:     by_value
      - .offset:         272
        .size:           4
        .value_kind:     hidden_block_count_x
      - .offset:         276
        .size:           4
        .value_kind:     hidden_block_count_y
      - .offset:         280
        .size:           4
        .value_kind:     hidden_block_count_z
      - .offset:         284
        .size:           2
        .value_kind:     hidden_group_size_x
      - .offset:         286
        .size:           2
        .value_kind:     hidden_group_size_y
      - .offset:         288
        .size:           2
        .value_kind:     hidden_group_size_z
      - .offset:         290
        .size:           2
        .value_kind:     hidden_remainder_x
      - .offset:         292
        .size:           2
        .value_kind:     hidden_remainder_y
      - .offset:         294
        .size:           2
        .value_kind:     hidden_remainder_z
      - .offset:         312
        .size:           8
        .value_kind:     hidden_global_offset_x
      - .offset:         320
        .size:           8
        .value_kind:     hidden_global_offset_y
      - .offset:         328
        .size:           8
        .value_kind:     hidden_global_offset_z
      - .offset:         336
        .size:           2
        .value_kind:     hidden_grid_dims
    .group_segment_fixed_size: 0
    .kernarg_segment_align: 8
    .kernarg_segment_size: 528
    .language:       OpenCL C
    .language_version:
      - 2
      - 0
    .max_flat_workgroup_size: 1024
    .name:           naive_conv_ab_packed_wrw_ncdhw_half_double_half_0
    .private_segment_fixed_size: 0
    .sgpr_count:     92
    .sgpr_spill_count: 0
    .symbol:         naive_conv_ab_packed_wrw_ncdhw_half_double_half_0.kd
    .uniform_work_group_size: 1
    .uses_dynamic_stack: false
    .vgpr_count:     28
    .vgpr_spill_count: 0
    .wavefront_size: 64
  - .agpr_count:     0
    .args:
      - .actual_access:  read_only
        .address_space:  global
        .offset:         0
        .size:           8
        .value_kind:     global_buffer
      - .address_space:  global
        .offset:         8
        .size:           8
        .value_kind:     global_buffer
      - .offset:         16
        .size:           8
        .value_kind:     by_value
      - .offset:         24
        .size:           8
        .value_kind:     by_value
      - .actual_access:  read_only
        .address_space:  global
        .offset:         32
        .size:           8
        .value_kind:     global_buffer
      - .offset:         40
        .size:           48
        .value_kind:     by_value
      - .offset:         88
        .size:           48
        .value_kind:     by_value
      - .offset:         136
        .size:           48
        .value_kind:     by_value
      - .offset:         184
        .size:           4
        .value_kind:     by_value
      - .offset:         188
        .size:           4
        .value_kind:     by_value
      - .offset:         192
        .size:           4
        .value_kind:     by_value
      - .offset:         196
        .size:           4
        .value_kind:     by_value
      - .offset:         200
        .size:           4
        .value_kind:     by_value
      - .offset:         204
        .size:           4
        .value_kind:     by_value
      - .offset:         208
        .size:           4
        .value_kind:     by_value
      - .offset:         212
        .size:           4
        .value_kind:     by_value
      - .offset:         216
        .size:           4
        .value_kind:     by_value
      - .offset:         220
        .size:           4
        .value_kind:     by_value
      - .offset:         224
        .size:           4
        .value_kind:     by_value
      - .offset:         228
        .size:           4
        .value_kind:     by_value
      - .offset:         232
        .size:           4
        .value_kind:     by_value
      - .offset:         236
        .size:           4
        .value_kind:     by_value
      - .offset:         240
        .size:           4
        .value_kind:     by_value
      - .offset:         244
        .size:           4
        .value_kind:     by_value
      - .offset:         248
        .size:           4
        .value_kind:     by_value
      - .offset:         252
        .size:           4
        .value_kind:     by_value
      - .offset:         256
        .size:           4
        .value_kind:     by_value
      - .offset:         260
        .size:           4
        .value_kind:     by_value
      - .offset:         264
        .size:           4
        .value_kind:     by_value
      - .offset:         268
        .size:           4
        .value_kind:     by_value
      - .offset:         272
        .size:           4
        .value_kind:     hidden_block_count_x
      - .offset:         276
        .size:           4
        .value_kind:     hidden_block_count_y
      - .offset:         280
        .size:           4
        .value_kind:     hidden_block_count_z
      - .offset:         284
        .size:           2
        .value_kind:     hidden_group_size_x
      - .offset:         286
        .size:           2
        .value_kind:     hidden_group_size_y
      - .offset:         288
        .size:           2
        .value_kind:     hidden_group_size_z
      - .offset:         290
        .size:           2
        .value_kind:     hidden_remainder_x
      - .offset:         292
        .size:           2
        .value_kind:     hidden_remainder_y
      - .offset:         294
        .size:           2
        .value_kind:     hidden_remainder_z
      - .offset:         312
        .size:           8
        .value_kind:     hidden_global_offset_x
      - .offset:         320
        .size:           8
        .value_kind:     hidden_global_offset_y
      - .offset:         328
        .size:           8
        .value_kind:     hidden_global_offset_z
      - .offset:         336
        .size:           2
        .value_kind:     hidden_grid_dims
    .group_segment_fixed_size: 0
    .kernarg_segment_align: 8
    .kernarg_segment_size: 528
    .language:       OpenCL C
    .language_version:
      - 2
      - 0
    .max_flat_workgroup_size: 1024
    .name:           naive_conv_ab_nonpacked_wrw_ncdhw_half_double_half_0
    .private_segment_fixed_size: 0
    .sgpr_count:     102
    .sgpr_spill_count: 0
    .symbol:         naive_conv_ab_nonpacked_wrw_ncdhw_half_double_half_0.kd
    .uniform_work_group_size: 1
    .uses_dynamic_stack: false
    .vgpr_count:     30
    .vgpr_spill_count: 0
    .wavefront_size: 64
  - .agpr_count:     0
    .args:
      - .actual_access:  read_only
        .address_space:  global
        .offset:         0
        .size:           8
        .value_kind:     global_buffer
      - .address_space:  global
        .offset:         8
        .size:           8
        .value_kind:     global_buffer
      - .offset:         16
        .size:           8
        .value_kind:     by_value
      - .offset:         24
        .size:           8
        .value_kind:     by_value
      - .actual_access:  read_only
        .address_space:  global
        .offset:         32
        .size:           8
        .value_kind:     global_buffer
      - .offset:         40
        .size:           48
        .value_kind:     by_value
      - .offset:         88
        .size:           48
        .value_kind:     by_value
      - .offset:         136
        .size:           48
        .value_kind:     by_value
      - .offset:         184
        .size:           4
        .value_kind:     by_value
      - .offset:         188
        .size:           4
        .value_kind:     by_value
      - .offset:         192
        .size:           4
        .value_kind:     by_value
      - .offset:         196
        .size:           4
        .value_kind:     by_value
      - .offset:         200
        .size:           4
        .value_kind:     by_value
      - .offset:         204
        .size:           4
        .value_kind:     by_value
      - .offset:         208
        .size:           4
        .value_kind:     by_value
      - .offset:         212
        .size:           4
        .value_kind:     by_value
      - .offset:         216
        .size:           4
        .value_kind:     by_value
      - .offset:         220
        .size:           4
        .value_kind:     by_value
      - .offset:         224
        .size:           4
        .value_kind:     by_value
      - .offset:         228
        .size:           4
        .value_kind:     by_value
      - .offset:         232
        .size:           4
        .value_kind:     by_value
      - .offset:         236
        .size:           4
        .value_kind:     by_value
      - .offset:         240
        .size:           4
        .value_kind:     by_value
      - .offset:         244
        .size:           4
        .value_kind:     by_value
      - .offset:         248
        .size:           4
        .value_kind:     by_value
      - .offset:         252
        .size:           4
        .value_kind:     by_value
      - .offset:         256
        .size:           4
        .value_kind:     by_value
      - .offset:         260
        .size:           4
        .value_kind:     by_value
      - .offset:         264
        .size:           4
        .value_kind:     by_value
      - .offset:         268
        .size:           4
        .value_kind:     by_value
      - .offset:         272
        .size:           4
        .value_kind:     hidden_block_count_x
      - .offset:         276
        .size:           4
        .value_kind:     hidden_block_count_y
      - .offset:         280
        .size:           4
        .value_kind:     hidden_block_count_z
      - .offset:         284
        .size:           2
        .value_kind:     hidden_group_size_x
      - .offset:         286
        .size:           2
        .value_kind:     hidden_group_size_y
      - .offset:         288
        .size:           2
        .value_kind:     hidden_group_size_z
      - .offset:         290
        .size:           2
        .value_kind:     hidden_remainder_x
      - .offset:         292
        .size:           2
        .value_kind:     hidden_remainder_y
      - .offset:         294
        .size:           2
        .value_kind:     hidden_remainder_z
      - .offset:         312
        .size:           8
        .value_kind:     hidden_global_offset_x
      - .offset:         320
        .size:           8
        .value_kind:     hidden_global_offset_y
      - .offset:         328
        .size:           8
        .value_kind:     hidden_global_offset_z
      - .offset:         336
        .size:           2
        .value_kind:     hidden_grid_dims
    .group_segment_fixed_size: 0
    .kernarg_segment_align: 8
    .kernarg_segment_size: 528
    .language:       OpenCL C
    .language_version:
      - 2
      - 0
    .max_flat_workgroup_size: 1024
    .name:           naive_conv_ab_packed_wrw_ncdhw_ushort_double_ushort_0
    .private_segment_fixed_size: 0
    .sgpr_count:     92
    .sgpr_spill_count: 0
    .symbol:         naive_conv_ab_packed_wrw_ncdhw_ushort_double_ushort_0.kd
    .uniform_work_group_size: 1
    .uses_dynamic_stack: false
    .vgpr_count:     28
    .vgpr_spill_count: 0
    .wavefront_size: 64
  - .agpr_count:     0
    .args:
      - .actual_access:  read_only
        .address_space:  global
        .offset:         0
        .size:           8
        .value_kind:     global_buffer
      - .address_space:  global
        .offset:         8
        .size:           8
        .value_kind:     global_buffer
      - .offset:         16
        .size:           8
        .value_kind:     by_value
      - .offset:         24
        .size:           8
        .value_kind:     by_value
      - .actual_access:  read_only
        .address_space:  global
        .offset:         32
        .size:           8
        .value_kind:     global_buffer
      - .offset:         40
        .size:           48
        .value_kind:     by_value
      - .offset:         88
        .size:           48
        .value_kind:     by_value
      - .offset:         136
        .size:           48
        .value_kind:     by_value
      - .offset:         184
        .size:           4
        .value_kind:     by_value
      - .offset:         188
        .size:           4
        .value_kind:     by_value
      - .offset:         192
        .size:           4
        .value_kind:     by_value
      - .offset:         196
        .size:           4
        .value_kind:     by_value
      - .offset:         200
        .size:           4
        .value_kind:     by_value
      - .offset:         204
        .size:           4
        .value_kind:     by_value
      - .offset:         208
        .size:           4
        .value_kind:     by_value
      - .offset:         212
        .size:           4
        .value_kind:     by_value
      - .offset:         216
        .size:           4
        .value_kind:     by_value
      - .offset:         220
        .size:           4
        .value_kind:     by_value
      - .offset:         224
        .size:           4
        .value_kind:     by_value
      - .offset:         228
        .size:           4
        .value_kind:     by_value
      - .offset:         232
        .size:           4
        .value_kind:     by_value
      - .offset:         236
        .size:           4
        .value_kind:     by_value
      - .offset:         240
        .size:           4
        .value_kind:     by_value
      - .offset:         244
        .size:           4
        .value_kind:     by_value
      - .offset:         248
        .size:           4
        .value_kind:     by_value
      - .offset:         252
        .size:           4
        .value_kind:     by_value
      - .offset:         256
        .size:           4
        .value_kind:     by_value
      - .offset:         260
        .size:           4
        .value_kind:     by_value
      - .offset:         264
        .size:           4
        .value_kind:     by_value
      - .offset:         268
        .size:           4
        .value_kind:     by_value
      - .offset:         272
        .size:           4
        .value_kind:     hidden_block_count_x
      - .offset:         276
        .size:           4
        .value_kind:     hidden_block_count_y
      - .offset:         280
        .size:           4
        .value_kind:     hidden_block_count_z
      - .offset:         284
        .size:           2
        .value_kind:     hidden_group_size_x
      - .offset:         286
        .size:           2
        .value_kind:     hidden_group_size_y
      - .offset:         288
        .size:           2
        .value_kind:     hidden_group_size_z
      - .offset:         290
        .size:           2
        .value_kind:     hidden_remainder_x
      - .offset:         292
        .size:           2
        .value_kind:     hidden_remainder_y
      - .offset:         294
        .size:           2
        .value_kind:     hidden_remainder_z
      - .offset:         312
        .size:           8
        .value_kind:     hidden_global_offset_x
      - .offset:         320
        .size:           8
        .value_kind:     hidden_global_offset_y
      - .offset:         328
        .size:           8
        .value_kind:     hidden_global_offset_z
      - .offset:         336
        .size:           2
        .value_kind:     hidden_grid_dims
    .group_segment_fixed_size: 0
    .kernarg_segment_align: 8
    .kernarg_segment_size: 528
    .language:       OpenCL C
    .language_version:
      - 2
      - 0
    .max_flat_workgroup_size: 1024
    .name:           naive_conv_ab_nonpacked_wrw_ncdhw_ushort_double_ushort_0
    .private_segment_fixed_size: 0
    .sgpr_count:     104
    .sgpr_spill_count: 0
    .symbol:         naive_conv_ab_nonpacked_wrw_ncdhw_ushort_double_ushort_0.kd
    .uniform_work_group_size: 1
    .uses_dynamic_stack: false
    .vgpr_count:     30
    .vgpr_spill_count: 0
    .wavefront_size: 64
  - .agpr_count:     0
    .args:
      - .actual_access:  read_only
        .address_space:  global
        .offset:         0
        .size:           8
        .value_kind:     global_buffer
      - .address_space:  global
        .offset:         8
        .size:           8
        .value_kind:     global_buffer
      - .offset:         16
        .size:           8
        .value_kind:     by_value
      - .offset:         24
        .size:           8
        .value_kind:     by_value
      - .actual_access:  read_only
        .address_space:  global
        .offset:         32
        .size:           8
        .value_kind:     global_buffer
      - .offset:         40
        .size:           48
        .value_kind:     by_value
      - .offset:         88
        .size:           48
        .value_kind:     by_value
      - .offset:         136
        .size:           48
        .value_kind:     by_value
      - .offset:         184
        .size:           4
        .value_kind:     by_value
      - .offset:         188
        .size:           4
        .value_kind:     by_value
      - .offset:         192
        .size:           4
        .value_kind:     by_value
      - .offset:         196
        .size:           4
        .value_kind:     by_value
      - .offset:         200
        .size:           4
        .value_kind:     by_value
      - .offset:         204
        .size:           4
        .value_kind:     by_value
      - .offset:         208
        .size:           4
        .value_kind:     by_value
      - .offset:         212
        .size:           4
        .value_kind:     by_value
      - .offset:         216
        .size:           4
        .value_kind:     by_value
      - .offset:         220
        .size:           4
        .value_kind:     by_value
      - .offset:         224
        .size:           4
        .value_kind:     by_value
      - .offset:         228
        .size:           4
        .value_kind:     by_value
      - .offset:         232
        .size:           4
        .value_kind:     by_value
      - .offset:         236
        .size:           4
        .value_kind:     by_value
      - .offset:         240
        .size:           4
        .value_kind:     by_value
      - .offset:         244
        .size:           4
        .value_kind:     by_value
      - .offset:         248
        .size:           4
        .value_kind:     by_value
      - .offset:         252
        .size:           4
        .value_kind:     by_value
      - .offset:         256
        .size:           4
        .value_kind:     by_value
      - .offset:         260
        .size:           4
        .value_kind:     by_value
      - .offset:         264
        .size:           4
        .value_kind:     by_value
      - .offset:         268
        .size:           4
        .value_kind:     by_value
      - .offset:         272
        .size:           4
        .value_kind:     hidden_block_count_x
      - .offset:         276
        .size:           4
        .value_kind:     hidden_block_count_y
      - .offset:         280
        .size:           4
        .value_kind:     hidden_block_count_z
      - .offset:         284
        .size:           2
        .value_kind:     hidden_group_size_x
      - .offset:         286
        .size:           2
        .value_kind:     hidden_group_size_y
      - .offset:         288
        .size:           2
        .value_kind:     hidden_group_size_z
      - .offset:         290
        .size:           2
        .value_kind:     hidden_remainder_x
      - .offset:         292
        .size:           2
        .value_kind:     hidden_remainder_y
      - .offset:         294
        .size:           2
        .value_kind:     hidden_remainder_z
      - .offset:         312
        .size:           8
        .value_kind:     hidden_global_offset_x
      - .offset:         320
        .size:           8
        .value_kind:     hidden_global_offset_y
      - .offset:         328
        .size:           8
        .value_kind:     hidden_global_offset_z
      - .offset:         336
        .size:           2
        .value_kind:     hidden_grid_dims
    .group_segment_fixed_size: 0
    .kernarg_segment_align: 8
    .kernarg_segment_size: 528
    .language:       OpenCL C
    .language_version:
      - 2
      - 0
    .max_flat_workgroup_size: 1024
    .name:           naive_conv_ab_packed_wrw_ndhwc_float_double_float_0
    .private_segment_fixed_size: 0
    .sgpr_count:     98
    .sgpr_spill_count: 0
    .symbol:         naive_conv_ab_packed_wrw_ndhwc_float_double_float_0.kd
    .uniform_work_group_size: 1
    .uses_dynamic_stack: false
    .vgpr_count:     28
    .vgpr_spill_count: 0
    .wavefront_size: 64
  - .agpr_count:     0
    .args:
      - .actual_access:  read_only
        .address_space:  global
        .offset:         0
        .size:           8
        .value_kind:     global_buffer
      - .address_space:  global
        .offset:         8
        .size:           8
        .value_kind:     global_buffer
      - .offset:         16
        .size:           8
        .value_kind:     by_value
      - .offset:         24
        .size:           8
        .value_kind:     by_value
      - .actual_access:  read_only
        .address_space:  global
        .offset:         32
        .size:           8
        .value_kind:     global_buffer
      - .offset:         40
        .size:           48
        .value_kind:     by_value
      - .offset:         88
        .size:           48
        .value_kind:     by_value
      - .offset:         136
        .size:           48
        .value_kind:     by_value
      - .offset:         184
        .size:           4
        .value_kind:     by_value
      - .offset:         188
        .size:           4
        .value_kind:     by_value
      - .offset:         192
        .size:           4
        .value_kind:     by_value
      - .offset:         196
        .size:           4
        .value_kind:     by_value
      - .offset:         200
        .size:           4
        .value_kind:     by_value
      - .offset:         204
        .size:           4
        .value_kind:     by_value
      - .offset:         208
        .size:           4
        .value_kind:     by_value
      - .offset:         212
        .size:           4
        .value_kind:     by_value
      - .offset:         216
        .size:           4
        .value_kind:     by_value
      - .offset:         220
        .size:           4
        .value_kind:     by_value
      - .offset:         224
        .size:           4
        .value_kind:     by_value
      - .offset:         228
        .size:           4
        .value_kind:     by_value
      - .offset:         232
        .size:           4
        .value_kind:     by_value
      - .offset:         236
        .size:           4
        .value_kind:     by_value
      - .offset:         240
        .size:           4
        .value_kind:     by_value
      - .offset:         244
        .size:           4
        .value_kind:     by_value
      - .offset:         248
        .size:           4
        .value_kind:     by_value
      - .offset:         252
        .size:           4
        .value_kind:     by_value
      - .offset:         256
        .size:           4
        .value_kind:     by_value
      - .offset:         260
        .size:           4
        .value_kind:     by_value
      - .offset:         264
        .size:           4
        .value_kind:     by_value
      - .offset:         268
        .size:           4
        .value_kind:     by_value
      - .offset:         272
        .size:           4
        .value_kind:     hidden_block_count_x
      - .offset:         276
        .size:           4
        .value_kind:     hidden_block_count_y
      - .offset:         280
        .size:           4
        .value_kind:     hidden_block_count_z
      - .offset:         284
        .size:           2
        .value_kind:     hidden_group_size_x
      - .offset:         286
        .size:           2
        .value_kind:     hidden_group_size_y
      - .offset:         288
        .size:           2
        .value_kind:     hidden_group_size_z
      - .offset:         290
        .size:           2
        .value_kind:     hidden_remainder_x
      - .offset:         292
        .size:           2
        .value_kind:     hidden_remainder_y
      - .offset:         294
        .size:           2
        .value_kind:     hidden_remainder_z
      - .offset:         312
        .size:           8
        .value_kind:     hidden_global_offset_x
      - .offset:         320
        .size:           8
        .value_kind:     hidden_global_offset_y
      - .offset:         328
        .size:           8
        .value_kind:     hidden_global_offset_z
      - .offset:         336
        .size:           2
        .value_kind:     hidden_grid_dims
    .group_segment_fixed_size: 0
    .kernarg_segment_align: 8
    .kernarg_segment_size: 528
    .language:       OpenCL C
    .language_version:
      - 2
      - 0
    .max_flat_workgroup_size: 1024
    .name:           naive_conv_ab_nonpacked_wrw_ndhwc_float_double_float_0
    .private_segment_fixed_size: 0
    .sgpr_count:     102
    .sgpr_spill_count: 0
    .symbol:         naive_conv_ab_nonpacked_wrw_ndhwc_float_double_float_0.kd
    .uniform_work_group_size: 1
    .uses_dynamic_stack: false
    .vgpr_count:     30
    .vgpr_spill_count: 0
    .wavefront_size: 64
  - .agpr_count:     0
    .args:
      - .actual_access:  read_only
        .address_space:  global
        .offset:         0
        .size:           8
        .value_kind:     global_buffer
      - .address_space:  global
        .offset:         8
        .size:           8
        .value_kind:     global_buffer
      - .offset:         16
        .size:           8
        .value_kind:     by_value
      - .offset:         24
        .size:           8
        .value_kind:     by_value
      - .actual_access:  read_only
        .address_space:  global
        .offset:         32
        .size:           8
        .value_kind:     global_buffer
      - .offset:         40
        .size:           48
        .value_kind:     by_value
      - .offset:         88
        .size:           48
        .value_kind:     by_value
      - .offset:         136
        .size:           48
        .value_kind:     by_value
      - .offset:         184
        .size:           4
        .value_kind:     by_value
      - .offset:         188
        .size:           4
        .value_kind:     by_value
      - .offset:         192
        .size:           4
        .value_kind:     by_value
      - .offset:         196
        .size:           4
        .value_kind:     by_value
      - .offset:         200
        .size:           4
        .value_kind:     by_value
      - .offset:         204
        .size:           4
        .value_kind:     by_value
      - .offset:         208
        .size:           4
        .value_kind:     by_value
      - .offset:         212
        .size:           4
        .value_kind:     by_value
      - .offset:         216
        .size:           4
        .value_kind:     by_value
      - .offset:         220
        .size:           4
        .value_kind:     by_value
      - .offset:         224
        .size:           4
        .value_kind:     by_value
      - .offset:         228
        .size:           4
        .value_kind:     by_value
      - .offset:         232
        .size:           4
        .value_kind:     by_value
      - .offset:         236
        .size:           4
        .value_kind:     by_value
      - .offset:         240
        .size:           4
        .value_kind:     by_value
      - .offset:         244
        .size:           4
        .value_kind:     by_value
      - .offset:         248
        .size:           4
        .value_kind:     by_value
      - .offset:         252
        .size:           4
        .value_kind:     by_value
      - .offset:         256
        .size:           4
        .value_kind:     by_value
      - .offset:         260
        .size:           4
        .value_kind:     by_value
      - .offset:         264
        .size:           4
        .value_kind:     by_value
      - .offset:         268
        .size:           4
        .value_kind:     by_value
      - .offset:         272
        .size:           4
        .value_kind:     hidden_block_count_x
      - .offset:         276
        .size:           4
        .value_kind:     hidden_block_count_y
      - .offset:         280
        .size:           4
        .value_kind:     hidden_block_count_z
      - .offset:         284
        .size:           2
        .value_kind:     hidden_group_size_x
      - .offset:         286
        .size:           2
        .value_kind:     hidden_group_size_y
      - .offset:         288
        .size:           2
        .value_kind:     hidden_group_size_z
      - .offset:         290
        .size:           2
        .value_kind:     hidden_remainder_x
      - .offset:         292
        .size:           2
        .value_kind:     hidden_remainder_y
      - .offset:         294
        .size:           2
        .value_kind:     hidden_remainder_z
      - .offset:         312
        .size:           8
        .value_kind:     hidden_global_offset_x
      - .offset:         320
        .size:           8
        .value_kind:     hidden_global_offset_y
      - .offset:         328
        .size:           8
        .value_kind:     hidden_global_offset_z
      - .offset:         336
        .size:           2
        .value_kind:     hidden_grid_dims
    .group_segment_fixed_size: 0
    .kernarg_segment_align: 8
    .kernarg_segment_size: 528
    .language:       OpenCL C
    .language_version:
      - 2
      - 0
    .max_flat_workgroup_size: 1024
    .name:           naive_conv_ab_packed_wrw_ndhwc_float_double_float_1
    .private_segment_fixed_size: 0
    .sgpr_count:     98
    .sgpr_spill_count: 0
    .symbol:         naive_conv_ab_packed_wrw_ndhwc_float_double_float_1.kd
    .uniform_work_group_size: 1
    .uses_dynamic_stack: false
    .vgpr_count:     28
    .vgpr_spill_count: 0
    .wavefront_size: 64
  - .agpr_count:     0
    .args:
      - .actual_access:  read_only
        .address_space:  global
        .offset:         0
        .size:           8
        .value_kind:     global_buffer
      - .address_space:  global
        .offset:         8
        .size:           8
        .value_kind:     global_buffer
      - .offset:         16
        .size:           8
        .value_kind:     by_value
      - .offset:         24
        .size:           8
        .value_kind:     by_value
      - .actual_access:  read_only
        .address_space:  global
        .offset:         32
        .size:           8
        .value_kind:     global_buffer
      - .offset:         40
        .size:           48
        .value_kind:     by_value
      - .offset:         88
        .size:           48
        .value_kind:     by_value
      - .offset:         136
        .size:           48
        .value_kind:     by_value
      - .offset:         184
        .size:           4
        .value_kind:     by_value
      - .offset:         188
        .size:           4
        .value_kind:     by_value
      - .offset:         192
        .size:           4
        .value_kind:     by_value
      - .offset:         196
        .size:           4
        .value_kind:     by_value
      - .offset:         200
        .size:           4
        .value_kind:     by_value
      - .offset:         204
        .size:           4
        .value_kind:     by_value
      - .offset:         208
        .size:           4
        .value_kind:     by_value
      - .offset:         212
        .size:           4
        .value_kind:     by_value
      - .offset:         216
        .size:           4
        .value_kind:     by_value
      - .offset:         220
        .size:           4
        .value_kind:     by_value
      - .offset:         224
        .size:           4
        .value_kind:     by_value
      - .offset:         228
        .size:           4
        .value_kind:     by_value
      - .offset:         232
        .size:           4
        .value_kind:     by_value
      - .offset:         236
        .size:           4
        .value_kind:     by_value
      - .offset:         240
        .size:           4
        .value_kind:     by_value
      - .offset:         244
        .size:           4
        .value_kind:     by_value
      - .offset:         248
        .size:           4
        .value_kind:     by_value
      - .offset:         252
        .size:           4
        .value_kind:     by_value
      - .offset:         256
        .size:           4
        .value_kind:     by_value
      - .offset:         260
        .size:           4
        .value_kind:     by_value
      - .offset:         264
        .size:           4
        .value_kind:     by_value
      - .offset:         268
        .size:           4
        .value_kind:     by_value
      - .offset:         272
        .size:           4
        .value_kind:     hidden_block_count_x
      - .offset:         276
        .size:           4
        .value_kind:     hidden_block_count_y
      - .offset:         280
        .size:           4
        .value_kind:     hidden_block_count_z
      - .offset:         284
        .size:           2
        .value_kind:     hidden_group_size_x
      - .offset:         286
        .size:           2
        .value_kind:     hidden_group_size_y
      - .offset:         288
        .size:           2
        .value_kind:     hidden_group_size_z
      - .offset:         290
        .size:           2
        .value_kind:     hidden_remainder_x
      - .offset:         292
        .size:           2
        .value_kind:     hidden_remainder_y
      - .offset:         294
        .size:           2
        .value_kind:     hidden_remainder_z
      - .offset:         312
        .size:           8
        .value_kind:     hidden_global_offset_x
      - .offset:         320
        .size:           8
        .value_kind:     hidden_global_offset_y
      - .offset:         328
        .size:           8
        .value_kind:     hidden_global_offset_z
      - .offset:         336
        .size:           2
        .value_kind:     hidden_grid_dims
    .group_segment_fixed_size: 0
    .kernarg_segment_align: 8
    .kernarg_segment_size: 528
    .language:       OpenCL C
    .language_version:
      - 2
      - 0
    .max_flat_workgroup_size: 1024
    .name:           naive_conv_ab_nonpacked_wrw_ndhwc_float_double_float_1
    .private_segment_fixed_size: 0
    .sgpr_count:     102
    .sgpr_spill_count: 0
    .symbol:         naive_conv_ab_nonpacked_wrw_ndhwc_float_double_float_1.kd
    .uniform_work_group_size: 1
    .uses_dynamic_stack: false
    .vgpr_count:     30
    .vgpr_spill_count: 0
    .wavefront_size: 64
  - .agpr_count:     0
    .args:
      - .actual_access:  read_only
        .address_space:  global
        .offset:         0
        .size:           8
        .value_kind:     global_buffer
      - .address_space:  global
        .offset:         8
        .size:           8
        .value_kind:     global_buffer
      - .offset:         16
        .size:           8
        .value_kind:     by_value
      - .offset:         24
        .size:           8
        .value_kind:     by_value
      - .actual_access:  read_only
        .address_space:  global
        .offset:         32
        .size:           8
        .value_kind:     global_buffer
      - .offset:         40
        .size:           48
        .value_kind:     by_value
      - .offset:         88
        .size:           48
        .value_kind:     by_value
      - .offset:         136
        .size:           48
        .value_kind:     by_value
      - .offset:         184
        .size:           4
        .value_kind:     by_value
      - .offset:         188
        .size:           4
        .value_kind:     by_value
      - .offset:         192
        .size:           4
        .value_kind:     by_value
      - .offset:         196
        .size:           4
        .value_kind:     by_value
      - .offset:         200
        .size:           4
        .value_kind:     by_value
      - .offset:         204
        .size:           4
        .value_kind:     by_value
      - .offset:         208
        .size:           4
        .value_kind:     by_value
      - .offset:         212
        .size:           4
        .value_kind:     by_value
      - .offset:         216
        .size:           4
        .value_kind:     by_value
      - .offset:         220
        .size:           4
        .value_kind:     by_value
      - .offset:         224
        .size:           4
        .value_kind:     by_value
      - .offset:         228
        .size:           4
        .value_kind:     by_value
      - .offset:         232
        .size:           4
        .value_kind:     by_value
      - .offset:         236
        .size:           4
        .value_kind:     by_value
      - .offset:         240
        .size:           4
        .value_kind:     by_value
      - .offset:         244
        .size:           4
        .value_kind:     by_value
      - .offset:         248
        .size:           4
        .value_kind:     by_value
      - .offset:         252
        .size:           4
        .value_kind:     by_value
      - .offset:         256
        .size:           4
        .value_kind:     by_value
      - .offset:         260
        .size:           4
        .value_kind:     by_value
      - .offset:         264
        .size:           4
        .value_kind:     by_value
      - .offset:         268
        .size:           4
        .value_kind:     by_value
      - .offset:         272
        .size:           4
        .value_kind:     hidden_block_count_x
      - .offset:         276
        .size:           4
        .value_kind:     hidden_block_count_y
      - .offset:         280
        .size:           4
        .value_kind:     hidden_block_count_z
      - .offset:         284
        .size:           2
        .value_kind:     hidden_group_size_x
      - .offset:         286
        .size:           2
        .value_kind:     hidden_group_size_y
      - .offset:         288
        .size:           2
        .value_kind:     hidden_group_size_z
      - .offset:         290
        .size:           2
        .value_kind:     hidden_remainder_x
      - .offset:         292
        .size:           2
        .value_kind:     hidden_remainder_y
      - .offset:         294
        .size:           2
        .value_kind:     hidden_remainder_z
      - .offset:         312
        .size:           8
        .value_kind:     hidden_global_offset_x
      - .offset:         320
        .size:           8
        .value_kind:     hidden_global_offset_y
      - .offset:         328
        .size:           8
        .value_kind:     hidden_global_offset_z
      - .offset:         336
        .size:           2
        .value_kind:     hidden_grid_dims
    .group_segment_fixed_size: 0
    .kernarg_segment_align: 8
    .kernarg_segment_size: 528
    .language:       OpenCL C
    .language_version:
      - 2
      - 0
    .max_flat_workgroup_size: 1024
    .name:           naive_conv_ab_packed_wrw_ndhwc_half_double_half_0
    .private_segment_fixed_size: 0
    .sgpr_count:     98
    .sgpr_spill_count: 0
    .symbol:         naive_conv_ab_packed_wrw_ndhwc_half_double_half_0.kd
    .uniform_work_group_size: 1
    .uses_dynamic_stack: false
    .vgpr_count:     28
    .vgpr_spill_count: 0
    .wavefront_size: 64
  - .agpr_count:     0
    .args:
      - .actual_access:  read_only
        .address_space:  global
        .offset:         0
        .size:           8
        .value_kind:     global_buffer
      - .address_space:  global
        .offset:         8
        .size:           8
        .value_kind:     global_buffer
      - .offset:         16
        .size:           8
        .value_kind:     by_value
      - .offset:         24
        .size:           8
        .value_kind:     by_value
      - .actual_access:  read_only
        .address_space:  global
        .offset:         32
        .size:           8
        .value_kind:     global_buffer
      - .offset:         40
        .size:           48
        .value_kind:     by_value
      - .offset:         88
        .size:           48
        .value_kind:     by_value
      - .offset:         136
        .size:           48
        .value_kind:     by_value
      - .offset:         184
        .size:           4
        .value_kind:     by_value
      - .offset:         188
        .size:           4
        .value_kind:     by_value
      - .offset:         192
        .size:           4
        .value_kind:     by_value
      - .offset:         196
        .size:           4
        .value_kind:     by_value
      - .offset:         200
        .size:           4
        .value_kind:     by_value
      - .offset:         204
        .size:           4
        .value_kind:     by_value
      - .offset:         208
        .size:           4
        .value_kind:     by_value
      - .offset:         212
        .size:           4
        .value_kind:     by_value
      - .offset:         216
        .size:           4
        .value_kind:     by_value
      - .offset:         220
        .size:           4
        .value_kind:     by_value
      - .offset:         224
        .size:           4
        .value_kind:     by_value
      - .offset:         228
        .size:           4
        .value_kind:     by_value
      - .offset:         232
        .size:           4
        .value_kind:     by_value
      - .offset:         236
        .size:           4
        .value_kind:     by_value
      - .offset:         240
        .size:           4
        .value_kind:     by_value
      - .offset:         244
        .size:           4
        .value_kind:     by_value
      - .offset:         248
        .size:           4
        .value_kind:     by_value
      - .offset:         252
        .size:           4
        .value_kind:     by_value
      - .offset:         256
        .size:           4
        .value_kind:     by_value
      - .offset:         260
        .size:           4
        .value_kind:     by_value
      - .offset:         264
        .size:           4
        .value_kind:     by_value
      - .offset:         268
        .size:           4
        .value_kind:     by_value
      - .offset:         272
        .size:           4
        .value_kind:     hidden_block_count_x
      - .offset:         276
        .size:           4
        .value_kind:     hidden_block_count_y
      - .offset:         280
        .size:           4
        .value_kind:     hidden_block_count_z
      - .offset:         284
        .size:           2
        .value_kind:     hidden_group_size_x
      - .offset:         286
        .size:           2
        .value_kind:     hidden_group_size_y
      - .offset:         288
        .size:           2
        .value_kind:     hidden_group_size_z
      - .offset:         290
        .size:           2
        .value_kind:     hidden_remainder_x
      - .offset:         292
        .size:           2
        .value_kind:     hidden_remainder_y
      - .offset:         294
        .size:           2
        .value_kind:     hidden_remainder_z
      - .offset:         312
        .size:           8
        .value_kind:     hidden_global_offset_x
      - .offset:         320
        .size:           8
        .value_kind:     hidden_global_offset_y
      - .offset:         328
        .size:           8
        .value_kind:     hidden_global_offset_z
      - .offset:         336
        .size:           2
        .value_kind:     hidden_grid_dims
    .group_segment_fixed_size: 0
    .kernarg_segment_align: 8
    .kernarg_segment_size: 528
    .language:       OpenCL C
    .language_version:
      - 2
      - 0
    .max_flat_workgroup_size: 1024
    .name:           naive_conv_ab_nonpacked_wrw_ndhwc_half_double_half_0
    .private_segment_fixed_size: 0
    .sgpr_count:     102
    .sgpr_spill_count: 0
    .symbol:         naive_conv_ab_nonpacked_wrw_ndhwc_half_double_half_0.kd
    .uniform_work_group_size: 1
    .uses_dynamic_stack: false
    .vgpr_count:     30
    .vgpr_spill_count: 0
    .wavefront_size: 64
  - .agpr_count:     0
    .args:
      - .actual_access:  read_only
        .address_space:  global
        .offset:         0
        .size:           8
        .value_kind:     global_buffer
      - .address_space:  global
        .offset:         8
        .size:           8
        .value_kind:     global_buffer
      - .offset:         16
        .size:           8
        .value_kind:     by_value
      - .offset:         24
        .size:           8
        .value_kind:     by_value
      - .actual_access:  read_only
        .address_space:  global
        .offset:         32
        .size:           8
        .value_kind:     global_buffer
      - .offset:         40
        .size:           48
        .value_kind:     by_value
      - .offset:         88
        .size:           48
        .value_kind:     by_value
      - .offset:         136
        .size:           48
        .value_kind:     by_value
      - .offset:         184
        .size:           4
        .value_kind:     by_value
      - .offset:         188
        .size:           4
        .value_kind:     by_value
      - .offset:         192
        .size:           4
        .value_kind:     by_value
      - .offset:         196
        .size:           4
        .value_kind:     by_value
      - .offset:         200
        .size:           4
        .value_kind:     by_value
      - .offset:         204
        .size:           4
        .value_kind:     by_value
      - .offset:         208
        .size:           4
        .value_kind:     by_value
      - .offset:         212
        .size:           4
        .value_kind:     by_value
      - .offset:         216
        .size:           4
        .value_kind:     by_value
      - .offset:         220
        .size:           4
        .value_kind:     by_value
      - .offset:         224
        .size:           4
        .value_kind:     by_value
      - .offset:         228
        .size:           4
        .value_kind:     by_value
      - .offset:         232
        .size:           4
        .value_kind:     by_value
      - .offset:         236
        .size:           4
        .value_kind:     by_value
      - .offset:         240
        .size:           4
        .value_kind:     by_value
      - .offset:         244
        .size:           4
        .value_kind:     by_value
      - .offset:         248
        .size:           4
        .value_kind:     by_value
      - .offset:         252
        .size:           4
        .value_kind:     by_value
      - .offset:         256
        .size:           4
        .value_kind:     by_value
      - .offset:         260
        .size:           4
        .value_kind:     by_value
      - .offset:         264
        .size:           4
        .value_kind:     by_value
      - .offset:         268
        .size:           4
        .value_kind:     by_value
      - .offset:         272
        .size:           4
        .value_kind:     hidden_block_count_x
      - .offset:         276
        .size:           4
        .value_kind:     hidden_block_count_y
      - .offset:         280
        .size:           4
        .value_kind:     hidden_block_count_z
      - .offset:         284
        .size:           2
        .value_kind:     hidden_group_size_x
      - .offset:         286
        .size:           2
        .value_kind:     hidden_group_size_y
      - .offset:         288
        .size:           2
        .value_kind:     hidden_group_size_z
      - .offset:         290
        .size:           2
        .value_kind:     hidden_remainder_x
      - .offset:         292
        .size:           2
        .value_kind:     hidden_remainder_y
      - .offset:         294
        .size:           2
        .value_kind:     hidden_remainder_z
      - .offset:         312
        .size:           8
        .value_kind:     hidden_global_offset_x
      - .offset:         320
        .size:           8
        .value_kind:     hidden_global_offset_y
      - .offset:         328
        .size:           8
        .value_kind:     hidden_global_offset_z
      - .offset:         336
        .size:           2
        .value_kind:     hidden_grid_dims
    .group_segment_fixed_size: 0
    .kernarg_segment_align: 8
    .kernarg_segment_size: 528
    .language:       OpenCL C
    .language_version:
      - 2
      - 0
    .max_flat_workgroup_size: 1024
    .name:           naive_conv_ab_packed_wrw_ndhwc_ushort_double_ushort_0
    .private_segment_fixed_size: 0
    .sgpr_count:     98
    .sgpr_spill_count: 0
    .symbol:         naive_conv_ab_packed_wrw_ndhwc_ushort_double_ushort_0.kd
    .uniform_work_group_size: 1
    .uses_dynamic_stack: false
    .vgpr_count:     28
    .vgpr_spill_count: 0
    .wavefront_size: 64
  - .agpr_count:     0
    .args:
      - .actual_access:  read_only
        .address_space:  global
        .offset:         0
        .size:           8
        .value_kind:     global_buffer
      - .address_space:  global
        .offset:         8
        .size:           8
        .value_kind:     global_buffer
      - .offset:         16
        .size:           8
        .value_kind:     by_value
      - .offset:         24
        .size:           8
        .value_kind:     by_value
      - .actual_access:  read_only
        .address_space:  global
        .offset:         32
        .size:           8
        .value_kind:     global_buffer
      - .offset:         40
        .size:           48
        .value_kind:     by_value
      - .offset:         88
        .size:           48
        .value_kind:     by_value
      - .offset:         136
        .size:           48
        .value_kind:     by_value
      - .offset:         184
        .size:           4
        .value_kind:     by_value
      - .offset:         188
        .size:           4
        .value_kind:     by_value
      - .offset:         192
        .size:           4
        .value_kind:     by_value
      - .offset:         196
        .size:           4
        .value_kind:     by_value
      - .offset:         200
        .size:           4
        .value_kind:     by_value
      - .offset:         204
        .size:           4
        .value_kind:     by_value
      - .offset:         208
        .size:           4
        .value_kind:     by_value
      - .offset:         212
        .size:           4
        .value_kind:     by_value
      - .offset:         216
        .size:           4
        .value_kind:     by_value
      - .offset:         220
        .size:           4
        .value_kind:     by_value
      - .offset:         224
        .size:           4
        .value_kind:     by_value
      - .offset:         228
        .size:           4
        .value_kind:     by_value
      - .offset:         232
        .size:           4
        .value_kind:     by_value
      - .offset:         236
        .size:           4
        .value_kind:     by_value
      - .offset:         240
        .size:           4
        .value_kind:     by_value
      - .offset:         244
        .size:           4
        .value_kind:     by_value
      - .offset:         248
        .size:           4
        .value_kind:     by_value
      - .offset:         252
        .size:           4
        .value_kind:     by_value
      - .offset:         256
        .size:           4
        .value_kind:     by_value
      - .offset:         260
        .size:           4
        .value_kind:     by_value
      - .offset:         264
        .size:           4
        .value_kind:     by_value
      - .offset:         268
        .size:           4
        .value_kind:     by_value
      - .offset:         272
        .size:           4
        .value_kind:     hidden_block_count_x
      - .offset:         276
        .size:           4
        .value_kind:     hidden_block_count_y
      - .offset:         280
        .size:           4
        .value_kind:     hidden_block_count_z
      - .offset:         284
        .size:           2
        .value_kind:     hidden_group_size_x
      - .offset:         286
        .size:           2
        .value_kind:     hidden_group_size_y
      - .offset:         288
        .size:           2
        .value_kind:     hidden_group_size_z
      - .offset:         290
        .size:           2
        .value_kind:     hidden_remainder_x
      - .offset:         292
        .size:           2
        .value_kind:     hidden_remainder_y
      - .offset:         294
        .size:           2
        .value_kind:     hidden_remainder_z
      - .offset:         312
        .size:           8
        .value_kind:     hidden_global_offset_x
      - .offset:         320
        .size:           8
        .value_kind:     hidden_global_offset_y
      - .offset:         328
        .size:           8
        .value_kind:     hidden_global_offset_z
      - .offset:         336
        .size:           2
        .value_kind:     hidden_grid_dims
    .group_segment_fixed_size: 0
    .kernarg_segment_align: 8
    .kernarg_segment_size: 528
    .language:       OpenCL C
    .language_version:
      - 2
      - 0
    .max_flat_workgroup_size: 1024
    .name:           naive_conv_ab_nonpacked_wrw_ndhwc_ushort_double_ushort_0
    .private_segment_fixed_size: 0
    .sgpr_count:     104
    .sgpr_spill_count: 0
    .symbol:         naive_conv_ab_nonpacked_wrw_ndhwc_ushort_double_ushort_0.kd
    .uniform_work_group_size: 1
    .uses_dynamic_stack: false
    .vgpr_count:     30
    .vgpr_spill_count: 0
    .wavefront_size: 64
amdhsa.target:   amdgcn-amd-amdhsa--gfx942
amdhsa.version:
  - 1
  - 2
...

	.end_amdgpu_metadata
